;; amdgpu-corpus repo=ggml-org/llama.cpp kind=compiled arch=gfx950 opt=O3
	.amdgcn_target "amdgcn-amd-amdhsa--gfx950"
	.amdhsa_code_object_version 6
	.section	.text._ZL18flash_attn_ext_f16ILi64ELi64ELi8ELi4ELb0ELb0EEvPKcS1_S1_S1_S1_PKiPfP15HIP_vector_typeIfLj2EEffffjfiS5_IjLj3EEiiiiiiiiiiiliiliiiiil,"axG",@progbits,_ZL18flash_attn_ext_f16ILi64ELi64ELi8ELi4ELb0ELb0EEvPKcS1_S1_S1_S1_PKiPfP15HIP_vector_typeIfLj2EEffffjfiS5_IjLj3EEiiiiiiiiiiiliiliiiiil,comdat
	.globl	_ZL18flash_attn_ext_f16ILi64ELi64ELi8ELi4ELb0ELb0EEvPKcS1_S1_S1_S1_PKiPfP15HIP_vector_typeIfLj2EEffffjfiS5_IjLj3EEiiiiiiiiiiiliiliiiiil ; -- Begin function _ZL18flash_attn_ext_f16ILi64ELi64ELi8ELi4ELb0ELb0EEvPKcS1_S1_S1_S1_PKiPfP15HIP_vector_typeIfLj2EEffffjfiS5_IjLj3EEiiiiiiiiiiiliiliiiiil
	.p2align	8
	.type	_ZL18flash_attn_ext_f16ILi64ELi64ELi8ELi4ELb0ELb0EEvPKcS1_S1_S1_S1_PKiPfP15HIP_vector_typeIfLj2EEffffjfiS5_IjLj3EEiiiiiiiiiiiliiliiiiil,@function
_ZL18flash_attn_ext_f16ILi64ELi64ELi8ELi4ELb0ELb0EEvPKcS1_S1_S1_S1_PKiPfP15HIP_vector_typeIfLj2EEffffjfiS5_IjLj3EEiiiiiiiiiiiliiliiiiil: ; @_ZL18flash_attn_ext_f16ILi64ELi64ELi8ELi4ELb0ELb0EEvPKcS1_S1_S1_S1_PKiPfP15HIP_vector_typeIfLj2EEffffjfiS5_IjLj3EEiiiiiiiiiiiliiliiiiil
; %bb.0:
	s_load_dwordx2 s[4:5], s[0:1], 0x80
	s_load_dwordx4 s[28:31], s[0:1], 0x64
	s_mov_b32 s58, s2
	s_load_dword s59, s[0:1], 0xd0
	s_mov_b32 s6, 0
	s_waitcnt lgkmcnt(0)
	s_abs_i32 s2, s5
	v_cvt_f32_u32_e32 v1, s2
	s_sub_i32 s8, 0, s2
	s_abs_i32 s7, s29
	s_xor_b32 s3, s29, s5
	v_rcp_iflag_f32_e32 v1, v1
	s_ashr_i32 s3, s3, 31
                                        ; implicit-def: $vgpr158 : SGPR spill to VGPR lane
	v_mul_f32_e32 v1, 0x4f7ffffe, v1
	v_cvt_u32_f32_e32 v1, v1
	s_nop 0
	v_readfirstlane_b32 s9, v1
	s_mul_i32 s8, s8, s9
	s_mul_hi_u32 s8, s9, s8
	s_add_i32 s9, s9, s8
	s_mul_hi_u32 s8, s7, s9
	s_mul_i32 s9, s8, s2
	s_sub_i32 s7, s7, s9
	s_add_i32 s10, s8, 1
	s_sub_i32 s9, s7, s2
	s_cmp_ge_u32 s7, s2
	s_cselect_b32 s8, s10, s8
	s_cselect_b32 s7, s9, s7
	s_add_i32 s9, s8, 1
	s_cmp_ge_u32 s7, s2
	s_cselect_b32 s2, s9, s8
	s_add_i32 s4, s4, 63
	s_xor_b32 s2, s2, s3
	s_ashr_i32 s7, s4, 31
	s_sub_i32 s3, s2, s3
	s_lshr_b32 s2, s7, 26
	s_add_i32 s4, s4, s2
	s_add_i32 s2, s28, 7
	s_lshr_b32 s57, s2, 3
	s_add_i32 s2, s3, 3
	s_ashr_i32 s68, s4, 6
	s_ashr_i32 s4, s2, 31
	s_lshr_b32 s4, s4, 30
	s_add_i32 s2, s2, s4
	s_ashr_i32 s2, s2, 2
	s_mul_i32 s56, s57, s68
	s_mul_i32 s67, s56, s2
	;; [unrolled: 1-line block ×4, first 2 shown]
	s_ashr_i32 s10, s2, 31
	s_mul_i32 s4, s10, s58
	s_mul_hi_u32 s5, s2, s58
	s_add_i32 s7, s5, s4
	s_cmp_lg_u64 s[6:7], 0
	s_mul_i32 s6, s2, s58
	v_writelane_b32 v158, s67, 0
	s_cbranch_scc0 .LBB0_183
; %bb.1:
	s_add_u32 s4, s59, 0
	s_addc_u32 s5, 0, 0
	s_xor_b64 s[8:9], s[4:5], 0
	v_cvt_f32_u32_e32 v1, s8
	v_cvt_f32_u32_e32 v2, s9
	s_sub_u32 s11, 0, s8
	s_subb_u32 s14, 0, s9
	v_fmamk_f32 v1, v2, 0x4f800000, v1
	v_rcp_f32_e32 v1, v1
	s_nop 0
	v_mul_f32_e32 v1, 0x5f7ffffc, v1
	v_mul_f32_e32 v2, 0x2f800000, v1
	v_trunc_f32_e32 v2, v2
	v_fmamk_f32 v1, v2, 0xcf800000, v1
	v_cvt_u32_f32_e32 v2, v2
	v_cvt_u32_f32_e32 v1, v1
	v_readfirstlane_b32 s15, v2
	v_readfirstlane_b32 s12, v1
	s_mul_i32 s13, s11, s15
	s_mul_hi_u32 s17, s11, s12
	s_mul_i32 s16, s14, s12
	s_add_i32 s13, s17, s13
	s_add_i32 s13, s13, s16
	s_mul_i32 s18, s11, s12
	s_mul_i32 s17, s12, s13
	s_mul_hi_u32 s19, s12, s18
	s_mul_hi_u32 s16, s12, s13
	s_add_u32 s17, s19, s17
	s_addc_u32 s16, 0, s16
	s_mul_hi_u32 s20, s15, s18
	s_mul_i32 s18, s15, s18
	s_add_u32 s17, s17, s18
	s_mul_hi_u32 s19, s15, s13
	s_addc_u32 s16, s16, s20
	s_addc_u32 s17, s19, 0
	s_mul_i32 s13, s15, s13
	s_add_u32 s13, s16, s13
	s_addc_u32 s16, 0, s17
	s_add_u32 s17, s12, s13
	s_cselect_b64 s[12:13], -1, 0
	s_cmp_lg_u64 s[12:13], 0
	s_addc_u32 s15, s15, s16
	s_mul_i32 s12, s11, s15
	s_mul_hi_u32 s13, s11, s17
	s_add_i32 s12, s13, s12
	s_mul_i32 s14, s14, s17
	s_add_i32 s12, s12, s14
	s_mul_i32 s11, s11, s17
	s_mul_hi_u32 s14, s15, s11
	s_mul_i32 s16, s15, s11
	s_mul_i32 s19, s17, s12
	s_mul_hi_u32 s11, s17, s11
	s_mul_hi_u32 s18, s17, s12
	s_add_u32 s11, s11, s19
	s_addc_u32 s18, 0, s18
	s_add_u32 s11, s11, s16
	s_mul_hi_u32 s13, s15, s12
	s_addc_u32 s11, s18, s14
	s_addc_u32 s13, s13, 0
	s_mul_i32 s12, s15, s12
	s_add_u32 s11, s11, s12
	s_addc_u32 s14, 0, s13
	s_add_u32 s11, s17, s11
	s_cselect_b64 s[12:13], -1, 0
	s_cmp_lg_u64 s[12:13], 0
	s_addc_u32 s16, s15, s14
	s_ashr_i32 s12, s7, 31
	s_add_u32 s14, s6, s12
	s_mov_b32 s13, s12
	s_addc_u32 s15, s7, s12
	s_xor_b64 s[14:15], s[14:15], s[12:13]
	s_mul_i32 s17, s14, s16
	s_mul_hi_u32 s18, s14, s11
	s_mul_hi_u32 s7, s14, s16
	s_add_u32 s17, s18, s17
	s_addc_u32 s7, 0, s7
	s_mul_hi_u32 s19, s15, s11
	s_mul_i32 s11, s15, s11
	s_add_u32 s11, s17, s11
	s_mul_hi_u32 s18, s15, s16
	s_addc_u32 s7, s7, s19
	s_addc_u32 s11, s18, 0
	s_mul_i32 s16, s15, s16
	s_add_u32 s7, s7, s16
	s_addc_u32 s11, 0, s11
	s_mul_i32 s16, s8, s11
	s_mul_hi_u32 s17, s8, s7
	s_add_i32 s16, s17, s16
	s_mul_i32 s17, s9, s7
	s_add_i32 s20, s16, s17
	s_sub_i32 s18, s15, s20
	s_mul_i32 s16, s8, s7
	s_sub_u32 s14, s14, s16
	s_cselect_b64 s[16:17], -1, 0
	s_cmp_lg_u64 s[16:17], 0
	s_subb_u32 s21, s18, s9
	s_sub_u32 s22, s14, s8
	s_cselect_b64 s[18:19], -1, 0
	s_cmp_lg_u64 s[18:19], 0
	s_subb_u32 s18, s21, 0
	s_cmp_ge_u32 s18, s9
	s_cselect_b32 s19, -1, 0
	s_cmp_ge_u32 s22, s8
	s_cselect_b32 s21, -1, 0
	s_cmp_eq_u32 s18, s9
	s_cselect_b32 s18, s21, s19
	s_add_u32 s19, s7, 1
	s_addc_u32 s21, s11, 0
	s_add_u32 s22, s7, 2
	s_addc_u32 s23, s11, 0
	s_cmp_lg_u32 s18, 0
	s_cselect_b32 s18, s22, s19
	s_cselect_b32 s19, s23, s21
	s_cmp_lg_u64 s[16:17], 0
	s_subb_u32 s15, s15, s20
	s_cmp_ge_u32 s15, s9
	s_cselect_b32 s16, -1, 0
	s_cmp_ge_u32 s14, s8
	s_cselect_b32 s8, -1, 0
	s_cmp_eq_u32 s15, s9
	s_cselect_b32 s8, s8, s16
	s_cmp_lg_u32 s8, 0
	s_cselect_b32 s9, s19, s11
	s_cselect_b32 s8, s18, s7
	s_xor_b64 s[12:13], s[12:13], 0
	s_xor_b64 s[8:9], s[8:9], s[12:13]
	s_sub_u32 s66, s8, s12
	s_load_dwordx2 s[22:23], s[0:1], 0x74
	v_cvt_f32_u32_e32 v1, s59
	s_cbranch_execnz .LBB0_3
.LBB0_2:
	v_rcp_iflag_f32_e32 v2, v1
	s_sub_i32 s4, 0, s59
	v_mul_f32_e32 v2, 0x4f7ffffe, v2
	v_cvt_u32_f32_e32 v2, v2
	s_nop 0
	v_readfirstlane_b32 s5, v2
	s_mul_i32 s4, s4, s5
	s_mul_hi_u32 s4, s5, s4
	s_add_i32 s5, s5, s4
	s_mul_hi_u32 s4, s6, s5
	s_mul_i32 s7, s4, s59
	s_sub_i32 s6, s6, s7
	s_add_i32 s5, s4, 1
	s_sub_i32 s7, s6, s59
	s_cmp_ge_u32 s6, s59
	s_cselect_b32 s4, s5, s4
	s_cselect_b32 s6, s7, s6
	s_add_i32 s5, s4, 1
	s_cmp_ge_u32 s6, s59
	s_cselect_b32 s66, s5, s4
.LBB0_3:
	s_add_i32 s4, s58, 1
	s_mul_i32 s5, s10, s4
	s_mul_hi_u32 s6, s2, s4
	s_add_i32 s9, s6, s5
	s_mov_b32 s8, 0
	s_cmp_lg_u64 s[8:9], 0
	s_mul_i32 s2, s2, s4
	s_cbranch_scc0 .LBB0_184
; %bb.4:
	s_add_u32 s4, s59, 0
	s_addc_u32 s5, 0, 0
	s_xor_b64 s[6:7], s[4:5], 0
	v_cvt_f32_u32_e32 v2, s6
	v_cvt_f32_u32_e32 v3, s7
	s_sub_u32 s8, 0, s6
	s_subb_u32 s12, 0, s7
	v_fmamk_f32 v2, v3, 0x4f800000, v2
	v_rcp_f32_e32 v2, v2
	s_nop 0
	v_mul_f32_e32 v2, 0x5f7ffffc, v2
	v_mul_f32_e32 v3, 0x2f800000, v2
	v_trunc_f32_e32 v3, v3
	v_fmamk_f32 v2, v3, 0xcf800000, v2
	v_cvt_u32_f32_e32 v3, v3
	v_cvt_u32_f32_e32 v2, v2
	v_readfirstlane_b32 s13, v3
	v_readfirstlane_b32 s10, v2
	s_mul_i32 s11, s8, s13
	s_mul_hi_u32 s15, s8, s10
	s_mul_i32 s14, s12, s10
	s_add_i32 s11, s15, s11
	s_add_i32 s11, s11, s14
	s_mul_i32 s16, s8, s10
	s_mul_i32 s15, s10, s11
	s_mul_hi_u32 s17, s10, s16
	s_mul_hi_u32 s14, s10, s11
	s_add_u32 s15, s17, s15
	s_addc_u32 s14, 0, s14
	s_mul_hi_u32 s18, s13, s16
	s_mul_i32 s16, s13, s16
	s_add_u32 s15, s15, s16
	s_mul_hi_u32 s17, s13, s11
	s_addc_u32 s14, s14, s18
	s_addc_u32 s15, s17, 0
	s_mul_i32 s11, s13, s11
	s_add_u32 s11, s14, s11
	s_addc_u32 s14, 0, s15
	s_add_u32 s15, s10, s11
	s_cselect_b64 s[10:11], -1, 0
	s_cmp_lg_u64 s[10:11], 0
	s_addc_u32 s13, s13, s14
	s_mul_i32 s10, s8, s13
	s_mul_hi_u32 s11, s8, s15
	s_add_i32 s10, s11, s10
	s_mul_i32 s12, s12, s15
	s_add_i32 s10, s10, s12
	s_mul_i32 s8, s8, s15
	s_mul_hi_u32 s12, s13, s8
	s_mul_i32 s14, s13, s8
	s_mul_i32 s17, s15, s10
	s_mul_hi_u32 s8, s15, s8
	s_mul_hi_u32 s16, s15, s10
	s_add_u32 s8, s8, s17
	s_addc_u32 s16, 0, s16
	s_add_u32 s8, s8, s14
	s_mul_hi_u32 s11, s13, s10
	s_addc_u32 s8, s16, s12
	s_addc_u32 s11, s11, 0
	s_mul_i32 s10, s13, s10
	s_add_u32 s8, s8, s10
	s_addc_u32 s12, 0, s11
	s_add_u32 s14, s15, s8
	s_cselect_b64 s[10:11], -1, 0
	s_cmp_lg_u64 s[10:11], 0
	s_addc_u32 s12, s13, s12
	s_ashr_i32 s10, s9, 31
	s_add_u32 s8, s2, s10
	s_mov_b32 s11, s10
	s_addc_u32 s9, s9, s10
	s_xor_b64 s[8:9], s[8:9], s[10:11]
	s_mul_i32 s15, s8, s12
	s_mul_hi_u32 s16, s8, s14
	s_mul_hi_u32 s13, s8, s12
	s_add_u32 s15, s16, s15
	s_addc_u32 s13, 0, s13
	s_mul_hi_u32 s17, s9, s14
	s_mul_i32 s14, s9, s14
	s_add_u32 s14, s15, s14
	s_mul_hi_u32 s16, s9, s12
	s_addc_u32 s13, s13, s17
	s_addc_u32 s14, s16, 0
	s_mul_i32 s12, s9, s12
	s_add_u32 s16, s13, s12
	s_addc_u32 s17, 0, s14
	s_mul_i32 s12, s6, s17
	s_mul_hi_u32 s13, s6, s16
	s_add_i32 s12, s13, s12
	s_mul_i32 s13, s7, s16
	s_add_i32 s18, s12, s13
	s_sub_i32 s14, s9, s18
	s_mul_i32 s12, s6, s16
	s_sub_u32 s8, s8, s12
	s_cselect_b64 s[12:13], -1, 0
	s_cmp_lg_u64 s[12:13], 0
	s_subb_u32 s19, s14, s7
	s_sub_u32 s20, s8, s6
	s_cselect_b64 s[14:15], -1, 0
	s_cmp_lg_u64 s[14:15], 0
	s_subb_u32 s14, s19, 0
	s_cmp_ge_u32 s14, s7
	s_cselect_b32 s15, -1, 0
	s_cmp_ge_u32 s20, s6
	s_cselect_b32 s19, -1, 0
	s_cmp_eq_u32 s14, s7
	s_cselect_b32 s14, s19, s15
	s_add_u32 s15, s16, 1
	s_addc_u32 s19, s17, 0
	s_add_u32 s20, s16, 2
	s_addc_u32 s21, s17, 0
	s_cmp_lg_u32 s14, 0
	s_cselect_b32 s14, s20, s15
	s_cselect_b32 s15, s21, s19
	s_cmp_lg_u64 s[12:13], 0
	s_subb_u32 s9, s9, s18
	s_cmp_ge_u32 s9, s7
	s_cselect_b32 s12, -1, 0
	s_cmp_ge_u32 s8, s6
	s_cselect_b32 s6, -1, 0
	s_cmp_eq_u32 s9, s7
	s_cselect_b32 s6, s6, s12
	s_cmp_lg_u32 s6, 0
	s_cselect_b32 s7, s15, s17
	s_cselect_b32 s6, s14, s16
	s_xor_b64 s[8:9], s[10:11], 0
	s_xor_b64 s[6:7], s[6:7], s[8:9]
	s_sub_u32 s70, s6, s8
	s_load_dwordx2 s[18:19], s[0:1], 0x5c
	s_cbranch_execnz .LBB0_6
.LBB0_5:
	v_rcp_iflag_f32_e32 v1, v1
	s_sub_i32 s4, 0, s59
	v_mul_f32_e32 v1, 0x4f7ffffe, v1
	v_cvt_u32_f32_e32 v1, v1
	s_nop 0
	v_readfirstlane_b32 s5, v1
	s_mul_i32 s4, s4, s5
	s_mul_hi_u32 s4, s5, s4
	s_add_i32 s5, s5, s4
	s_mul_hi_u32 s4, s2, s5
	s_mul_i32 s6, s4, s59
	s_sub_i32 s2, s2, s6
	s_add_i32 s5, s4, 1
	s_sub_i32 s6, s2, s59
	s_cmp_ge_u32 s2, s59
	s_cselect_b32 s4, s5, s4
	s_cselect_b32 s2, s6, s2
	s_add_i32 s5, s4, 1
	s_cmp_ge_u32 s2, s59
	s_cselect_b32 s70, s5, s4
.LBB0_6:
	s_abs_i32 s71, s68
	v_cvt_f32_u32_e32 v1, s71
	s_load_dwordx16 s[36:51], s[0:1], 0x0
	s_load_dword s2, s[0:1], 0x40
	s_load_dwordx2 s[4:5], s[0:1], 0x8c
	s_load_dwordx4 s[52:55], s[0:1], 0x98
	s_load_dwordx2 s[60:61], s[0:1], 0xa8
	s_load_dwordx2 s[10:11], s[0:1], 0xb8
	;; [unrolled: 1-line block ×3, first 2 shown]
	s_waitcnt lgkmcnt(0)
	s_mov_b32 s1, s5
	s_ashr_i32 s26, s4, 2
	v_rcp_iflag_f32_e32 v1, v1
	s_sub_i32 s4, 0, s71
	v_writelane_b32 v158, s0, 1
	s_ashr_i32 s20, s31, 3
	v_mul_f32_e32 v1, 0x4f7ffffe, v1
	v_cvt_u32_f32_e32 v1, v1
	v_writelane_b32 v158, s1, 2
	s_ashr_i32 s1, s68, 31
	v_writelane_b32 v158, s1, 3
	v_readfirstlane_b32 s5, v1
	s_mul_i32 s4, s4, s5
	s_mul_hi_u32 s4, s5, s4
	s_abs_i32 s1, s66
	s_add_i32 s24, s5, s4
	s_mul_hi_u32 s4, s1, s24
	s_mul_i32 s4, s4, s71
	s_sub_i32 s1, s1, s4
	s_ashr_i32 s21, s22, 3
	s_ashr_i32 s94, s11, 1
	;; [unrolled: 1-line block ×4, first 2 shown]
	s_sub_i32 s4, s1, s71
	s_cmp_ge_u32 s1, s71
	s_cselect_b32 s1, s4, s1
	s_sub_i32 s4, s1, s71
	s_cmp_ge_u32 s1, s71
	s_cselect_b32 s1, s4, s1
	s_xor_b32 s1, s1, s0
	s_sub_i32 s97, s1, s0
	s_sub_i32 s0, s70, s66
	s_add_i32 s4, s0, s97
	s_min_i32 s64, s68, s4
	s_cmp_gt_i32 s70, s66
	s_cselect_b64 s[8:9], -1, 0
	s_cmp_le_i32 s70, s66
	s_cselect_b64 s[0:1], -1, 0
	s_cmp_gt_i32 s68, s4
	v_cvt_f16_f32_e32 v1, s2
	s_cselect_b64 s[4:5], -1, 0
	s_or_b64 s[0:1], s[4:5], s[0:1]
	v_bfe_u32 v19, v0, 5, 5
	v_bfe_u32 v39, v0, 10, 10
	s_mov_b32 s73, 0
	s_and_b64 vcc, exec, s[0:1]
	v_lshl_add_u32 v64, v39, 1, v19
	v_and_b32_e32 v18, 31, v0
	v_lshlrev_b32_e32 v41, 3, v39
	s_cbranch_vccz .LBB0_9
; %bb.7:
	s_andn2_b64 vcc, exec, s[8:9]
	s_cbranch_vccz .LBB0_162
.LBB0_8:
	s_endpgm
.LBB0_9:
	s_cmp_eq_u64 s[44:45], 0
	v_writelane_b32 v158, s59, 4
	s_cselect_b64 s[0:1], -1, 0
	v_writelane_b32 v158, s0, 5
	s_cmp_lg_u64 s[46:47], 0
	v_and_b32_e32 v3, 0x7f0, v41
	v_writelane_b32 v158, s1, 6
	s_cselect_b64 s[0:1], -1, 0
	v_writelane_b32 v158, s0, 7
	v_and_b32_e32 v5, 15, v0
	v_lshrrev_b32_e32 v8, 1, v0
	v_writelane_b32 v158, s1, 8
	s_movk_i32 s0, 0x90
	v_mad_u32_u24 v4, v3, s0, 0
	v_mul_u32_u24_e32 v6, 0x90, v5
	v_and_b32_e32 v8, 0x78, v8
	v_add3_u32 v21, v4, v6, v8
	v_and_b32_e32 v4, 0x3ff, v0
	v_lshlrev_b32_e32 v10, 2, v4
	v_and_b32_e32 v24, 28, v10
	v_lshlrev_b32_e32 v10, 4, v39
	v_lshrrev_b32_e32 v12, 2, v0
	v_and_b32_e32 v11, 16, v10
	v_and_b32_e32 v12, 60, v12
	v_and_or_b32 v3, v0, 12, v3
	v_bfe_u32 v7, v0, 3, 7
	v_lshlrev_b32_e32 v6, 1, v4
	v_mul_u32_u24_e32 v65, 0x90, v11
	v_add_u32_e32 v13, v12, v11
	v_lshrrev_b32_e32 v3, 2, v3
	v_add_u16_e32 v11, v12, v11
	v_and_b32_e32 v20, 62, v6
	v_add_u32_e32 v6, v41, v7
	v_lshrrev_b16_e32 v11, 1, v11
	v_lshlrev_b32_e32 v7, 1, v7
	v_add_u32_e32 v68, 0, v8
	v_mad_u32_u24 v3, v3, s0, 0
	v_mul_u32_u24_e32 v9, 0x90, v6
	v_mul_lo_u32 v26, s26, v6
	v_mul_lo_u32 v30, s30, v6
	v_and_b32_e32 v6, 8, v41
	v_and_b32_e32 v12, 60, v7
	v_or_b32_e32 v14, 2, v7
	v_or_b32_e32 v7, 3, v7
	v_mad_u32_u24 v69, v5, s0, v68
	v_lshl_add_u32 v70, v11, 2, v3
	v_lshl_add_u32 v3, v13, 1, v3
	s_movk_i32 s0, 0x120
	v_mul_u32_u24_e32 v12, 0x90, v12
	v_mul_u32_u24_e32 v14, 0x90, v14
	;; [unrolled: 1-line block ×3, first 2 shown]
	v_add_u32_e32 v71, 64, v3
	v_add_u32_e32 v72, 0x44, v3
	v_mad_u32_u24 v3, v6, s0, 0
	v_lshlrev_b32_e32 v6, 1, v5
	v_add3_u32 v73, v3, v12, v6
	v_add3_u32 v74, v3, v14, v6
	;; [unrolled: 1-line block ×3, first 2 shown]
	v_bfe_u32 v3, v0, 10, 1
	v_cmp_eq_u32_e64 s[0:1], 0, v3
	v_and_b32_e32 v3, 0x400, v0
	v_writelane_b32 v158, s95, 9
	v_cmp_ne_u32_e64 s[4:5], 0, v3
	s_lshl_b32 s72, s58, 5
	s_ashr_i32 s95, s94, 31
	v_writelane_b32 v158, s4, 10
	s_ashr_i32 s27, s26, 31
	s_ashr_i32 s31, s30, 31
	v_writelane_b32 v158, s5, 11
	v_cmp_gt_u32_e64 s[4:5], 16, v4
	v_mul_u32_u24_e32 v25, 0x90, v64
	v_lshlrev_b32_e32 v15, 1, v20
	v_writelane_b32 v158, s4, 12
	v_add3_u32 v66, 0, v25, v15
	v_lshlrev_b32_e32 v15, 2, v24
	v_writelane_b32 v158, s5, 13
	v_cmp_gt_u32_e64 s[4:5], 32, v4
	v_add_u32_e32 v6, v19, v39
	v_add3_u32 v67, 0, v9, v15
	v_writelane_b32 v158, s4, 14
	v_lshlrev_b32_e32 v7, 1, v6
	v_and_b32_e32 v8, 15, v6
	v_writelane_b32 v158, s5, 15
	s_lshl_b64 s[4:5], s[72:73], 3
	v_writelane_b32 v158, s58, 16
	s_add_u32 s8, s50, s4
	s_addc_u32 s9, s51, s5
	v_readlane_b32 s5, v158, 9
	s_movk_i32 s4, 0x3e0
	v_add_u32_e32 v9, 4, v6
	s_abs_i32 s69, s5
	v_and_or_b32 v7, v7, s4, v8
	v_lshlrev_b32_e32 v11, 1, v9
	v_and_b32_e32 v12, 15, v9
	s_movk_i32 s4, 0x7e0
	v_cvt_f32_u32_e32 v37, s69
	v_and_or_b32 v11, v11, s4, v12
	v_add_u32_e32 v12, 8, v6
	v_lshlrev_b32_e32 v13, 1, v12
	v_and_b32_e32 v14, 15, v12
	v_and_or_b32 v13, v13, s4, v14
	v_add_u32_e32 v14, 12, v6
	v_lshlrev_b32_e32 v15, 1, v14
	v_and_b32_e32 v16, 15, v14
	v_rcp_iflag_f32_e32 v37, v37
	s_abs_i32 s78, s67
	v_and_or_b32 v15, v15, s4, v16
	v_add_u32_e32 v16, 16, v6
	v_cvt_f32_u32_e32 v40, s78
	v_lshlrev_b32_e32 v17, 1, v16
	v_and_or_b32 v8, v17, s4, v8
	v_add_u32_e32 v17, 20, v6
	v_lshlrev_b32_e32 v34, 1, v17
	v_and_b32_e32 v35, 15, v17
	v_mul_f32_e32 v37, 0x4f7ffffe, v37
	v_and_or_b32 v34, v34, s4, v35
	v_add_u32_e32 v35, 24, v6
	v_cvt_u32_f32_e32 v37, v37
	v_rcp_iflag_f32_e32 v40, v40
	v_lshlrev_b32_e32 v36, 1, v35
	v_and_b32_e32 v38, 15, v35
	v_and_or_b32 v36, v36, s4, v38
	v_add_u32_e32 v38, 28, v6
	s_mov_b32 s6, s10
	v_lshlrev_b32_e32 v42, 1, v38
	v_and_b32_e32 v43, 15, v38
	s_abs_i32 s79, s56
	v_writelane_b32 v158, s6, 17
	v_and_or_b32 v42, v42, s4, v43
	v_readfirstlane_b32 s4, v37
	v_mul_f32_e32 v37, 0x4f7ffffe, v40
	v_cvt_f32_u32_e32 v40, s79
	v_writelane_b32 v158, s7, 18
	s_abs_i32 s33, s10
	v_readlane_b32 s10, v158, 9
	s_ashr_i32 s10, s10, 31
	v_cvt_u32_f32_e32 v37, v37
	v_writelane_b32 v158, s10, 19
	s_sub_i32 s10, 0, s69
	v_cvt_f32_u32_e32 v43, s33
	v_rcp_iflag_f32_e32 v40, v40
	s_mul_i32 s10, s10, s4
	s_mul_hi_u32 s10, s4, s10
	s_add_i32 s4, s4, s10
	v_writelane_b32 v158, s4, 20
	s_ashr_i32 s4, s67, 31
	v_readfirstlane_b32 s5, v37
	v_rcp_iflag_f32_e32 v37, v43
	v_mul_f32_e32 v40, 0x4f7ffffe, v40
	v_writelane_b32 v158, s4, 21
	s_sub_i32 s4, 0, s78
	v_cvt_u32_f32_e32 v40, v40
	s_mul_i32 s4, s4, s5
	v_or_b32_e32 v3, v41, v4
	s_mul_hi_u32 s4, s5, s4
	v_lshlrev_b32_e32 v22, 3, v3
	v_add_u32_e32 v3, 8, v64
	s_add_i32 s4, s5, s4
	v_lshrrev_b32_e32 v76, 2, v3
	v_mul_u32_u24_e32 v77, 0x90, v3
	v_mul_f32_e32 v3, 0x4f7ffffe, v37
	v_writelane_b32 v158, s4, 22
	s_ashr_i32 s4, s56, 31
	v_cvt_u32_f32_e32 v3, v3
	v_readfirstlane_b32 s6, v40
	v_writelane_b32 v158, s4, 23
	s_sub_i32 s4, 0, s79
	s_mul_i32 s4, s4, s6
	s_mul_hi_u32 s4, s6, s4
	s_add_i32 s4, s6, s4
	v_readfirstlane_b32 s7, v3
	v_writelane_b32 v158, s4, 24
	s_sub_i32 s4, 0, s33
	s_mul_i32 s4, s4, s7
	s_mul_hi_u32 s4, s7, s4
	s_add_i32 s4, s7, s4
	v_writelane_b32 v158, s4, 25
	s_lshl_b64 s[4:5], s[94:95], 1
	v_writelane_b32 v158, s4, 26
	v_add_u32_e32 v3, 24, v64
	v_lshrrev_b32_e32 v79, 2, v3
	v_writelane_b32 v158, s5, 27
	v_or_b32_e32 v3, v10, v4
	v_readlane_b32 s95, v158, 9
	v_writelane_b32 v158, s21, 28
	v_writelane_b32 v158, s18, 29
	v_mov_b32_e32 v23, 0
	v_mul_u32_u24_e32 v80, 0x90, v3
	v_or_b32_e32 v3, v10, v5
	v_writelane_b32 v158, s19, 30
	v_lshlrev_b32_e32 v2, 2, v18
	v_lshl_add_u32 v28, s26, 5, v26
	v_lshl_add_u32 v32, s30, 5, v30
	v_mul_u32_u24_e32 v82, 0x90, v3
	v_mov_b32_e32 v3, v23
	v_writelane_b32 v158, s22, 31
	s_mov_b32 s2, 0x10001
	v_ashrrev_i32_e32 v27, 31, v26
	v_ashrrev_i32_e32 v29, 31, v28
	;; [unrolled: 1-line block ×4, first 2 shown]
	v_add_u32_e32 v37, 16, v64
	v_or_b32_e32 v4, v10, v18
	v_mul_u32_u24_e32 v93, 0x90, v34
	v_lshrrev_b32_e32 v94, 2, v35
	v_add_u32_e32 v98, 0, v2
	v_lshl_add_u64 v[34:35], s[42:43], 0, v[2:3]
	v_and_b32_e32 v2, 7, v0
	v_and_b32_e32 v103, 3, v64
	v_mbcnt_lo_u32_b32 v104, -1, 0
	v_writelane_b32 v158, s23, 32
	v_lshrrev_b32_e32 v78, 2, v37
	v_mul_u32_u24_e32 v81, 0x90, v4
	v_mul_u32_u24_e32 v83, 0x90, v7
	v_lshrrev_b32_e32 v84, 2, v9
	v_mul_u32_u24_e32 v85, 0x90, v11
	v_lshrrev_b32_e32 v86, 2, v12
	;; [unrolled: 2-line block ×6, first 2 shown]
	v_mul_u32_u24_e32 v97, 0x90, v42
	v_lshlrev_b32_e32 v36, 4, v2
	v_mov_b32_e32 v37, v23
	s_lshl_b64 s[80:81], s[30:31], 8
	s_lshl_b64 s[82:83], s[26:27], 8
	s_mov_b32 s35, 0x3fb8aa3b
	s_mov_b32 s77, 0xc2ce8ed0
	;; [unrolled: 1-line block ×5, first 2 shown]
	s_movk_i32 s25, 0x47
	v_mul_lo_u32 v99, v1, s2
	v_add_u32_e32 v100, 0x1200, v67
	v_lshrrev_b32_e32 v101, 2, v6
	v_and_b32_e32 v38, 3, v6
	v_lshrrev_b32_e32 v102, 2, v64
	v_mbcnt_hi_u32_b32 v105, -1, v104
	v_mov_b32_e32 v106, 0x7f800000
	v_and_b32_e32 v40, 3, v0
	v_lshl_add_u64 v[42:43], s[8:9], 0, v[22:23]
	v_mad_u64_u32 v[44:45], s[4:5], v103, s21, v[18:19]
	v_lshl_add_u64 v[46:47], v[30:31], 2, s[40:41]
	v_lshl_add_u64 v[48:49], v[32:33], 2, s[40:41]
	;; [unrolled: 1-line block ×4, first 2 shown]
	v_writelane_b32 v158, s20, 33
	v_writelane_b32 v158, s24, 34
	s_branch .LBB0_12
.LBB0_10:                               ;   in Loop: Header=BB0_12 Depth=1
	s_or_b64 exec, exec, s[12:13]
	s_barrier
.LBB0_11:                               ;   in Loop: Header=BB0_12 Depth=1
	s_add_i32 s2, s66, s68
	s_abs_i32 s5, s2
	s_mul_hi_u32 s8, s5, s24
	s_mul_i32 s8, s8, s71
	s_sub_i32 s5, s5, s8
	s_ashr_i32 s4, s2, 31
	s_sub_i32 s8, s5, s71
	s_cmp_ge_u32 s5, s71
	s_cselect_b32 s5, s8, s5
	s_sub_i32 s8, s5, s71
	s_cmp_ge_u32 s5, s71
	s_cselect_b32 s5, s8, s5
	s_xor_b32 s5, s5, s4
	s_sub_i32 s4, s4, s5
	s_add_i32 s66, s2, s4
	s_sub_i32 s2, s70, s66
	s_min_i32 s64, s68, s2
	s_cmp_gt_i32 s70, s66
	s_cselect_b64 s[8:9], -1, 0
	s_cmp_le_i32 s68, s2
	s_cselect_b64 s[4:5], -1, 0
	s_and_b64 s[4:5], s[4:5], s[8:9]
	s_mov_b32 s97, 0
	s_and_b64 vcc, exec, s[4:5]
	s_cbranch_vccz .LBB0_161
.LBB0_12:                               ; =>This Loop Header: Depth=1
                                        ;     Child Loop BB0_110 Depth 2
                                        ;     Child Loop BB0_35 Depth 2
	s_ashr_i32 s2, s66, 31
	v_readlane_b32 s4, v158, 19
	s_xor_b32 s2, s2, s4
	s_abs_i32 s4, s66
	v_readlane_b32 s5, v158, 20
	s_mul_hi_u32 s5, s4, s5
	s_mul_i32 s8, s5, s69
	s_sub_i32 s4, s4, s8
	s_add_i32 s8, s5, 1
	s_sub_i32 s9, s4, s69
	s_cmp_ge_u32 s4, s69
	s_cselect_b32 s5, s8, s5
	s_cselect_b32 s4, s9, s4
	s_add_i32 s8, s5, 1
	s_cmp_ge_u32 s4, s69
	s_cselect_b32 s4, s8, s5
	s_xor_b32 s4, s4, s2
	s_sub_i32 s2, s4, s2
	s_mul_i32 s4, s2, s95
	s_sub_i32 s5, s66, s4
	s_ashr_i32 s4, s5, 31
	v_readlane_b32 s8, v158, 21
	s_xor_b32 s4, s4, s8
	s_abs_i32 s8, s5
	v_readlane_b32 s9, v158, 22
	s_mul_hi_u32 s9, s8, s9
	s_mul_i32 s10, s9, s78
	s_sub_i32 s8, s8, s10
	s_add_i32 s10, s9, 1
	s_sub_i32 s11, s8, s78
	s_cmp_ge_u32 s8, s78
	s_cselect_b32 s9, s10, s9
	s_cselect_b32 s8, s11, s8
	s_add_i32 s10, s9, 1
	s_cmp_ge_u32 s8, s78
	s_cselect_b32 s8, s10, s9
	s_xor_b32 s8, s8, s4
	s_sub_i32 s4, s8, s4
	s_mul_i32 s8, s4, s67
	s_sub_i32 s8, s5, s8
	;; [unrolled: 20-line block ×3, first 2 shown]
	s_ashr_i32 s9, s8, 31
	v_readlane_b32 s10, v158, 3
	s_abs_i32 s8, s8
	s_xor_b32 s9, s9, s10
	s_mul_hi_u32 s10, s8, s24
	s_mul_i32 s11, s10, s71
	s_sub_i32 s8, s8, s11
	s_add_i32 s11, s10, 1
	s_sub_i32 s12, s8, s71
	s_cmp_ge_u32 s8, s71
	s_cselect_b32 s10, s11, s10
	s_cselect_b32 s8, s12, s8
	s_add_i32 s11, s10, 1
	s_cmp_ge_u32 s8, s71
	s_cselect_b32 s8, s11, s10
	v_readlane_b32 s10, v158, 7
	s_xor_b32 s8, s8, s9
	v_readlane_b32 s11, v158, 8
	s_andn2_b64 vcc, exec, s[10:11]
	s_sub_i32 s58, s8, s9
	s_cbranch_vccnz .LBB0_14
; %bb.13:                               ;   in Loop: Header=BB0_12 Depth=1
	s_mul_i32 s8, s2, s57
	s_add_i32 s8, s58, s8
	s_ashr_i32 s9, s8, 31
	s_lshl_b64 s[8:9], s[8:9], 2
	s_add_u32 s8, s46, s8
	s_addc_u32 s9, s47, s9
	global_load_dword v2, v23, s[8:9]
	s_waitcnt vmcnt(0)
	v_readfirstlane_b32 s8, v2
	s_ashr_i32 s9, s8, 31
	s_lshr_b32 s9, s9, 26
	s_add_i32 s8, s8, s9
	s_ashr_i32 s8, s8, 6
	s_min_i32 s64, s64, s8
.LBB0_14:                               ;   in Loop: Header=BB0_12 Depth=1
	s_mul_i32 s8, s4, s3
	s_lshl_b32 s96, s5, 2
	s_mul_i32 s5, s2, s23
	s_add_i32 s8, s96, s8
	s_ashr_i32 s9, s5, 31
	s_add_u32 s5, s36, s5
	s_mul_i32 s10, s8, s22
	s_addc_u32 s9, s37, s9
	s_ashr_i32 s11, s10, 31
	s_add_u32 s92, s5, s10
	s_addc_u32 s93, s9, s11
	s_ashr_i32 s5, s2, 31
	s_mul_hi_u32 s9, s52, s2
	s_mul_i32 s10, s52, s5
	s_add_i32 s9, s9, s10
	s_mul_i32 s10, s53, s2
	v_readlane_b32 s14, v158, 1
	s_add_i32 s10, s9, s10
	s_mul_i32 s11, s52, s2
	v_readlane_b32 s15, v158, 2
	s_add_u32 s9, s38, s11
	s_mul_i32 s98, s4, s15
	s_addc_u32 s12, s39, s10
	s_ashr_i32 s34, s98, 31
	s_add_u32 s75, s9, s98
	s_addc_u32 s65, s12, s34
	s_abs_i32 s9, s2
	v_readlane_b32 s12, v158, 25
	s_mul_hi_u32 s12, s9, s12
	s_mul_i32 s12, s12, s33
	s_sub_i32 s9, s9, s12
	s_sub_i32 s12, s9, s33
	s_cmp_ge_u32 s9, s33
	s_cselect_b32 s9, s12, s9
	s_sub_i32 s12, s9, s33
	s_cmp_ge_u32 s9, s33
	s_cselect_b32 s9, s12, s9
	s_xor_b32 s9, s9, s5
	s_sub_i32 s9, s9, s5
	s_ashr_i32 s12, s9, 31
	s_mul_i32 s12, s62, s12
	s_mul_hi_u32 s13, s62, s9
	s_add_i32 s12, s13, s12
	s_mul_i32 s13, s63, s9
	s_add_i32 s91, s12, s13
	s_mul_i32 s90, s62, s9
	s_mul_i32 s9, s28, s29
	s_add_u32 s88, s42, s90
	s_mul_i32 s9, s9, s2
	s_addc_u32 s89, s43, s91
	s_add_i32 s9, s8, s9
	s_lshl_b32 s72, s9, 5
	s_lshl_b64 s[12:13], s[72:73], 3
	s_add_u32 s84, s48, s12
	s_mul_hi_u32 s9, s60, s2
	s_mul_i32 s5, s60, s5
	s_addc_u32 s85, s49, s13
	s_add_i32 s5, s9, s5
	s_mul_i32 s9, s61, s2
	s_add_i32 s72, s5, s9
	s_mul_i32 s99, s60, s2
	s_add_u32 s2, s40, s99
	s_mul_i32 s4, s4, s55
	s_addc_u32 s9, s41, s72
	s_ashr_i32 s5, s4, 31
	s_add_u32 s2, s2, s4
	s_addc_u32 s74, s9, s5
	s_ashr_i32 s9, s8, 31
	s_lshl_b64 s[8:9], s[8:9], 2
	s_add_u32 s12, s44, s8
	s_addc_u32 s13, s45, s9
	v_readlane_b32 s8, v158, 5
	v_readlane_b32 s9, v158, 6
	s_and_b64 s[8:9], s[8:9], exec
	s_cselect_b32 s87, 0, s13
	s_cselect_b32 s86, 0, s12
	s_cmp_lg_u32 s97, 0
	v_or_b32_e32 v45, s96, v103
	s_cbranch_scc0 .LBB0_37
; %bb.15:                               ;   in Loop: Header=BB0_12 Depth=1
	s_lshl_b32 s59, s58, 3
	v_add_u32_e32 v2, s59, v102
	v_cmp_le_i32_e64 s[8:9], s28, v2
	v_cmp_le_i32_e64 s[12:13], s3, v45
	v_cmp_gt_i32_e32 vcc, s3, v45
	s_or_b64 s[8:9], s[8:9], s[12:13]
	s_and_saveexec_b64 s[12:13], s[8:9]
	s_xor_b64 s[8:9], exec, s[12:13]
; %bb.16:                               ;   in Loop: Header=BB0_12 Depth=1
	v_add_u32_e32 v2, v98, v25
	ds_write_b32 v2, v23
                                        ; implicit-def: $vgpr2
; %bb.17:                               ;   in Loop: Header=BB0_12 Depth=1
	s_andn2_saveexec_b64 s[8:9], s[8:9]
	s_cbranch_execz .LBB0_19
; %bb.18:                               ;   in Loop: Header=BB0_12 Depth=1
	v_mad_u64_u32 v[2:3], s[12:13], v2, s20, v[44:45]
	v_ashrrev_i32_e32 v3, 31, v2
	v_lshl_add_u64 v[2:3], v[2:3], 3, s[92:93]
	global_load_dwordx2 v[2:3], v[2:3], off
	s_waitcnt vmcnt(0)
	v_cvt_pk_f16_f32 v2, v2, v3
	v_pk_mul_f16 v2, v2, v99
	v_add_u32_e32 v3, v98, v25
	ds_write_b32 v3, v2
.LBB0_19:                               ;   in Loop: Header=BB0_12 Depth=1
	s_or_b64 exec, exec, s[8:9]
	v_add_u32_e32 v2, s59, v76
	v_cmp_le_i32_e64 s[8:9], s28, v2
	s_xor_b64 s[12:13], vcc, -1
	s_or_b64 s[8:9], s[8:9], s[12:13]
	s_and_saveexec_b64 s[14:15], s[8:9]
	s_xor_b64 s[8:9], exec, s[14:15]
; %bb.20:                               ;   in Loop: Header=BB0_12 Depth=1
	v_add_u32_e32 v2, v98, v77
	ds_write_b32 v2, v23
                                        ; implicit-def: $vgpr2
; %bb.21:                               ;   in Loop: Header=BB0_12 Depth=1
	s_andn2_saveexec_b64 s[8:9], s[8:9]
	s_cbranch_execz .LBB0_23
; %bb.22:                               ;   in Loop: Header=BB0_12 Depth=1
	v_mad_u64_u32 v[2:3], s[14:15], v2, s20, v[44:45]
	v_ashrrev_i32_e32 v3, 31, v2
	v_lshl_add_u64 v[2:3], v[2:3], 3, s[92:93]
	global_load_dwordx2 v[2:3], v[2:3], off
	s_waitcnt vmcnt(0)
	v_cvt_pk_f16_f32 v2, v2, v3
	v_pk_mul_f16 v2, v2, v99
	v_add_u32_e32 v3, v98, v77
	ds_write_b32 v3, v2
.LBB0_23:                               ;   in Loop: Header=BB0_12 Depth=1
	s_or_b64 exec, exec, s[8:9]
	v_add_u32_e32 v2, s59, v78
	v_cmp_le_i32_e32 vcc, s28, v2
	s_or_b64 s[8:9], vcc, s[12:13]
	s_and_saveexec_b64 s[14:15], s[8:9]
	s_xor_b64 s[8:9], exec, s[14:15]
; %bb.24:                               ;   in Loop: Header=BB0_12 Depth=1
	v_add_u32_e32 v2, v98, v77
	ds_write_b32 v2, v23 offset:1152
                                        ; implicit-def: $vgpr2
; %bb.25:                               ;   in Loop: Header=BB0_12 Depth=1
	s_andn2_saveexec_b64 s[8:9], s[8:9]
	s_cbranch_execz .LBB0_27
; %bb.26:                               ;   in Loop: Header=BB0_12 Depth=1
	v_mad_u64_u32 v[2:3], s[14:15], v2, s20, v[44:45]
	v_ashrrev_i32_e32 v3, 31, v2
	v_lshl_add_u64 v[2:3], v[2:3], 3, s[92:93]
	global_load_dwordx2 v[2:3], v[2:3], off
	s_waitcnt vmcnt(0)
	v_cvt_pk_f16_f32 v2, v2, v3
	v_pk_mul_f16 v2, v2, v99
	v_add_u32_e32 v3, v98, v77
	ds_write_b32 v3, v2 offset:1152
.LBB0_27:                               ;   in Loop: Header=BB0_12 Depth=1
	s_or_b64 exec, exec, s[8:9]
	v_add_u32_e32 v2, s59, v79
	v_cmp_le_i32_e32 vcc, s28, v2
	s_or_b64 s[8:9], vcc, s[12:13]
	s_and_saveexec_b64 s[12:13], s[8:9]
	s_xor_b64 s[8:9], exec, s[12:13]
; %bb.28:                               ;   in Loop: Header=BB0_12 Depth=1
	v_add_u32_e32 v2, v98, v77
	ds_write_b32 v2, v23 offset:2304
                                        ; implicit-def: $vgpr2
; %bb.29:                               ;   in Loop: Header=BB0_12 Depth=1
	s_andn2_saveexec_b64 s[8:9], s[8:9]
	s_cbranch_execz .LBB0_31
; %bb.30:                               ;   in Loop: Header=BB0_12 Depth=1
	v_mad_u64_u32 v[2:3], s[12:13], v2, s20, v[44:45]
	v_ashrrev_i32_e32 v3, 31, v2
	v_lshl_add_u64 v[2:3], v[2:3], 3, s[92:93]
	global_load_dwordx2 v[2:3], v[2:3], off
	s_waitcnt vmcnt(0)
	v_cvt_pk_f16_f32 v2, v2, v3
	v_pk_mul_f16 v2, v2, v99
	v_add_u32_e32 v3, v98, v77
	ds_write_b32 v3, v2 offset:2304
.LBB0_31:                               ;   in Loop: Header=BB0_12 Depth=1
	s_or_b64 exec, exec, s[8:9]
	s_waitcnt lgkmcnt(0)
	s_barrier
	ds_read2_b64 v[6:9], v21 offset1:4
	ds_read2_b64 v[2:5], v21 offset0:8 offset1:12
	s_add_i32 s76, s64, -1
	s_cmp_lt_i32 s97, s76
	s_mov_b64 s[8:9], -1
	s_waitcnt lgkmcnt(0)
	s_barrier
                                        ; implicit-def: $vgpr109
                                        ; implicit-def: $vgpr111
                                        ; implicit-def: $vgpr110
	s_cbranch_scc1 .LBB0_33
; %bb.32:                               ;   in Loop: Header=BB0_12 Depth=1
	v_and_b32_e32 v10, 64, v105
	v_add_u32_e32 v109, 64, v10
	v_xor_b32_e32 v111, 32, v105
	v_xor_b32_e32 v110, 16, v105
	s_mov_b64 s[8:9], 0
.LBB0_33:                               ;   in Loop: Header=BB0_12 Depth=1
	v_add_u32_e32 v10, s59, v64
	v_mul_hi_u32 v11, s18, v10
	v_add_u32_e32 v11, v10, v11
	v_lshrrev_b32_e32 v11, s19, v11
	v_mul_lo_u32 v11, v11, s28
	v_sub_u32_e32 v10, v10, v11
	s_andn2_b64 vcc, exec, s[8:9]
	v_mad_i64_i32 v[54:55], s[8:9], v10, s94, 0
	s_cbranch_vccnz .LBB0_38
; %bb.34:                               ;   in Loop: Header=BB0_12 Depth=1
	v_lshl_add_u64 v[10:11], v[54:55], 1, s[88:89]
	v_lshlrev_b32_e32 v22, 1, v20
	v_mbcnt_hi_u32_b32 v112, -1, v104
	v_lshl_add_u64 v[56:57], v[10:11], 0, v[22:23]
	v_and_b32_e32 v10, 64, v112
	v_add_u32_e32 v109, 64, v10
	v_xor_b32_e32 v111, 32, v112
	v_cmp_lt_i32_e32 vcc, v111, v109
	v_xor_b32_e32 v110, 16, v112
	s_mov_b32 s67, s57
	v_cndmask_b32_e32 v10, v112, v111, vcc
	v_cmp_lt_i32_e32 vcc, v110, v109
	v_lshlrev_b32_e32 v114, 2, v10
	s_mov_b32 s57, s56
	v_cndmask_b32_e32 v10, v112, v110, vcc
	s_mov_b32 s56, s94
	v_lshlrev_b32_e32 v115, 2, v10
	s_lshl_b32 s94, s97, 6
	v_mov_b32_e32 v63, 0
	v_mov_b32_e32 v113, 0xfeffffff
	;; [unrolled: 1-line block ×10, first 2 shown]
.LBB0_35:                               ;   Parent Loop BB0_12 Depth=1
                                        ; =>  This Inner Loop Header: Depth=2
	s_mul_hi_i32 s9, s94, s26
	s_mul_i32 s8, s94, s26
	s_ashr_i32 s95, s94, 31
	s_lshl_b64 s[8:9], s[8:9], 2
	s_add_u32 s8, s75, s8
	v_lshl_add_u64 v[10:11], s[94:95], 1, v[56:57]
	s_addc_u32 s9, s65, s9
	v_lshlrev_b32_e32 v22, 2, v24
	global_load_dword v124, v[10:11], off
	v_lshl_add_u64 v[10:11], v[26:27], 2, s[8:9]
	v_lshl_add_u64 v[12:13], v[28:29], 2, s[8:9]
	;; [unrolled: 1-line block ×4, first 2 shown]
	global_load_dwordx4 v[10:13], v[10:11], off
	s_nop 0
	global_load_dwordx4 v[14:17], v[14:15], off
	v_mov_b32_e32 v118, v113
	v_add_u32_e32 v113, v69, v65
	s_mul_hi_i32 s13, s94, s30
	s_mul_i32 s12, s94, s30
	s_lshl_b64 s[12:13], s[12:13], 2
	s_add_u32 s8, s2, s12
	s_addc_u32 s9, s74, s13
	v_add_u32_e32 v119, 0x1000, v113
	v_lshl_add_u64 v[120:121], v[30:31], 2, s[8:9]
	v_lshl_add_u64 v[122:123], v[32:33], 2, s[8:9]
	;; [unrolled: 1-line block ×4, first 2 shown]
	v_mov_b32_e32 v116, v117
	v_add_u32_e32 v117, 0x2400, v70
	s_add_i32 s97, s97, 1
	s_add_i32 s94, s94, 64
	s_cmp_lt_i32 s97, s76
	s_waitcnt vmcnt(2)
	ds_write_b32 v66, v124 offset:9216
	s_waitcnt vmcnt(1)
	ds_write_b128 v67, v[10:13]
	s_waitcnt vmcnt(0)
	ds_write_b128 v100, v[14:17]
	s_waitcnt lgkmcnt(0)
	s_barrier
	ds_read2_b64 v[10:13], v113 offset1:4
	ds_read2_b64 v[120:123], v119 offset0:64 offset1:68
	s_waitcnt lgkmcnt(1)
	v_mfma_f32_16x16x16_f16 v[14:17], v[10:11], v[6:7], 0
	ds_read2_b64 v[128:131], v113 offset0:8 offset1:12
	ds_read2_b64 v[132:135], v119 offset0:72 offset1:76
	s_waitcnt lgkmcnt(0)
	s_barrier
	v_mfma_f32_16x16x16_f16 v[124:127], v[120:121], v[6:7], 0
	ds_read2_b32 v[140:141], v117 offset1:1
	ds_read_b32 v22, v71 offset:9216
	ds_read_b32 v113, v72 offset:9216
	v_mfma_f32_16x16x16_f16 v[14:17], v[12:13], v[8:9], v[14:17]
	global_load_dwordx4 v[10:13], v[136:137], off
	s_waitcnt lgkmcnt(2)
	v_cvt_f32_f16_e32 v117, v140
	v_mfma_f32_16x16x16_f16 v[120:123], v[122:123], v[8:9], v[124:127]
	v_cvt_f32_f16_sdwa v119, v140 dst_sel:DWORD dst_unused:UNUSED_PAD src0_sel:WORD_1
	v_mfma_f32_16x16x16_f16 v[124:127], v[128:129], v[2:3], v[14:17]
	v_cvt_f32_f16_e32 v128, v141
	v_cvt_f32_f16_sdwa v129, v141 dst_sel:DWORD dst_unused:UNUSED_PAD src0_sel:WORD_1
	s_nop 0
	global_load_dwordx4 v[14:17], v[138:139], off
	v_mfma_f32_16x16x16_f16 v[120:123], v[132:133], v[2:3], v[120:123]
	s_waitcnt lgkmcnt(1)
	v_cvt_f32_f16_e32 v132, v22
	v_cvt_f32_f16_sdwa v22, v22 dst_sel:DWORD dst_unused:UNUSED_PAD src0_sel:WORD_1
	s_waitcnt vmcnt(1)
	ds_write_b128 v67, v[10:13]
	s_waitcnt vmcnt(0)
	ds_write_b128 v100, v[14:17]
	v_mfma_f32_16x16x16_f16 v[124:127], v[130:131], v[4:5], v[124:127]
	s_waitcnt lgkmcnt(2)
	v_cvt_f32_f16_e32 v130, v113
	v_cvt_f32_f16_sdwa v113, v113 dst_sel:DWORD dst_unused:UNUSED_PAD src0_sel:WORD_1
	s_waitcnt lgkmcnt(0)
	v_mfma_f32_16x16x16_f16 v[120:123], v[134:135], v[4:5], v[120:123]
	s_barrier
	s_nop 1
	v_add_f32_e32 v117, v124, v117
	v_add_f32_e32 v119, v125, v119
	;; [unrolled: 1-line block ×4, first 2 shown]
	s_nop 0
	v_add_f32_e32 v22, v121, v22
	v_add_f32_e32 v121, v122, v130
	;; [unrolled: 1-line block ×8, first 2 shown]
	v_max3_f32 v113, v118, v113, v123
	v_add_f32_e32 v128, 0x40051340, v120
	v_add_f32_e32 v129, 0x40051340, v22
	v_max3_f32 v113, v113, v126, v127
	v_add_f32_e32 v130, 0x40051340, v121
	v_add_f32_e32 v131, 0x40051340, v122
	v_max3_f32 v113, v113, v128, v129
	v_max3_f32 v113, v113, v130, v131
	ds_bpermute_b32 v123, v114, v113
	s_waitcnt lgkmcnt(0)
	v_max_f32_e32 v123, v123, v123
	v_max_f32_e32 v113, v113, v123
	ds_bpermute_b32 v123, v115, v113
	s_waitcnt lgkmcnt(0)
	v_max_f32_e32 v123, v123, v123
	v_max_f32_e32 v113, v113, v123
	v_sub_f32_e32 v117, v117, v113
	v_sub_f32_e32 v119, v119, v113
	;; [unrolled: 1-line block ×9, first 2 shown]
	v_mul_f32_e32 v125, 0x3fb8aa3b, v117
	v_mul_f32_e32 v126, 0x3fb8aa3b, v119
	;; [unrolled: 1-line block ×9, first 2 shown]
	v_fma_f32 v134, v117, s35, -v125
	v_rndne_f32_e32 v135, v125
	v_fma_f32 v136, v119, s35, -v126
	v_rndne_f32_e32 v137, v126
	;; [unrolled: 2-line block ×9, first 2 shown]
	v_fmac_f32_e32 v134, 0x32a5705f, v117
	v_sub_f32_e32 v125, v125, v135
	v_fmac_f32_e32 v136, 0x32a5705f, v119
	v_sub_f32_e32 v126, v126, v137
	;; [unrolled: 2-line block ×9, first 2 shown]
	v_add_f32_e32 v125, v125, v134
	v_add_f32_e32 v126, v126, v136
	v_add_f32_e32 v127, v127, v138
	v_add_f32_e32 v128, v128, v140
	v_add_f32_e32 v129, v129, v142
	v_add_f32_e32 v130, v130, v144
	v_add_f32_e32 v131, v131, v146
	v_add_f32_e32 v132, v132, v148
	v_add_f32_e32 v133, v133, v150
	v_cvt_i32_f32_e32 v135, v135
	v_cvt_i32_f32_e32 v137, v137
	;; [unrolled: 1-line block ×9, first 2 shown]
	v_exp_f32_e32 v125, v125
	v_exp_f32_e32 v126, v126
	;; [unrolled: 1-line block ×9, first 2 shown]
	v_ldexp_f32 v127, v127, v139
	v_cmp_ngt_f32_e32 vcc, s77, v123
	v_ldexp_f32 v128, v128, v141
	v_cmp_ngt_f32_e64 s[8:9], s77, v124
	v_ldexp_f32 v129, v129, v143
	v_cmp_ngt_f32_e64 s[12:13], s77, v120
	;; [unrolled: 2-line block ×8, first 2 shown]
	s_nop 1
	v_cndmask_b32_e64 v126, 0, v126, s[24:25]
	v_cmp_nlt_f32_e64 s[24:25], s54, v119
	v_cndmask_b32_e32 v119, 0, v127, vcc
	v_cmp_nlt_f32_e32 vcc, s54, v123
	v_cndmask_b32_e64 v123, 0, v128, s[8:9]
	v_cmp_nlt_f32_e64 s[8:9], s54, v124
	v_cndmask_b32_e64 v124, 0, v129, s[12:13]
	v_cmp_nlt_f32_e64 s[12:13], s54, v120
	;; [unrolled: 2-line block ×7, first 2 shown]
	v_cndmask_b32_e32 v119, v106, v119, vcc
	v_cndmask_b32_e64 v123, v106, v123, s[8:9]
	v_cndmask_b32_e64 v117, v106, v117, s[20:21]
	v_cmp_le_f32_e64 s[20:21], s6, v118
	v_cndmask_b32_e64 v118, v106, v122, s[22:23]
	v_cndmask_b32_e64 v122, v106, v126, s[24:25]
	v_add_f32_e32 v125, v118, v122
	v_cndmask_b32_e64 v126, 0, v117, s[20:21]
	v_cvt_pk_f16_f32 v130, v118, v122
	v_add_f32_e32 v117, v119, v125
	v_cvt_f16_f32_e32 v118, v126
	v_cndmask_b32_e64 v124, v106, v124, s[12:13]
	v_add_f32_e32 v117, v123, v117
	v_cndmask_b32_e64 v120, v106, v120, s[14:15]
	v_add_f32_e32 v117, v124, v117
	v_cndmask_b32_e64 v22, v106, v22, s[16:17]
	v_cndmask_b32_e64 v121, v106, v121, s[18:19]
	v_add_f32_e32 v117, v120, v117
	v_cvt_pk_f16_f32 v133, v22, v121
	v_add_f32_e32 v22, v22, v117
	v_mul_u32_u24_e32 v118, 0x10001, v118
	v_add_f32_e32 v117, v121, v22
	v_pk_mul_f16 v22, v63, v118
	v_pk_mul_f16 v63, v108, v118
	;; [unrolled: 1-line block ×5, first 2 shown]
	v_cvt_pk_f16_f32 v131, v119, v123
	v_cvt_pk_f16_f32 v132, v124, v120
	v_pk_mul_f16 v125, v60, v118
	v_pk_mul_f16 v127, v59, v118
	;; [unrolled: 1-line block ×3, first 2 shown]
	v_fmac_f32_e32 v117, v116, v126
	v_cvt_f32_f16_e32 v58, v22
	v_cvt_f32_f16_sdwa v59, v22 dst_sel:DWORD dst_unused:UNUSED_PAD src0_sel:WORD_1
	v_cvt_f32_f16_e32 v60, v63
	v_cvt_f32_f16_sdwa v61, v63 dst_sel:DWORD dst_unused:UNUSED_PAD src0_sel:WORD_1
	v_cvt_f32_f16_e32 v118, v107
	v_cvt_f32_f16_sdwa v119, v107 dst_sel:DWORD dst_unused:UNUSED_PAD src0_sel:WORD_1
	v_cvt_f32_f16_e32 v120, v62
	v_cvt_f32_f16_sdwa v121, v62 dst_sel:DWORD dst_unused:UNUSED_PAD src0_sel:WORD_1
	v_cvt_f32_f16_e32 v122, v108
	v_cvt_f32_f16_sdwa v123, v108 dst_sel:DWORD dst_unused:UNUSED_PAD src0_sel:WORD_1
	ds_read_u16 v10, v73 offset:144
	ds_read_u16 v12, v73
	ds_read_u16 v13, v73 offset:32
	ds_read_u16 v14, v73 offset:176
	;; [unrolled: 1-line block ×6, first 2 shown]
	ds_read_u16 v11, v74
	ds_read_u16 v15, v74 offset:32
	ds_read_u16 v62, v74 offset:4608
	;; [unrolled: 1-line block ×7, first 2 shown]
	ds_read_u16 v63, v75
	ds_read_u16 v134, v75 offset:32
	ds_read_u16 v135, v75 offset:4608
	;; [unrolled: 1-line block ×15, first 2 shown]
	s_waitcnt lgkmcnt(14)
	v_perm_b32 v11, v63, v11, s7
	v_perm_b32 v10, v10, v12, s7
	;; [unrolled: 1-line block ×4, first 2 shown]
	v_mfma_f32_16x16x16_f16 v[10:13], v[10:11], v[130:131], v[58:61]
	v_cvt_f32_f16_e32 v124, v125
	s_waitcnt lgkmcnt(11)
	s_nop 0
	v_perm_b32 v59, v140, v116, s7
	v_perm_b32 v58, v17, v16, s7
	v_mfma_f32_16x16x16_f16 v[14:17], v[14:15], v[130:131], v[118:121]
	v_cvt_f32_f16_sdwa v125, v125 dst_sel:DWORD dst_unused:UNUSED_PAD src0_sel:WORD_1
	v_cvt_f32_f16_e32 v126, v127
	v_cvt_f32_f16_sdwa v127, v127 dst_sel:DWORD dst_unused:UNUSED_PAD src0_sel:WORD_1
	s_waitcnt lgkmcnt(8)
	v_perm_b32 v119, v143, v139, s7
	v_perm_b32 v118, v22, v107, s7
	v_cvt_f32_f16_e32 v128, v129
	v_cvt_f32_f16_sdwa v129, v129 dst_sel:DWORD dst_unused:UNUSED_PAD src0_sel:WORD_1
	v_mfma_f32_16x16x16_f16 v[58:61], v[58:59], v[130:131], v[122:125]
	v_perm_b32 v63, v135, v62, s7
	v_perm_b32 v135, v137, v108, s7
	v_cvt_f16_f32_e32 v10, v10
	v_mfma_f32_16x16x16_f16 v[118:121], v[118:119], v[130:131], v[126:129]
	v_cvt_f16_f32_e32 v11, v11
	v_cvt_f16_f32_e32 v12, v12
	;; [unrolled: 1-line block ×15, first 2 shown]
	s_waitcnt lgkmcnt(6)
	v_perm_b32 v62, v145, v144, s7
	s_waitcnt lgkmcnt(4)
	v_perm_b32 v134, v147, v146, s7
	v_perm_b32 v137, v141, v136, s7
	s_waitcnt lgkmcnt(2)
	v_perm_b32 v136, v149, v148, s7
	;; [unrolled: 3-line block ×3, first 2 shown]
	v_cvt_f32_f16_e32 v10, v10
	v_cvt_f32_f16_e32 v11, v11
	;; [unrolled: 1-line block ×16, first 2 shown]
	v_mfma_f32_16x16x16_f16 v[10:13], v[62:63], v[132:133], v[10:13]
	s_barrier
	v_mfma_f32_16x16x16_f16 v[14:17], v[134:135], v[132:133], v[14:17]
	v_mfma_f32_16x16x16_f16 v[122:125], v[136:137], v[132:133], v[58:61]
	s_nop 4
	v_cvt_pk_f16_f32 v63, v10, v11
	v_cvt_pk_f16_f32 v108, v12, v13
	;; [unrolled: 1-line block ×3, first 2 shown]
	v_mfma_f32_16x16x16_f16 v[118:121], v[138:139], v[132:133], v[118:121]
	v_cvt_pk_f16_f32 v62, v16, v17
	v_cvt_pk_f16_f32 v61, v122, v123
	;; [unrolled: 1-line block ×3, first 2 shown]
	s_nop 4
	v_cvt_pk_f16_f32 v59, v118, v119
	v_cvt_pk_f16_f32 v58, v120, v121
	s_cbranch_scc1 .LBB0_35
; %bb.36:                               ;   in Loop: Header=BB0_12 Depth=1
	v_readlane_b32 s18, v158, 29
	v_readlane_b32 s22, v158, 31
	s_mov_b32 s94, s56
	s_mov_b32 s56, s57
	;; [unrolled: 1-line block ×3, first 2 shown]
	v_readlane_b32 s67, v158, 0
	v_readlane_b32 s19, v158, 30
	;; [unrolled: 1-line block ×6, first 2 shown]
	s_movk_i32 s25, 0x47
	s_branch .LBB0_39
.LBB0_37:                               ;   in Loop: Header=BB0_12 Depth=1
	s_cbranch_execz .LBB0_11
	s_branch .LBB0_90
.LBB0_38:                               ;   in Loop: Header=BB0_12 Depth=1
	v_mov_b32_e32 v113, 0xfeffffff
	v_mov_b32_e32 v117, 0
	;; [unrolled: 1-line block ×11, first 2 shown]
.LBB0_39:                               ;   in Loop: Header=BB0_12 Depth=1
	s_lshl_b32 s8, s97, 6
	s_ashr_i32 s9, s8, 31
	s_lshl_b64 s[12:13], s[8:9], 1
	s_add_u32 s12, s88, s12
	s_addc_u32 s13, s89, s13
	v_lshl_add_u64 v[10:11], v[54:55], 1, s[12:13]
	s_mul_hi_i32 s13, s26, s8
	s_mul_i32 s12, s26, s8
	s_lshl_b64 s[12:13], s[12:13], 2
	v_lshlrev_b32_e32 v22, 1, v20
	s_add_u32 s12, s75, s12
	v_lshl_add_u64 v[10:11], v[10:11], 0, v[22:23]
	s_addc_u32 s13, s65, s13
	global_load_dword v54, v[10:11], off
	v_lshl_add_u64 v[10:11], v[26:27], 2, s[12:13]
	v_lshlrev_b32_e32 v22, 2, v24
	v_lshl_add_u64 v[12:13], v[28:29], 2, s[12:13]
	v_lshl_add_u64 v[10:11], v[10:11], 0, v[22:23]
	;; [unrolled: 1-line block ×3, first 2 shown]
	global_load_dwordx4 v[10:13], v[10:11], off
	s_nop 0
	global_load_dwordx4 v[14:17], v[14:15], off
	v_add_u32_e32 v114, v69, v65
	v_add_u32_e32 v115, 0x1000, v114
	;; [unrolled: 1-line block ×3, first 2 shown]
	v_cmp_lt_i32_e32 vcc, v111, v109
	s_mul_hi_i32 s9, s30, s8
	s_mul_i32 s8, s30, s8
	s_lshl_b64 s[8:9], s[8:9], 2
	s_add_u32 s8, s2, s8
	s_addc_u32 s9, s74, s9
	s_cmp_lg_u64 s[86:87], 0
	s_waitcnt vmcnt(2)
	ds_write_b32 v66, v54 offset:9216
	s_waitcnt vmcnt(1)
	ds_write_b128 v67, v[10:13]
	s_waitcnt vmcnt(0)
	ds_write_b128 v100, v[14:17]
	s_waitcnt lgkmcnt(0)
	s_barrier
	ds_read2_b64 v[10:13], v114 offset1:4
	ds_read2_b64 v[54:57], v115 offset0:64 offset1:68
	ds_read2_b64 v[122:125], v114 offset0:8 offset1:12
	s_waitcnt lgkmcnt(2)
	v_mfma_f32_16x16x16_f16 v[14:17], v[10:11], v[6:7], 0
	ds_read2_b64 v[126:129], v115 offset0:72 offset1:76
	s_waitcnt lgkmcnt(0)
	s_barrier
	v_mfma_f32_16x16x16_f16 v[118:121], v[54:55], v[6:7], 0
	v_cndmask_b32_e32 v54, v112, v111, vcc
	v_cmp_lt_i32_e32 vcc, v110, v109
	v_mfma_f32_16x16x16_f16 v[10:13], v[12:13], v[8:9], v[14:17]
	v_mfma_f32_16x16x16_f16 v[6:9], v[56:57], v[8:9], v[118:121]
	s_nop 1
	ds_read2_b32 v[16:17], v116 offset1:1
	v_lshlrev_b32_e32 v15, 2, v54
	ds_read_b32 v14, v71 offset:9216
	ds_read_b32 v54, v72 offset:9216
	v_mfma_f32_16x16x16_f16 v[10:13], v[122:123], v[2:3], v[10:13]
	s_waitcnt lgkmcnt(2)
	v_cvt_f32_f16_e32 v55, v16
	v_cvt_f32_f16_sdwa v16, v16 dst_sel:DWORD dst_unused:UNUSED_PAD src0_sel:WORD_1
	v_mfma_f32_16x16x16_f16 v[6:9], v[126:127], v[2:3], v[6:9]
	v_cvt_f32_f16_e32 v56, v17
	v_cvt_f32_f16_sdwa v17, v17 dst_sel:DWORD dst_unused:UNUSED_PAD src0_sel:WORD_1
	s_waitcnt lgkmcnt(1)
	v_cvt_f32_f16_e32 v57, v14
	v_mfma_f32_16x16x16_f16 v[10:13], v[124:125], v[4:5], v[10:13]
	v_cvt_f32_f16_sdwa v14, v14 dst_sel:DWORD dst_unused:UNUSED_PAD src0_sel:WORD_1
	s_waitcnt lgkmcnt(0)
	v_cvt_f32_f16_e32 v111, v54
	v_cvt_f32_f16_sdwa v54, v54 dst_sel:DWORD dst_unused:UNUSED_PAD src0_sel:WORD_1
	v_mfma_f32_16x16x16_f16 v[2:5], v[128:129], v[4:5], v[6:9]
	s_nop 2
	v_add_f32_e32 v6, v10, v55
	v_add_f32_e32 v7, v11, v16
	;; [unrolled: 1-line block ×4, first 2 shown]
	s_nop 0
	v_add_f32_e32 v10, v3, v14
	v_add_f32_e32 v11, v4, v111
	;; [unrolled: 1-line block ×8, first 2 shown]
	v_max3_f32 v3, v113, v3, v4
	v_add_f32_e32 v14, 0x40051340, v2
	v_add_f32_e32 v16, 0x40051340, v10
	v_max3_f32 v3, v3, v5, v13
	v_add_f32_e32 v17, 0x40051340, v11
	v_add_f32_e32 v54, 0x40051340, v12
	v_max3_f32 v3, v3, v14, v16
	v_max3_f32 v3, v3, v17, v54
	ds_bpermute_b32 v4, v15, v3
	v_cndmask_b32_e32 v5, v112, v110, vcc
	v_lshlrev_b32_e32 v16, 2, v5
	s_waitcnt lgkmcnt(0)
	v_max_f32_e32 v4, v4, v4
	v_max_f32_e32 v3, v3, v4
	ds_bpermute_b32 v4, v16, v3
	s_waitcnt lgkmcnt(0)
	v_max_f32_e32 v4, v4, v4
	v_max_f32_e32 v14, v3, v4
	v_sub_f32_e32 v3, v6, v14
	v_sub_f32_e32 v4, v7, v14
	;; [unrolled: 1-line block ×3, first 2 shown]
	v_mul_f32_e32 v2, 0x3fb8aa3b, v3
	v_sub_f32_e32 v5, v8, v14
	v_mul_f32_e32 v6, 0x3fb8aa3b, v4
	v_fma_f32 v54, v3, s35, -v2
	v_rndne_f32_e32 v55, v2
	v_sub_f32_e32 v13, v9, v14
	v_mul_f32_e32 v7, 0x3fb8aa3b, v5
	v_fma_f32 v56, v4, s35, -v6
	v_rndne_f32_e32 v57, v6
	v_fmac_f32_e32 v54, 0x32a5705f, v3
	v_sub_f32_e32 v2, v2, v55
	v_mul_f32_e32 v8, 0x3fb8aa3b, v13
	v_fma_f32 v109, v5, s35, -v7
	v_rndne_f32_e32 v110, v7
	v_fmac_f32_e32 v56, 0x32a5705f, v4
	v_sub_f32_e32 v6, v6, v57
	v_add_f32_e32 v2, v2, v54
	v_fma_f32 v111, v13, s35, -v8
	v_rndne_f32_e32 v112, v8
	v_cvt_i32_f32_e32 v55, v55
	v_fmac_f32_e32 v109, 0x32a5705f, v5
	v_sub_f32_e32 v7, v7, v110
	v_add_f32_e32 v6, v6, v56
	v_exp_f32_e32 v2, v2
	v_cvt_i32_f32_e32 v57, v57
	v_fmac_f32_e32 v111, 0x32a5705f, v13
	v_sub_f32_e32 v8, v8, v112
	v_add_f32_e32 v7, v7, v109
	v_exp_f32_e32 v6, v6
	v_cvt_i32_f32_e32 v110, v110
	v_add_f32_e32 v8, v8, v111
	v_exp_f32_e32 v7, v7
	v_cvt_i32_f32_e32 v112, v112
	v_exp_f32_e32 v8, v8
	v_ldexp_f32 v2, v2, v55
	v_cmp_ngt_f32_e32 vcc, s77, v3
	v_ldexp_f32 v6, v6, v57
	v_ldexp_f32 v7, v7, v110
	v_cndmask_b32_e32 v2, 0, v2, vcc
	v_cmp_ngt_f32_e32 vcc, s77, v4
	v_ldexp_f32 v8, v8, v112
	v_mul_f32_e32 v9, 0x3fb8aa3b, v17
	v_cndmask_b32_e32 v6, 0, v6, vcc
	v_cmp_ngt_f32_e32 vcc, s77, v5
	v_fma_f32 v114, v17, s35, -v9
	v_rndne_f32_e32 v110, v9
	v_cndmask_b32_e32 v7, 0, v7, vcc
	v_cmp_ngt_f32_e32 vcc, s77, v13
	v_fmac_f32_e32 v114, 0x32a5705f, v17
	v_sub_f32_e32 v10, v10, v14
	v_cndmask_b32_e32 v54, 0, v8, vcc
	v_cmp_nlt_f32_e32 vcc, s54, v3
	v_sub_f32_e32 v11, v11, v14
	v_sub_f32_e32 v12, v12, v14
	v_cndmask_b32_e32 v55, v106, v2, vcc
	v_cmp_nlt_f32_e32 vcc, s54, v4
	s_nop 1
	v_cndmask_b32_e32 v56, v106, v6, vcc
	v_cmp_nlt_f32_e32 vcc, s54, v5
	v_add_f32_e32 v2, v55, v56
	v_lshl_add_u64 v[4:5], v[32:33], 2, s[8:9]
	v_cndmask_b32_e32 v57, v106, v7, vcc
	v_add_f32_e32 v109, v57, v2
	v_sub_f32_e32 v2, v9, v110
	v_add_f32_e32 v111, v2, v114
	v_lshl_add_u64 v[2:3], v[30:31], 2, s[8:9]
	v_lshl_add_u64 v[2:3], v[2:3], 0, v[22:23]
	;; [unrolled: 1-line block ×3, first 2 shown]
	global_load_dwordx4 v[2:5], v[2:3], off
	s_nop 0
	global_load_dwordx4 v[6:9], v[6:7], off
	v_exp_f32_e32 v22, v111
	v_cvt_i32_f32_e32 v110, v110
	v_cmp_nlt_f32_e32 vcc, s54, v13
	s_waitcnt vmcnt(1)
	ds_write_b128 v67, v[2:5]
	s_waitcnt vmcnt(0)
	ds_write_b128 v100, v[6:9]
	v_cndmask_b32_e32 v13, v106, v54, vcc
	v_add_f32_e32 v54, v13, v109
	v_mul_f32_e32 v109, 0x3fb8aa3b, v10
	v_ldexp_f32 v22, v22, v110
	v_fma_f32 v110, v10, s35, -v109
	v_rndne_f32_e32 v111, v109
	v_fmac_f32_e32 v110, 0x32a5705f, v10
	v_sub_f32_e32 v109, v109, v111
	v_add_f32_e32 v109, v109, v110
	v_exp_f32_e32 v109, v109
	v_cvt_i32_f32_e32 v110, v111
	v_cmp_ngt_f32_e32 vcc, s77, v17
	s_waitcnt lgkmcnt(0)
	s_barrier
	v_cndmask_b32_e32 v22, 0, v22, vcc
	v_cmp_nlt_f32_e32 vcc, s54, v17
	s_cselect_b64 s[8:9], -1, 0
	s_nop 0
	v_cndmask_b32_e32 v17, v106, v22, vcc
	v_add_f32_e32 v22, v17, v54
	v_ldexp_f32 v54, v109, v110
	v_mul_f32_e32 v109, 0x3fb8aa3b, v11
	v_fma_f32 v110, v11, s35, -v109
	v_rndne_f32_e32 v111, v109
	v_fmac_f32_e32 v110, 0x32a5705f, v11
	v_sub_f32_e32 v109, v109, v111
	v_add_f32_e32 v109, v109, v110
	v_exp_f32_e32 v109, v109
	v_cvt_i32_f32_e32 v110, v111
	v_cmp_ngt_f32_e32 vcc, s77, v10
	s_and_b64 s[12:13], s[0:1], s[8:9]
	s_nop 0
	v_cndmask_b32_e32 v54, 0, v54, vcc
	v_cmp_nlt_f32_e32 vcc, s54, v10
	s_nop 1
	v_cndmask_b32_e32 v10, v106, v54, vcc
	v_ldexp_f32 v54, v109, v110
	v_cmp_ngt_f32_e32 vcc, s77, v11
	v_add_f32_e32 v22, v10, v22
	s_nop 0
	v_cndmask_b32_e32 v54, 0, v54, vcc
	v_cmp_nlt_f32_e32 vcc, s54, v11
	s_nop 1
	v_cndmask_b32_e32 v11, v106, v54, vcc
	v_mul_f32_e32 v54, 0x3fb8aa3b, v12
	v_fma_f32 v109, v12, s35, -v54
	v_rndne_f32_e32 v110, v54
	v_fmac_f32_e32 v109, 0x32a5705f, v12
	v_sub_f32_e32 v54, v54, v110
	v_add_f32_e32 v54, v54, v109
	v_cvt_i32_f32_e32 v109, v110
	v_sub_f32_e32 v110, v113, v14
	v_mul_f32_e32 v111, 0x3fb8aa3b, v110
	v_fma_f32 v112, v110, s35, -v111
	v_rndne_f32_e32 v113, v111
	v_fmac_f32_e32 v112, 0x32a5705f, v110
	v_sub_f32_e32 v111, v111, v113
	v_exp_f32_e32 v54, v54
	v_add_f32_e32 v111, v111, v112
	v_exp_f32_e32 v111, v111
	v_cvt_i32_f32_e32 v112, v113
	v_ldexp_f32 v54, v54, v109
	v_cmp_ngt_f32_e32 vcc, s77, v12
	v_add_f32_e32 v22, v11, v22
	v_ldexp_f32 v109, v111, v112
	v_cndmask_b32_e32 v54, 0, v54, vcc
	v_cmp_ngt_f32_e32 vcc, s77, v110
	s_nop 1
	v_cndmask_b32_e32 v109, 0, v109, vcc
	v_cmp_nlt_f32_e32 vcc, s54, v110
	s_nop 1
	v_cndmask_b32_e32 v109, v106, v109, vcc
	v_cmp_le_f32_e32 vcc, s6, v110
	s_nop 1
	v_cndmask_b32_e32 v109, 0, v109, vcc
	v_cvt_f16_f32_e32 v110, v109
	v_cmp_nlt_f32_e32 vcc, s54, v12
	s_nop 1
	v_cndmask_b32_e32 v12, v106, v54, vcc
	v_add_f32_e32 v22, v12, v22
	v_fmac_f32_e32 v22, v117, v109
	v_mul_u32_u24_e32 v54, 0x10001, v110
	ds_read_u16 v5, v74
	ds_read_u16 v110, v74 offset:32
	ds_read_u16 v8, v74 offset:4608
	;; [unrolled: 1-line block ×7, first 2 shown]
	ds_read_u16 v6, v75
	ds_read_u16 v116, v75 offset:32
	ds_read_u16 v9, v75 offset:4608
	;; [unrolled: 1-line block ×7, first 2 shown]
	s_waitcnt lgkmcnt(7)
	v_perm_b32 v7, v6, v5, s7
	ds_read_u16 v5, v73 offset:144
	ds_read_u16 v6, v73
	ds_read_u16 v122, v73 offset:32
	ds_read_u16 v123, v73 offset:176
	ds_read_u16 v124, v73 offset:64
	ds_read_u16 v125, v73 offset:208
	ds_read_u16 v126, v73 offset:240
	ds_read_u16 v127, v73 offset:96
	v_pk_mul_f16 v63, v63, v54
	v_pk_mul_f16 v108, v108, v54
	s_waitcnt lgkmcnt(6)
	v_perm_b32 v6, v5, v6, s7
	v_cvt_f32_f16_e32 v2, v63
	v_cvt_f32_f16_sdwa v3, v63 dst_sel:DWORD dst_unused:UNUSED_PAD src0_sel:WORD_1
	v_cvt_f32_f16_e32 v4, v108
	v_cvt_f32_f16_sdwa v5, v108 dst_sel:DWORD dst_unused:UNUSED_PAD src0_sel:WORD_1
	v_pk_mul_f16 v128, v62, v54
	v_cvt_pk_f16_f32 v63, v57, v13
	v_cvt_pk_f16_f32 v62, v55, v56
	;; [unrolled: 1-line block ×4, first 2 shown]
	v_mfma_f32_16x16x16_f16 v[2:5], v[6:7], v[62:63], v[2:5]
	v_perm_b32 v7, v9, v8, s7
	ds_read_u16 v6, v73 offset:4608
	ds_read_u16 v8, v73 offset:4752
	;; [unrolled: 1-line block ×8, first 2 shown]
	s_waitcnt lgkmcnt(6)
	v_perm_b32 v6, v8, v6, s7
	v_cvt_f16_f32_e32 v2, v2
	v_cvt_f16_f32_e32 v3, v3
	;; [unrolled: 1-line block ×4, first 2 shown]
	v_cvt_f32_f16_e32 v2, v2
	v_cvt_f32_f16_e32 v3, v3
	;; [unrolled: 1-line block ×4, first 2 shown]
	v_pk_mul_f16 v107, v107, v54
	v_pk_mul_f16 v61, v61, v54
	v_mfma_f32_16x16x16_f16 v[8:11], v[6:7], v[108:109], v[2:5]
	v_perm_b32 v7, v116, v110, s7
	v_perm_b32 v6, v123, v122, s7
	s_nop 0
	v_cvt_f32_f16_e32 v2, v107
	v_cvt_f32_f16_sdwa v3, v107 dst_sel:DWORD dst_unused:UNUSED_PAD src0_sel:WORD_1
	v_cvt_f32_f16_e32 v4, v128
	v_cvt_f32_f16_sdwa v5, v128 dst_sel:DWORD dst_unused:UNUSED_PAD src0_sel:WORD_1
	v_pk_mul_f16 v17, v60, v54
	v_pk_mul_f16 v59, v59, v54
	v_mfma_f32_16x16x16_f16 v[2:5], v[6:7], v[62:63], v[2:5]
	v_perm_b32 v7, v117, v111, s7
	s_waitcnt lgkmcnt(4)
	v_perm_b32 v6, v55, v13, s7
	v_pk_mul_f16 v58, v58, v54
	v_cvt_f16_f32_e32 v54, v10
	s_nop 2
	v_cvt_f16_f32_e32 v2, v2
	v_cvt_f16_f32_e32 v3, v3
	;; [unrolled: 1-line block ×4, first 2 shown]
	v_cvt_f32_f16_e32 v2, v2
	v_cvt_f32_f16_e32 v3, v3
	;; [unrolled: 1-line block ×4, first 2 shown]
	v_cvt_f16_f32_e32 v55, v11
	ds_bpermute_b32 v15, v15, v22
	v_mfma_f32_16x16x16_f16 v[10:13], v[6:7], v[108:109], v[2:5]
	v_perm_b32 v7, v118, v112, s7
	v_perm_b32 v6, v125, v124, s7
	s_nop 0
	v_cvt_f32_f16_e32 v2, v61
	v_cvt_f32_f16_sdwa v3, v61 dst_sel:DWORD dst_unused:UNUSED_PAD src0_sel:WORD_1
	v_cvt_f32_f16_e32 v4, v17
	v_cvt_f32_f16_sdwa v5, v17 dst_sel:DWORD dst_unused:UNUSED_PAD src0_sel:WORD_1
	v_perm_b32 v17, v55, v54, s7
	v_cvt_f16_f32_e32 v12, v12
	v_mfma_f32_16x16x16_f16 v[2:5], v[6:7], v[62:63], v[2:5]
	v_perm_b32 v7, v119, v113, s7
	s_waitcnt lgkmcnt(3)
	v_perm_b32 v6, v57, v56, s7
	v_cvt_f16_f32_e32 v13, v13
	v_cvt_f32_f16_e32 v54, v59
	s_nop 2
	v_cvt_f16_f32_e32 v2, v2
	v_cvt_f16_f32_e32 v3, v3
	;; [unrolled: 1-line block ×4, first 2 shown]
	v_cvt_f32_f16_e32 v2, v2
	v_cvt_f32_f16_e32 v3, v3
	;; [unrolled: 1-line block ×4, first 2 shown]
	v_cvt_f32_f16_sdwa v55, v59 dst_sel:DWORD dst_unused:UNUSED_PAD src0_sel:WORD_1
	v_cvt_f32_f16_e32 v56, v58
	v_mfma_f32_16x16x16_f16 v[2:5], v[6:7], v[108:109], v[2:5]
	v_perm_b32 v7, v121, v115, s7
	v_perm_b32 v6, v126, v127, s7
	v_cvt_f32_f16_sdwa v57, v58 dst_sel:DWORD dst_unused:UNUSED_PAD src0_sel:WORD_1
	v_perm_b32 v12, v13, v12, s7
	s_nop 3
	v_cvt_f16_f32_e32 v13, v4
	v_cvt_f16_f32_e32 v58, v5
	v_mfma_f32_16x16x16_f16 v[4:7], v[6:7], v[62:63], v[54:57]
	s_waitcnt lgkmcnt(0)
	v_add_f32_e32 v15, v22, v15
	ds_bpermute_b32 v22, v16, v15
	v_cvt_f16_f32_e32 v60, v8
	v_perm_b32 v55, v120, v114, s7
	v_perm_b32 v54, v129, v130, s7
	s_nop 1
	v_cvt_f16_f32_e32 v4, v4
	v_cvt_f16_f32_e32 v5, v5
	;; [unrolled: 1-line block ×4, first 2 shown]
	v_cvt_f32_f16_e32 v4, v4
	v_cvt_f32_f16_e32 v5, v5
	v_cvt_f32_f16_e32 v6, v6
	v_cvt_f32_f16_e32 v7, v7
	v_cvt_f16_f32_e32 v61, v9
	v_cvt_f16_f32_e32 v107, v10
	v_mfma_f32_16x16x16_f16 v[4:7], v[54:55], v[108:109], v[4:7]
	v_cvt_f16_f32_e32 v110, v11
	v_cvt_f16_f32_e32 v56, v2
	;; [unrolled: 1-line block ×3, first 2 shown]
	v_perm_b32 v13, v58, v13, s7
	s_nop 3
	v_cvt_f16_f32_e32 v55, v4
	v_cvt_f16_f32_e32 v6, v6
	;; [unrolled: 1-line block ×4, first 2 shown]
	s_waitcnt lgkmcnt(0)
	v_add_f32_e32 v15, v15, v22
	v_perm_b32 v22, v110, v107, s7
	v_perm_b32 v6, v7, v6, s7
	;; [unrolled: 1-line block ×5, first 2 shown]
	s_barrier
	s_and_saveexec_b64 s[8:9], s[12:13]
	s_cbranch_execz .LBB0_41
; %bb.40:                               ;   in Loop: Header=BB0_12 Depth=1
	v_lshlrev_b32_e32 v7, 2, v40
	global_load_dword v7, v7, s[86:87]
	v_cvt_pk_f16_f32 v22, v8, v9
	v_max_f32_e32 v8, v14, v14
	v_cvt_pk_f16_f32 v10, v10, v11
	v_cvt_pk_f16_f32 v2, v2, v3
	;; [unrolled: 1-line block ×3, first 2 shown]
	s_waitcnt vmcnt(0)
	v_max_f32_e32 v9, v7, v7
	v_max_f32_e32 v8, v8, v9
	v_sub_f32_e32 v9, v14, v8
	v_sub_f32_e32 v7, v7, v8
	v_mul_f32_e32 v11, 0x3fb8aa3b, v9
	v_mul_f32_e32 v14, 0x3fb8aa3b, v7
	v_fma_f32 v54, v9, s35, -v11
	v_rndne_f32_e32 v55, v11
	v_fma_f32 v56, v7, s35, -v14
	v_rndne_f32_e32 v57, v14
	v_fmac_f32_e32 v54, 0x32a5705f, v9
	v_sub_f32_e32 v11, v11, v55
	v_fmac_f32_e32 v56, 0x32a5705f, v7
	v_sub_f32_e32 v14, v14, v57
	v_add_f32_e32 v11, v11, v54
	v_cvt_i32_f32_e32 v55, v55
	v_add_f32_e32 v14, v14, v56
	v_exp_f32_e32 v11, v11
	v_cvt_i32_f32_e32 v57, v57
	v_exp_f32_e32 v14, v14
	v_cmp_ngt_f32_e32 vcc, s77, v9
	v_ldexp_f32 v4, v11, v55
	v_ldexp_f32 v5, v14, v57
	v_cndmask_b32_e32 v4, 0, v4, vcc
	v_cmp_ngt_f32_e32 vcc, s77, v7
	s_nop 1
	v_cndmask_b32_e32 v5, 0, v5, vcc
	v_cmp_nlt_f32_e32 vcc, s54, v9
	s_nop 1
	v_cndmask_b32_e32 v4, v106, v4, vcc
	v_cmp_le_f32_e32 vcc, s6, v9
	s_nop 1
	v_cndmask_b32_e32 v4, 0, v4, vcc
	v_cvt_f16_f32_e32 v11, v4
	v_cmp_nlt_f32_e32 vcc, s54, v7
	s_nop 1
	v_cndmask_b32_e32 v9, v106, v5, vcc
	v_fmac_f32_e32 v9, v15, v4
	v_mul_u32_u24_e32 v4, 0x10001, v11
	v_pk_mul_f16 v7, v22, v4
	v_pk_mul_f16 v17, v17, v4
	;; [unrolled: 1-line block ×8, first 2 shown]
	v_mov_b64_e32 v[14:15], v[8:9]
.LBB0_41:                               ;   in Loop: Header=BB0_12 Depth=1
	s_or_b64 exec, exec, s[8:9]
	s_mov_b64 s[8:9], exec
	v_readlane_b32 s12, v158, 12
	v_readlane_b32 s13, v158, 13
	s_and_b64 s[12:13], s[8:9], s[12:13]
	s_mov_b64 exec, s[12:13]
; %bb.42:                               ;   in Loop: Header=BB0_12 Depth=1
	v_add_u32_e32 v2, 0, v80
	ds_write2_b32 v2, v14, v15 offset0:32 offset1:33
; %bb.43:                               ;   in Loop: Header=BB0_12 Depth=1
	s_or_b64 exec, exec, s[8:9]
	s_waitcnt lgkmcnt(0)
	s_barrier
	s_mov_b64 s[8:9], exec
	v_readlane_b32 s12, v158, 10
	v_readlane_b32 s13, v158, 11
	s_and_b64 s[12:13], s[8:9], s[12:13]
	s_xor_b64 s[8:9], s[12:13], s[8:9]
	s_mov_b64 exec, s[12:13]
	s_cbranch_execz .LBB0_45
; %bb.44:                               ;   in Loop: Header=BB0_12 Depth=1
	s_barrier
                                        ; implicit-def: $vgpr16
.LBB0_45:                               ;   in Loop: Header=BB0_12 Depth=1
	s_andn2_saveexec_b64 s[8:9], s[8:9]
	s_cbranch_execz .LBB0_51
; %bb.46:                               ;   in Loop: Header=BB0_12 Depth=1
	v_add_u32_e32 v3, 0, v81
	ds_read_b64 v[8:9], v3 offset:128
	s_waitcnt lgkmcnt(0)
	s_barrier
	ds_bpermute_b32 v2, v16, v8
	v_max_f32_e32 v4, v8, v8
	s_waitcnt lgkmcnt(0)
	v_max_f32_e32 v2, v2, v2
	v_max_f32_e32 v2, v4, v2
	v_sub_f32_e32 v4, v8, v2
	v_mul_f32_e32 v5, 0x3fb8aa3b, v4
	v_fma_f32 v8, v4, s35, -v5
	v_rndne_f32_e32 v10, v5
	v_fmac_f32_e32 v8, 0x32a5705f, v4
	v_sub_f32_e32 v5, v5, v10
	v_add_f32_e32 v5, v5, v8
	v_cvt_i32_f32_e32 v10, v10
	v_exp_f32_e32 v5, v5
	v_cmp_ngt_f32_e32 vcc, s77, v4
	v_ldexp_f32 v5, v5, v10
	s_nop 0
	v_cndmask_b32_e32 v5, 0, v5, vcc
	v_cmp_nlt_f32_e32 vcc, s54, v4
	s_nop 1
	v_cndmask_b32_e32 v4, v106, v5, vcc
	v_mul_f32_e32 v5, v9, v4
	ds_bpermute_b32 v5, v16, v5
	s_waitcnt lgkmcnt(0)
	v_fmac_f32_e32 v5, v9, v4
	s_mov_b64 s[12:13], exec
	v_readlane_b32 s14, v158, 14
	v_readlane_b32 s15, v158, 15
	s_and_b64 s[14:15], s[12:13], s[14:15]
	s_mov_b64 exec, s[14:15]
; %bb.47:                               ;   in Loop: Header=BB0_12 Depth=1
	ds_write_b64 v3, v[4:5] offset:128
; %bb.48:                               ;   in Loop: Header=BB0_12 Depth=1
	s_or_b64 exec, exec, s[12:13]
	s_mov_b64 s[12:13], exec
	v_readlane_b32 s14, v158, 12
	v_readlane_b32 s15, v158, 13
	s_and_b64 s[14:15], s[12:13], s[14:15]
	s_mov_b64 exec, s[14:15]
	s_cbranch_execz .LBB0_50
; %bb.49:                               ;   in Loop: Header=BB0_12 Depth=1
	v_mov_b32_e32 v3, v5
	global_store_dwordx2 v[42:43], v[2:3], off
.LBB0_50:                               ;   in Loop: Header=BB0_12 Depth=1
	s_or_b64 exec, exec, s[12:13]
.LBB0_51:                               ;   in Loop: Header=BB0_12 Depth=1
	s_or_b64 exec, exec, s[8:9]
	v_add_u32_e32 v2, v68, v82
	ds_write2_b32 v2, v7, v17 offset1:1
	ds_write2_b32 v2, v22, v12 offset0:8 offset1:9
	ds_write2_b32 v2, v54, v13 offset0:16 offset1:17
	;; [unrolled: 1-line block ×3, first 2 shown]
	s_waitcnt lgkmcnt(0)
	s_barrier
	s_and_saveexec_b64 s[12:13], s[0:1]
	s_cbranch_execz .LBB0_89
; %bb.52:                               ;   in Loop: Header=BB0_12 Depth=1
	v_add_u32_e32 v3, s59, v101
	v_or_b32_e32 v2, s96, v38
	v_cmp_gt_i32_e64 s[8:9], s28, v3
	v_cmp_gt_i32_e32 vcc, s3, v2
	s_and_b64 s[14:15], s[8:9], vcc
	v_mov_b32_e32 v2, 0x47
	s_and_saveexec_b64 s[8:9], s[14:15]
	s_cbranch_execz .LBB0_54
; %bb.53:                               ;   in Loop: Header=BB0_12 Depth=1
	v_add_u32_e32 v4, v98, v83
	ds_read2st64_b32 v[4:5], v4 offset1:9
	v_mad_u64_u32 v[2:3], s[14:15], v3, s29, v[38:39]
	v_add_u32_e32 v3, 0, v83
	v_add_u32_e32 v3, 0x80, v3
	ds_read2st64_b32 v[6:7], v3 offset1:9
	s_waitcnt lgkmcnt(1)
	v_cvt_f32_f16_e32 v8, v4
	v_cvt_f32_f16_sdwa v9, v4 dst_sel:DWORD dst_unused:UNUSED_PAD src0_sel:WORD_1
	v_cvt_f32_f16_e32 v4, v5
	v_cvt_f32_f16_sdwa v5, v5 dst_sel:DWORD dst_unused:UNUSED_PAD src0_sel:WORD_1
	v_lshl_or_b32 v2, v2, 5, v18
	v_ashrrev_i32_e32 v3, 31, v2
	s_waitcnt lgkmcnt(0)
	v_pk_fma_f32 v[8:9], v[6:7], v[8:9], 0 op_sel_hi:[0,1,0]
	v_mov_b32_e32 v6, v7
	v_lshl_add_u64 v[2:3], v[2:3], 3, s[84:85]
	v_pk_fma_f32 v[4:5], v[6:7], v[4:5], v[8:9] op_sel_hi:[0,1,1]
	global_store_dwordx2 v[2:3], v[4:5], off
	v_mov_b32_e32 v2, 0
.LBB0_54:                               ;   in Loop: Header=BB0_12 Depth=1
	s_or_b64 exec, exec, s[8:9]
	v_cmp_gt_i32_e64 s[8:9], s25, v2
	s_mov_b64 s[14:15], -1
	s_and_saveexec_b64 s[16:17], s[8:9]
; %bb.55:                               ;   in Loop: Header=BB0_12 Depth=1
	v_cmp_eq_u32_e64 s[8:9], 0, v2
	s_orn2_b64 s[14:15], s[8:9], exec
; %bb.56:                               ;   in Loop: Header=BB0_12 Depth=1
	s_or_b64 exec, exec, s[16:17]
	s_and_b64 exec, exec, s[14:15]
	s_cbranch_execz .LBB0_89
; %bb.57:                               ;   in Loop: Header=BB0_12 Depth=1
	v_add_u32_e32 v3, s59, v84
	v_cmp_gt_i32_e64 s[8:9], s28, v3
	s_and_b64 s[14:15], s[8:9], vcc
	v_mov_b32_e32 v2, 0x47
	s_and_saveexec_b64 s[8:9], s[14:15]
	s_cbranch_execz .LBB0_59
; %bb.58:                               ;   in Loop: Header=BB0_12 Depth=1
	v_add_u32_e32 v4, v98, v85
	ds_read2st64_b32 v[4:5], v4 offset1:9
	v_mad_u64_u32 v[2:3], s[14:15], v3, s29, v[38:39]
	v_add_u32_e32 v3, 0, v85
	v_add_u32_e32 v3, 0x80, v3
	ds_read2st64_b32 v[6:7], v3 offset1:9
	s_waitcnt lgkmcnt(1)
	v_cvt_f32_f16_e32 v8, v4
	v_cvt_f32_f16_sdwa v9, v4 dst_sel:DWORD dst_unused:UNUSED_PAD src0_sel:WORD_1
	v_cvt_f32_f16_e32 v4, v5
	v_cvt_f32_f16_sdwa v5, v5 dst_sel:DWORD dst_unused:UNUSED_PAD src0_sel:WORD_1
	v_lshl_or_b32 v2, v2, 5, v18
	v_ashrrev_i32_e32 v3, 31, v2
	s_waitcnt lgkmcnt(0)
	v_pk_fma_f32 v[8:9], v[6:7], v[8:9], 0 op_sel_hi:[0,1,0]
	v_mov_b32_e32 v6, v7
	v_lshl_add_u64 v[2:3], v[2:3], 3, s[84:85]
	v_pk_fma_f32 v[4:5], v[6:7], v[4:5], v[8:9] op_sel_hi:[0,1,1]
	global_store_dwordx2 v[2:3], v[4:5], off
	v_mov_b32_e32 v2, 0
.LBB0_59:                               ;   in Loop: Header=BB0_12 Depth=1
	s_or_b64 exec, exec, s[8:9]
	v_cmp_gt_i32_e64 s[8:9], s25, v2
	s_mov_b64 s[14:15], -1
	s_and_saveexec_b64 s[16:17], s[8:9]
; %bb.60:                               ;   in Loop: Header=BB0_12 Depth=1
	v_cmp_eq_u32_e64 s[8:9], 0, v2
	s_orn2_b64 s[14:15], s[8:9], exec
; %bb.61:                               ;   in Loop: Header=BB0_12 Depth=1
	s_or_b64 exec, exec, s[16:17]
	s_and_b64 exec, exec, s[14:15]
	s_cbranch_execz .LBB0_89
; %bb.62:                               ;   in Loop: Header=BB0_12 Depth=1
	v_add_u32_e32 v3, s59, v86
	v_cmp_gt_i32_e64 s[8:9], s28, v3
	;; [unrolled: 40-line block ×7, first 2 shown]
	s_and_b64 s[8:9], s[8:9], vcc
	s_and_b64 exec, exec, s[8:9]
	s_cbranch_execz .LBB0_89
; %bb.88:                               ;   in Loop: Header=BB0_12 Depth=1
	v_add_u32_e32 v4, v98, v97
	ds_read2st64_b32 v[4:5], v4 offset1:9
	v_mad_u64_u32 v[2:3], s[8:9], v2, s29, v[38:39]
	v_add_u32_e32 v3, 0, v97
	v_add_u32_e32 v3, 0x80, v3
	ds_read2st64_b32 v[6:7], v3 offset1:9
	s_waitcnt lgkmcnt(1)
	v_cvt_f32_f16_e32 v8, v4
	v_cvt_f32_f16_sdwa v9, v4 dst_sel:DWORD dst_unused:UNUSED_PAD src0_sel:WORD_1
	v_cvt_f32_f16_e32 v4, v5
	v_cvt_f32_f16_sdwa v5, v5 dst_sel:DWORD dst_unused:UNUSED_PAD src0_sel:WORD_1
	v_lshl_or_b32 v2, v2, 5, v18
	v_ashrrev_i32_e32 v3, 31, v2
	s_waitcnt lgkmcnt(0)
	v_pk_fma_f32 v[8:9], v[6:7], v[8:9], 0 op_sel_hi:[0,1,0]
	v_mov_b32_e32 v6, v7
	v_lshl_add_u64 v[2:3], v[2:3], 3, s[84:85]
	v_pk_fma_f32 v[4:5], v[6:7], v[4:5], v[8:9] op_sel_hi:[0,1,1]
	global_store_dwordx2 v[2:3], v[4:5], off
.LBB0_89:                               ;   in Loop: Header=BB0_12 Depth=1
	s_or_b64 exec, exec, s[12:13]
	s_barrier
	s_branch .LBB0_11
.LBB0_90:                               ;   in Loop: Header=BB0_12 Depth=1
	s_lshl_b32 s58, s58, 3
	v_add_u32_e32 v2, s58, v102
	v_cmp_le_i32_e64 s[8:9], s28, v2
	v_cmp_le_i32_e64 s[12:13], s3, v45
	v_cmp_gt_i32_e32 vcc, s3, v45
	s_or_b64 s[8:9], s[8:9], s[12:13]
	s_and_saveexec_b64 s[12:13], s[8:9]
	s_xor_b64 s[8:9], exec, s[12:13]
; %bb.91:                               ;   in Loop: Header=BB0_12 Depth=1
	v_add_u32_e32 v2, v98, v25
	ds_write_b32 v2, v23
                                        ; implicit-def: $vgpr2
; %bb.92:                               ;   in Loop: Header=BB0_12 Depth=1
	s_andn2_saveexec_b64 s[8:9], s[8:9]
	s_cbranch_execz .LBB0_94
; %bb.93:                               ;   in Loop: Header=BB0_12 Depth=1
	v_mad_u64_u32 v[2:3], s[12:13], v2, s20, v[44:45]
	v_ashrrev_i32_e32 v3, 31, v2
	v_lshl_add_u64 v[2:3], v[2:3], 3, s[92:93]
	global_load_dwordx2 v[2:3], v[2:3], off
	s_waitcnt vmcnt(0)
	v_cvt_pk_f16_f32 v2, v2, v3
	v_pk_mul_f16 v2, v2, v99
	v_add_u32_e32 v3, v98, v25
	ds_write_b32 v3, v2
.LBB0_94:                               ;   in Loop: Header=BB0_12 Depth=1
	s_or_b64 exec, exec, s[8:9]
	v_add_u32_e32 v2, s58, v76
	v_cmp_le_i32_e64 s[8:9], s28, v2
	s_xor_b64 s[12:13], vcc, -1
	s_or_b64 s[8:9], s[8:9], s[12:13]
	s_and_saveexec_b64 s[14:15], s[8:9]
	s_xor_b64 s[8:9], exec, s[14:15]
; %bb.95:                               ;   in Loop: Header=BB0_12 Depth=1
	v_add_u32_e32 v2, v98, v77
	ds_write_b32 v2, v23
                                        ; implicit-def: $vgpr2
; %bb.96:                               ;   in Loop: Header=BB0_12 Depth=1
	s_andn2_saveexec_b64 s[8:9], s[8:9]
	s_cbranch_execz .LBB0_98
; %bb.97:                               ;   in Loop: Header=BB0_12 Depth=1
	v_mad_u64_u32 v[2:3], s[14:15], v2, s20, v[44:45]
	v_ashrrev_i32_e32 v3, 31, v2
	v_lshl_add_u64 v[2:3], v[2:3], 3, s[92:93]
	global_load_dwordx2 v[2:3], v[2:3], off
	s_waitcnt vmcnt(0)
	v_cvt_pk_f16_f32 v2, v2, v3
	v_pk_mul_f16 v2, v2, v99
	v_add_u32_e32 v3, v98, v77
	ds_write_b32 v3, v2
.LBB0_98:                               ;   in Loop: Header=BB0_12 Depth=1
	s_or_b64 exec, exec, s[8:9]
	v_add_u32_e32 v2, s58, v78
	v_cmp_le_i32_e32 vcc, s28, v2
	s_or_b64 s[8:9], vcc, s[12:13]
	s_and_saveexec_b64 s[14:15], s[8:9]
	s_xor_b64 s[8:9], exec, s[14:15]
; %bb.99:                               ;   in Loop: Header=BB0_12 Depth=1
	v_add_u32_e32 v2, v98, v77
	ds_write_b32 v2, v23 offset:1152
                                        ; implicit-def: $vgpr2
; %bb.100:                              ;   in Loop: Header=BB0_12 Depth=1
	s_andn2_saveexec_b64 s[8:9], s[8:9]
	s_cbranch_execz .LBB0_102
; %bb.101:                              ;   in Loop: Header=BB0_12 Depth=1
	v_mad_u64_u32 v[2:3], s[14:15], v2, s20, v[44:45]
	v_ashrrev_i32_e32 v3, 31, v2
	v_lshl_add_u64 v[2:3], v[2:3], 3, s[92:93]
	global_load_dwordx2 v[2:3], v[2:3], off
	s_waitcnt vmcnt(0)
	v_cvt_pk_f16_f32 v2, v2, v3
	v_pk_mul_f16 v2, v2, v99
	v_add_u32_e32 v3, v98, v77
	ds_write_b32 v3, v2 offset:1152
.LBB0_102:                              ;   in Loop: Header=BB0_12 Depth=1
	s_or_b64 exec, exec, s[8:9]
	v_add_u32_e32 v2, s58, v79
	v_cmp_le_i32_e32 vcc, s28, v2
	s_or_b64 s[8:9], vcc, s[12:13]
	s_and_saveexec_b64 s[12:13], s[8:9]
	s_xor_b64 s[8:9], exec, s[12:13]
; %bb.103:                              ;   in Loop: Header=BB0_12 Depth=1
	v_add_u32_e32 v2, v98, v77
	ds_write_b32 v2, v23 offset:2304
                                        ; implicit-def: $vgpr2
; %bb.104:                              ;   in Loop: Header=BB0_12 Depth=1
	s_andn2_saveexec_b64 s[8:9], s[8:9]
	s_cbranch_execz .LBB0_106
; %bb.105:                              ;   in Loop: Header=BB0_12 Depth=1
	v_mad_u64_u32 v[2:3], s[12:13], v2, s20, v[44:45]
	v_ashrrev_i32_e32 v3, 31, v2
	v_lshl_add_u64 v[2:3], v[2:3], 3, s[92:93]
	global_load_dwordx2 v[2:3], v[2:3], off
	s_waitcnt vmcnt(0)
	v_cvt_pk_f16_f32 v2, v2, v3
	v_pk_mul_f16 v2, v2, v99
	v_add_u32_e32 v3, v98, v77
	ds_write_b32 v3, v2 offset:2304
.LBB0_106:                              ;   in Loop: Header=BB0_12 Depth=1
	s_or_b64 exec, exec, s[8:9]
	s_waitcnt lgkmcnt(0)
	s_barrier
	ds_read2_b64 v[6:9], v21 offset1:4
	ds_read2_b64 v[2:5], v21 offset0:8 offset1:12
	s_cmp_gt_i32 s64, 1
	s_mov_b64 s[8:9], -1
	s_waitcnt lgkmcnt(0)
	s_barrier
                                        ; implicit-def: $vgpr114
                                        ; implicit-def: $vgpr115
                                        ; implicit-def: $vgpr117
                                        ; implicit-def: $vgpr116
	s_cbranch_scc1 .LBB0_108
; %bb.107:                              ;   in Loop: Header=BB0_12 Depth=1
	v_mbcnt_hi_u32_b32 v114, -1, v104
	v_and_b32_e32 v10, 64, v114
	v_add_u32_e32 v115, 64, v10
	v_xor_b32_e32 v117, 32, v114
	v_xor_b32_e32 v116, 16, v114
	s_mov_b64 s[8:9], 0
.LBB0_108:                              ;   in Loop: Header=BB0_12 Depth=1
	v_add_u32_e32 v10, s58, v64
	v_mul_hi_u32 v11, s18, v10
	v_add_u32_e32 v11, v10, v11
	v_lshrrev_b32_e32 v11, s19, v11
	v_mul_lo_u32 v11, v11, s28
	s_andn2_b64 vcc, exec, s[8:9]
	v_sub_u32_e32 v22, v10, v11
	s_cbranch_vccnz .LBB0_112
; %bb.109:                              ;   in Loop: Header=BB0_12 Depth=1
	v_mbcnt_hi_u32_b32 v114, -1, v104
	v_and_b32_e32 v10, 64, v114
	v_add_u32_e32 v115, 64, v10
	v_xor_b32_e32 v117, 32, v114
	s_add_i32 s59, s64, -1
	v_cmp_lt_i32_e32 vcc, v117, v115
	v_xor_b32_e32 v116, 16, v114
	s_add_u32 s4, s99, s4
	v_cndmask_b32_e32 v10, v114, v117, vcc
	v_cmp_lt_i32_e32 vcc, v116, v115
	v_lshlrev_b32_e32 v119, 2, v10
	v_readlane_b32 s8, v158, 26
	v_cndmask_b32_e32 v10, v114, v116, vcc
	s_addc_u32 s5, s72, s5
	v_lshlrev_b32_e32 v120, 2, v10
	v_mov_b64_e32 v[10:11], s[90:91]
	v_readlane_b32 s9, v158, 27
	v_lshl_add_u64 v[56:57], v[46:47], 0, s[4:5]
	v_lshl_add_u64 v[58:59], v[48:49], 0, s[4:5]
	s_add_u32 s4, s11, s98
	v_mad_i64_i32 v[10:11], s[8:9], s8, v22, v[10:11]
	s_addc_u32 s5, s10, s34
	v_lshl_add_u64 v[54:55], v[34:35], 0, v[10:11]
	v_lshl_add_u64 v[60:61], v[50:51], 0, s[4:5]
	;; [unrolled: 1-line block ×3, first 2 shown]
	v_mov_b32_e32 v111, 0
	v_mov_b32_e32 v118, 0xfeffffff
	;; [unrolled: 1-line block ×3, first 2 shown]
	s_mov_b32 s4, s59
	v_mov_b32_e32 v113, 0
	v_mov_b32_e32 v112, 0
	;; [unrolled: 1-line block ×7, first 2 shown]
.LBB0_110:                              ;   Parent Loop BB0_12 Depth=1
                                        ; =>  This Inner Loop Header: Depth=2
	v_lshl_add_u64 v[10:11], v[60:61], 0, v[36:37]
	v_lshl_add_u64 v[12:13], v[62:63], 0, v[36:37]
	v_mov_b32_e32 v123, v118
	global_load_dword v118, v[54:55], off
	global_load_dwordx4 v[14:17], v[10:11], off
	s_nop 0
	global_load_dwordx4 v[10:13], v[12:13], off
	v_mov_b32_e32 v122, v121
	v_add_u32_e32 v121, v69, v65
	v_add_u32_e32 v136, 0x1000, v121
	;; [unrolled: 1-line block ×3, first 2 shown]
	v_lshl_add_u64 v[140:141], v[56:57], 0, v[36:37]
	v_lshl_add_u64 v[142:143], v[58:59], 0, v[36:37]
	s_mov_b64 s[8:9], 0x80
	v_lshl_add_u64 v[54:55], v[54:55], 0, s[8:9]
	s_add_i32 s4, s4, -1
	v_lshl_add_u64 v[56:57], v[56:57], 0, s[80:81]
	v_lshl_add_u64 v[58:59], v[58:59], 0, s[80:81]
	v_lshl_add_u64 v[60:61], v[60:61], 0, s[82:83]
	v_lshl_add_u64 v[62:63], v[62:63], 0, s[82:83]
	s_cmp_lg_u32 s4, 0
	s_waitcnt vmcnt(2)
	ds_write_b32 v66, v118 offset:9216
	s_waitcnt vmcnt(1)
	ds_write_b128 v67, v[14:17]
	s_waitcnt vmcnt(0)
	ds_write_b128 v100, v[10:13]
	s_waitcnt lgkmcnt(0)
	s_barrier
	ds_read2_b64 v[10:13], v121 offset1:4
	ds_read2_b64 v[124:127], v136 offset0:64 offset1:68
	s_waitcnt lgkmcnt(1)
	v_mfma_f32_16x16x16_f16 v[14:17], v[10:11], v[6:7], 0
	ds_read2_b64 v[132:135], v121 offset0:8 offset1:12
	ds_read2_b64 v[136:139], v136 offset0:72 offset1:76
	s_waitcnt lgkmcnt(0)
	s_barrier
	v_mfma_f32_16x16x16_f16 v[128:131], v[124:125], v[6:7], 0
	ds_read2_b32 v[144:145], v144 offset1:1
	ds_read_b32 v118, v71 offset:9216
	ds_read_b32 v121, v72 offset:9216
	v_mfma_f32_16x16x16_f16 v[14:17], v[12:13], v[8:9], v[14:17]
	global_load_dwordx4 v[10:13], v[140:141], off
	s_waitcnt lgkmcnt(1)
	v_cvt_f32_f16_e32 v140, v118
	v_mfma_f32_16x16x16_f16 v[124:127], v[126:127], v[8:9], v[128:131]
	v_cvt_f32_f16_sdwa v118, v118 dst_sel:DWORD dst_unused:UNUSED_PAD src0_sel:WORD_1
	v_mfma_f32_16x16x16_f16 v[128:131], v[132:133], v[2:3], v[14:17]
	v_cvt_f32_f16_e32 v132, v144
	v_cvt_f32_f16_sdwa v133, v144 dst_sel:DWORD dst_unused:UNUSED_PAD src0_sel:WORD_1
	s_nop 0
	global_load_dwordx4 v[14:17], v[142:143], off
	v_mfma_f32_16x16x16_f16 v[124:127], v[136:137], v[2:3], v[124:127]
	v_cvt_f32_f16_e32 v136, v145
	v_cvt_f32_f16_sdwa v137, v145 dst_sel:DWORD dst_unused:UNUSED_PAD src0_sel:WORD_1
	s_waitcnt vmcnt(1)
	ds_write_b128 v67, v[10:13]
	s_waitcnt vmcnt(0)
	ds_write_b128 v100, v[14:17]
	v_mfma_f32_16x16x16_f16 v[128:131], v[134:135], v[4:5], v[128:131]
	s_waitcnt lgkmcnt(2)
	v_cvt_f32_f16_e32 v134, v121
	v_cvt_f32_f16_sdwa v121, v121 dst_sel:DWORD dst_unused:UNUSED_PAD src0_sel:WORD_1
	s_waitcnt lgkmcnt(0)
	v_mfma_f32_16x16x16_f16 v[124:127], v[138:139], v[4:5], v[124:127]
	s_barrier
	s_nop 1
	v_add_f32_e32 v128, v128, v132
	v_add_f32_e32 v129, v129, v133
	;; [unrolled: 1-line block ×4, first 2 shown]
	s_nop 0
	v_add_f32_e32 v125, v125, v118
	v_add_f32_e32 v121, v127, v121
	v_add_f32_e32 v118, 0x40051340, v128
	v_add_f32_e32 v127, 0x40051340, v129
	v_add_f32_e32 v124, v124, v140
	v_add_f32_e32 v132, 0x40051340, v130
	v_add_f32_e32 v133, 0x40051340, v131
	v_max3_f32 v118, v123, v118, v127
	v_add_f32_e32 v126, v126, v134
	v_add_f32_e32 v134, 0x40051340, v124
	;; [unrolled: 1-line block ×3, first 2 shown]
	v_max3_f32 v118, v118, v132, v133
	v_add_f32_e32 v136, 0x40051340, v126
	v_add_f32_e32 v137, 0x40051340, v121
	v_max3_f32 v118, v118, v134, v135
	v_max3_f32 v118, v118, v136, v137
	ds_bpermute_b32 v127, v119, v118
	s_waitcnt lgkmcnt(0)
	v_max_f32_e32 v127, v127, v127
	v_max_f32_e32 v118, v118, v127
	ds_bpermute_b32 v127, v120, v118
	s_waitcnt lgkmcnt(0)
	v_max_f32_e32 v127, v127, v127
	v_max_f32_e32 v118, v118, v127
	v_sub_f32_e32 v127, v128, v118
	v_sub_f32_e32 v128, v129, v118
	;; [unrolled: 1-line block ×9, first 2 shown]
	v_mul_f32_e32 v131, 0x3fb8aa3b, v127
	v_mul_f32_e32 v132, 0x3fb8aa3b, v128
	v_mul_f32_e32 v133, 0x3fb8aa3b, v129
	v_mul_f32_e32 v134, 0x3fb8aa3b, v130
	v_mul_f32_e32 v135, 0x3fb8aa3b, v124
	v_mul_f32_e32 v136, 0x3fb8aa3b, v125
	v_mul_f32_e32 v137, 0x3fb8aa3b, v126
	v_mul_f32_e32 v138, 0x3fb8aa3b, v121
	v_mul_f32_e32 v139, 0x3fb8aa3b, v123
	v_fma_f32 v140, v127, s35, -v131
	v_rndne_f32_e32 v141, v131
	v_fma_f32 v142, v128, s35, -v132
	v_rndne_f32_e32 v143, v132
	;; [unrolled: 2-line block ×9, first 2 shown]
	v_fmac_f32_e32 v140, 0x32a5705f, v127
	v_sub_f32_e32 v131, v131, v141
	v_fmac_f32_e32 v142, 0x32a5705f, v128
	v_sub_f32_e32 v132, v132, v143
	v_fmac_f32_e32 v144, 0x32a5705f, v129
	v_sub_f32_e32 v133, v133, v145
	v_fmac_f32_e32 v146, 0x32a5705f, v130
	v_sub_f32_e32 v134, v134, v147
	v_fmac_f32_e32 v148, 0x32a5705f, v124
	v_sub_f32_e32 v135, v135, v149
	v_fmac_f32_e32 v150, 0x32a5705f, v125
	v_sub_f32_e32 v136, v136, v151
	v_fmac_f32_e32 v152, 0x32a5705f, v126
	v_sub_f32_e32 v137, v137, v153
	v_fmac_f32_e32 v154, 0x32a5705f, v121
	v_sub_f32_e32 v138, v138, v155
	v_fmac_f32_e32 v156, 0x32a5705f, v123
	v_sub_f32_e32 v139, v139, v157
	v_add_f32_e32 v131, v131, v140
	v_add_f32_e32 v132, v132, v142
	;; [unrolled: 1-line block ×9, first 2 shown]
	v_cvt_i32_f32_e32 v141, v141
	v_cvt_i32_f32_e32 v143, v143
	;; [unrolled: 1-line block ×9, first 2 shown]
	v_exp_f32_e32 v131, v131
	v_exp_f32_e32 v132, v132
	;; [unrolled: 1-line block ×9, first 2 shown]
	v_ldexp_f32 v133, v133, v145
	v_cmp_ngt_f32_e32 vcc, s77, v129
	v_ldexp_f32 v134, v134, v147
	v_cmp_ngt_f32_e64 s[8:9], s77, v130
	v_ldexp_f32 v135, v135, v149
	v_cmp_ngt_f32_e64 s[12:13], s77, v124
	;; [unrolled: 2-line block ×8, first 2 shown]
	s_nop 1
	v_cndmask_b32_e64 v132, 0, v132, s[24:25]
	v_cmp_nlt_f32_e64 s[24:25], s54, v128
	v_cndmask_b32_e32 v128, 0, v133, vcc
	v_cmp_nlt_f32_e32 vcc, s54, v129
	v_cndmask_b32_e64 v129, 0, v134, s[8:9]
	v_cmp_nlt_f32_e64 s[8:9], s54, v130
	v_cndmask_b32_e64 v130, 0, v135, s[12:13]
	v_cmp_nlt_f32_e64 s[12:13], s54, v124
	;; [unrolled: 2-line block ×7, first 2 shown]
	v_cndmask_b32_e64 v121, v106, v121, s[22:23]
	v_cndmask_b32_e32 v128, v106, v128, vcc
	v_cndmask_b32_e64 v127, v106, v127, s[20:21]
	v_cmp_le_f32_e64 s[20:21], s6, v123
	v_cndmask_b32_e64 v123, v106, v132, s[24:25]
	v_add_f32_e32 v131, v121, v123
	v_cndmask_b32_e64 v127, 0, v127, s[20:21]
	v_cndmask_b32_e64 v129, v106, v129, s[8:9]
	v_cvt_pk_f16_f32 v134, v121, v123
	v_add_f32_e32 v121, v128, v131
	v_cvt_f16_f32_e32 v123, v127
	v_cndmask_b32_e64 v130, v106, v130, s[12:13]
	v_add_f32_e32 v121, v129, v121
	v_cndmask_b32_e64 v124, v106, v124, s[14:15]
	v_add_f32_e32 v121, v130, v121
	;; [unrolled: 2-line block ×4, first 2 shown]
	v_mul_u32_u24_e32 v123, 0x10001, v123
	v_add_f32_e32 v121, v126, v121
	v_pk_mul_f16 v111, v111, v123
	v_pk_mul_f16 v113, v113, v123
	;; [unrolled: 1-line block ×5, first 2 shown]
	v_cvt_pk_f16_f32 v135, v128, v129
	v_cvt_pk_f16_f32 v137, v125, v126
	;; [unrolled: 1-line block ×3, first 2 shown]
	v_pk_mul_f16 v125, v110, v123
	v_pk_mul_f16 v128, v109, v123
	;; [unrolled: 1-line block ×3, first 2 shown]
	v_fmac_f32_e32 v121, v122, v127
	v_cvt_f32_f16_e32 v108, v111
	v_cvt_f32_f16_sdwa v109, v111 dst_sel:DWORD dst_unused:UNUSED_PAD src0_sel:WORD_1
	v_cvt_f32_f16_e32 v110, v113
	v_cvt_f32_f16_sdwa v111, v113 dst_sel:DWORD dst_unused:UNUSED_PAD src0_sel:WORD_1
	;; [unrolled: 2-line block ×5, first 2 shown]
	ds_read_u16 v10, v73 offset:144
	ds_read_u16 v12, v73
	ds_read_u16 v13, v73 offset:32
	ds_read_u16 v14, v73 offset:176
	;; [unrolled: 1-line block ×6, first 2 shown]
	ds_read_u16 v11, v74
	ds_read_u16 v15, v74 offset:32
	ds_read_u16 v112, v74 offset:4608
	;; [unrolled: 1-line block ×7, first 2 shown]
	ds_read_u16 v113, v75
	ds_read_u16 v139, v75 offset:32
	ds_read_u16 v144, v75 offset:4608
	;; [unrolled: 1-line block ×15, first 2 shown]
	s_waitcnt lgkmcnt(14)
	v_perm_b32 v11, v113, v11, s7
	v_perm_b32 v10, v10, v12, s7
	;; [unrolled: 1-line block ×4, first 2 shown]
	v_cvt_f32_f16_e32 v124, v125
	v_cvt_f32_f16_sdwa v125, v125 dst_sel:DWORD dst_unused:UNUSED_PAD src0_sel:WORD_1
	v_mfma_f32_16x16x16_f16 v[10:13], v[10:11], v[134:135], v[108:111]
	v_cvt_f32_f16_e32 v126, v128
	v_cvt_f32_f16_sdwa v127, v128 dst_sel:DWORD dst_unused:UNUSED_PAD src0_sel:WORD_1
	v_cvt_f32_f16_e32 v128, v129
	s_waitcnt lgkmcnt(11)
	v_perm_b32 v109, v146, v140, s7
	v_perm_b32 v108, v17, v16, s7
	v_mfma_f32_16x16x16_f16 v[14:17], v[14:15], v[134:135], v[122:125]
	v_cvt_f32_f16_sdwa v129, v129 dst_sel:DWORD dst_unused:UNUSED_PAD src0_sel:WORD_1
	v_cvt_f16_f32_e32 v10, v10
	v_cvt_f16_f32_e32 v11, v11
	s_waitcnt lgkmcnt(8)
	v_perm_b32 v123, v149, v143, s7
	v_perm_b32 v122, v45, v107, s7
	v_mfma_f32_16x16x16_f16 v[108:111], v[108:109], v[134:135], v[126:129]
	v_cvt_f16_f32_e32 v12, v12
	v_cvt_f16_f32_e32 v13, v13
	;; [unrolled: 1-line block ×3, first 2 shown]
	v_mfma_f32_16x16x16_f16 v[122:125], v[122:123], v[134:135], v[130:133]
	v_cvt_f16_f32_e32 v15, v15
	v_cvt_f16_f32_e32 v16, v16
	;; [unrolled: 1-line block ×3, first 2 shown]
	s_nop 0
	v_cvt_f16_f32_e32 v45, v108
	v_cvt_f16_f32_e32 v107, v109
	;; [unrolled: 1-line block ×8, first 2 shown]
	v_perm_b32 v113, v144, v112, s7
	s_waitcnt lgkmcnt(6)
	v_perm_b32 v112, v151, v150, s7
	v_perm_b32 v139, v145, v138, s7
	s_waitcnt lgkmcnt(4)
	v_perm_b32 v138, v153, v152, s7
	;; [unrolled: 3-line block ×4, first 2 shown]
	v_cvt_f32_f16_e32 v10, v10
	v_cvt_f32_f16_e32 v11, v11
	;; [unrolled: 1-line block ×16, first 2 shown]
	v_mfma_f32_16x16x16_f16 v[10:13], v[112:113], v[136:137], v[10:13]
	s_barrier
	v_mfma_f32_16x16x16_f16 v[14:17], v[138:139], v[136:137], v[14:17]
	v_mfma_f32_16x16x16_f16 v[126:129], v[140:141], v[136:137], v[108:111]
	s_nop 4
	v_cvt_pk_f16_f32 v113, v12, v13
	s_nop 0
	v_cvt_pk_f16_f32 v112, v14, v15
	v_mfma_f32_16x16x16_f16 v[122:125], v[142:143], v[136:137], v[122:125]
	v_cvt_pk_f16_f32 v111, v10, v11
	v_cvt_pk_f16_f32 v110, v16, v17
	;; [unrolled: 1-line block ×4, first 2 shown]
	s_nop 3
	v_cvt_pk_f16_f32 v107, v122, v123
	v_cvt_pk_f16_f32 v45, v124, v125
	s_cbranch_scc1 .LBB0_110
; %bb.111:                              ;   in Loop: Header=BB0_12 Depth=1
	s_lshl_b32 s72, s59, 6
	v_readlane_b32 s18, v158, 29
	v_readlane_b32 s22, v158, 31
	s_mov_b64 s[8:9], s[72:73]
	v_readlane_b32 s19, v158, 30
	v_readlane_b32 s23, v158, 32
	;; [unrolled: 1-line block ×4, first 2 shown]
	s_movk_i32 s25, 0x47
	s_branch .LBB0_113
.LBB0_112:                              ;   in Loop: Header=BB0_12 Depth=1
	v_mov_b32_e32 v118, 0xfeffffff
	v_mov_b32_e32 v121, 0
	s_mov_b64 s[8:9], 0
	v_mov_b32_e32 v45, 0
	v_mov_b32_e32 v107, 0
	;; [unrolled: 1-line block ×8, first 2 shown]
.LBB0_113:                              ;   in Loop: Header=BB0_12 Depth=1
	v_mad_i64_i32 v[10:11], s[4:5], v22, s94, 0
	s_lshl_b64 s[4:5], s[8:9], 1
	s_add_u32 s4, s88, s4
	s_addc_u32 s5, s89, s5
	v_lshl_add_u64 v[10:11], v[10:11], 1, s[4:5]
	s_mul_i32 s4, s8, s27
	s_mul_hi_u32 s5, s8, s26
	s_add_i32 s5, s5, s4
	s_mul_i32 s4, s8, s26
	s_lshl_b64 s[4:5], s[4:5], 2
	v_lshlrev_b32_e32 v22, 1, v20
	s_add_u32 s4, s75, s4
	v_lshl_add_u64 v[10:11], v[10:11], 0, v[22:23]
	s_addc_u32 s5, s65, s5
	global_load_dword v54, v[10:11], off
	v_lshl_add_u64 v[10:11], v[26:27], 2, s[4:5]
	v_lshlrev_b32_e32 v22, 2, v24
	v_lshl_add_u64 v[12:13], v[28:29], 2, s[4:5]
	v_lshl_add_u64 v[10:11], v[10:11], 0, v[22:23]
	;; [unrolled: 1-line block ×3, first 2 shown]
	global_load_dwordx4 v[10:13], v[10:11], off
	s_nop 0
	global_load_dwordx4 v[14:17], v[14:15], off
	v_add_u32_e32 v62, v69, v65
	v_add_u32_e32 v63, 0x1000, v62
	;; [unrolled: 1-line block ×3, first 2 shown]
	v_cmp_lt_i32_e32 vcc, v117, v115
	s_mul_i32 s4, s8, s31
	s_mul_hi_u32 s5, s8, s30
	s_add_i32 s5, s5, s4
	s_mul_i32 s4, s8, s30
	s_lshl_b64 s[4:5], s[4:5], 2
	s_add_u32 s4, s2, s4
	s_addc_u32 s5, s74, s5
	s_cmp_lg_u64 s[86:87], 0
	s_waitcnt vmcnt(2)
	ds_write_b32 v66, v54 offset:9216
	s_waitcnt vmcnt(1)
	ds_write_b128 v67, v[10:13]
	s_waitcnt vmcnt(0)
	ds_write_b128 v100, v[14:17]
	s_waitcnt lgkmcnt(0)
	s_barrier
	ds_read2_b64 v[10:13], v62 offset1:4
	ds_read2_b64 v[54:57], v63 offset0:64 offset1:68
	ds_read2_b64 v[122:125], v62 offset0:8 offset1:12
	s_waitcnt lgkmcnt(2)
	v_mfma_f32_16x16x16_f16 v[14:17], v[10:11], v[6:7], 0
	ds_read2_b64 v[126:129], v63 offset0:72 offset1:76
	s_waitcnt lgkmcnt(0)
	s_barrier
	v_mfma_f32_16x16x16_f16 v[58:61], v[54:55], v[6:7], 0
	v_cndmask_b32_e32 v54, v114, v117, vcc
	v_cmp_lt_i32_e32 vcc, v116, v115
	v_mfma_f32_16x16x16_f16 v[10:13], v[12:13], v[8:9], v[14:17]
	v_mfma_f32_16x16x16_f16 v[6:9], v[56:57], v[8:9], v[58:61]
	s_nop 1
	ds_read2_b32 v[16:17], v119 offset1:1
	v_lshlrev_b32_e32 v15, 2, v54
	ds_read_b32 v14, v71 offset:9216
	ds_read_b32 v54, v72 offset:9216
	v_mfma_f32_16x16x16_f16 v[10:13], v[122:123], v[2:3], v[10:13]
	s_waitcnt lgkmcnt(2)
	v_cvt_f32_f16_e32 v55, v16
	v_cvt_f32_f16_sdwa v16, v16 dst_sel:DWORD dst_unused:UNUSED_PAD src0_sel:WORD_1
	v_mfma_f32_16x16x16_f16 v[6:9], v[126:127], v[2:3], v[6:9]
	v_cvt_f32_f16_e32 v56, v17
	v_cvt_f32_f16_sdwa v17, v17 dst_sel:DWORD dst_unused:UNUSED_PAD src0_sel:WORD_1
	s_waitcnt lgkmcnt(1)
	v_cvt_f32_f16_e32 v57, v14
	v_mfma_f32_16x16x16_f16 v[10:13], v[124:125], v[4:5], v[10:13]
	v_cvt_f32_f16_sdwa v14, v14 dst_sel:DWORD dst_unused:UNUSED_PAD src0_sel:WORD_1
	s_waitcnt lgkmcnt(0)
	v_cvt_f32_f16_e32 v58, v54
	v_cvt_f32_f16_sdwa v54, v54 dst_sel:DWORD dst_unused:UNUSED_PAD src0_sel:WORD_1
	v_mfma_f32_16x16x16_f16 v[2:5], v[128:129], v[4:5], v[6:9]
	s_nop 2
	v_add_f32_e32 v6, v10, v55
	v_add_f32_e32 v7, v11, v16
	;; [unrolled: 1-line block ×4, first 2 shown]
	s_nop 0
	v_add_f32_e32 v10, v3, v14
	v_add_f32_e32 v11, v4, v58
	;; [unrolled: 1-line block ×8, first 2 shown]
	v_max3_f32 v3, v118, v3, v4
	v_add_f32_e32 v14, 0x40051340, v2
	v_add_f32_e32 v16, 0x40051340, v10
	v_max3_f32 v3, v3, v5, v13
	v_add_f32_e32 v17, 0x40051340, v11
	v_add_f32_e32 v54, 0x40051340, v12
	v_max3_f32 v3, v3, v14, v16
	v_max3_f32 v3, v3, v17, v54
	ds_bpermute_b32 v4, v15, v3
	v_cndmask_b32_e32 v5, v114, v116, vcc
	v_lshlrev_b32_e32 v16, 2, v5
	s_waitcnt lgkmcnt(0)
	v_max_f32_e32 v4, v4, v4
	v_max_f32_e32 v3, v3, v4
	ds_bpermute_b32 v4, v16, v3
	s_waitcnt lgkmcnt(0)
	v_max_f32_e32 v4, v4, v4
	v_max_f32_e32 v14, v3, v4
	v_sub_f32_e32 v3, v6, v14
	v_sub_f32_e32 v4, v7, v14
	;; [unrolled: 1-line block ×3, first 2 shown]
	v_mul_f32_e32 v2, 0x3fb8aa3b, v3
	v_sub_f32_e32 v5, v8, v14
	v_sub_f32_e32 v13, v9, v14
	v_mul_f32_e32 v6, 0x3fb8aa3b, v4
	v_fma_f32 v9, v3, s35, -v2
	v_rndne_f32_e32 v54, v2
	v_mul_f32_e32 v7, 0x3fb8aa3b, v5
	v_fma_f32 v55, v4, s35, -v6
	v_rndne_f32_e32 v56, v6
	v_fmac_f32_e32 v9, 0x32a5705f, v3
	v_sub_f32_e32 v2, v2, v54
	v_mul_f32_e32 v8, 0x3fb8aa3b, v13
	v_fma_f32 v57, v5, s35, -v7
	v_rndne_f32_e32 v58, v7
	v_fmac_f32_e32 v55, 0x32a5705f, v4
	v_sub_f32_e32 v6, v6, v56
	v_add_f32_e32 v2, v2, v9
	v_fma_f32 v59, v13, s35, -v8
	v_rndne_f32_e32 v60, v8
	v_cvt_i32_f32_e32 v54, v54
	v_fmac_f32_e32 v57, 0x32a5705f, v5
	v_sub_f32_e32 v7, v7, v58
	v_add_f32_e32 v6, v6, v55
	v_exp_f32_e32 v2, v2
	v_cvt_i32_f32_e32 v56, v56
	v_fmac_f32_e32 v59, 0x32a5705f, v13
	v_sub_f32_e32 v8, v8, v60
	v_add_f32_e32 v7, v7, v57
	v_exp_f32_e32 v6, v6
	v_cvt_i32_f32_e32 v58, v58
	v_add_f32_e32 v8, v8, v59
	v_exp_f32_e32 v7, v7
	v_cvt_i32_f32_e32 v60, v60
	v_exp_f32_e32 v8, v8
	v_ldexp_f32 v2, v2, v54
	v_cmp_ngt_f32_e32 vcc, s77, v3
	v_ldexp_f32 v6, v6, v56
	v_ldexp_f32 v7, v7, v58
	v_cndmask_b32_e32 v2, 0, v2, vcc
	v_cmp_ngt_f32_e32 vcc, s77, v4
	v_ldexp_f32 v8, v8, v60
	v_sub_f32_e32 v10, v10, v14
	v_cndmask_b32_e32 v6, 0, v6, vcc
	v_cmp_ngt_f32_e32 vcc, s77, v5
	v_sub_f32_e32 v11, v11, v14
	v_sub_f32_e32 v12, v12, v14
	v_cndmask_b32_e32 v7, 0, v7, vcc
	v_cmp_ngt_f32_e32 vcc, s77, v13
	s_nop 1
	v_cndmask_b32_e32 v54, 0, v8, vcc
	v_cmp_nlt_f32_e32 vcc, s54, v3
	s_nop 1
	v_cndmask_b32_e32 v56, v106, v2, vcc
	v_cmp_nlt_f32_e32 vcc, s54, v4
	s_nop 1
	v_cndmask_b32_e32 v57, v106, v6, vcc
	v_cmp_nlt_f32_e32 vcc, s54, v5
	v_add_f32_e32 v2, v56, v57
	v_lshl_add_u64 v[4:5], v[32:33], 2, s[4:5]
	v_cndmask_b32_e32 v55, v106, v7, vcc
	v_add_f32_e32 v58, v55, v2
	v_mul_f32_e32 v2, 0x3fb8aa3b, v17
	v_fma_f32 v3, v17, s35, -v2
	v_rndne_f32_e32 v59, v2
	v_fmac_f32_e32 v3, 0x32a5705f, v17
	v_sub_f32_e32 v2, v2, v59
	v_add_f32_e32 v60, v2, v3
	v_lshl_add_u64 v[2:3], v[30:31], 2, s[4:5]
	v_lshl_add_u64 v[2:3], v[2:3], 0, v[22:23]
	;; [unrolled: 1-line block ×3, first 2 shown]
	global_load_dwordx4 v[2:5], v[2:3], off
	s_nop 0
	global_load_dwordx4 v[6:9], v[6:7], off
	v_exp_f32_e32 v22, v60
	v_cvt_i32_f32_e32 v59, v59
	v_cmp_nlt_f32_e32 vcc, s54, v13
	s_waitcnt vmcnt(1)
	ds_write_b128 v67, v[2:5]
	s_waitcnt vmcnt(0)
	ds_write_b128 v100, v[6:9]
	v_cndmask_b32_e32 v13, v106, v54, vcc
	v_add_f32_e32 v54, v13, v58
	v_mul_f32_e32 v58, 0x3fb8aa3b, v10
	v_ldexp_f32 v22, v22, v59
	v_fma_f32 v59, v10, s35, -v58
	v_rndne_f32_e32 v60, v58
	v_fmac_f32_e32 v59, 0x32a5705f, v10
	v_sub_f32_e32 v58, v58, v60
	v_add_f32_e32 v58, v58, v59
	v_exp_f32_e32 v58, v58
	v_cvt_i32_f32_e32 v59, v60
	v_cmp_ngt_f32_e32 vcc, s77, v17
	s_waitcnt lgkmcnt(0)
	s_barrier
	v_cndmask_b32_e32 v22, 0, v22, vcc
	v_cmp_nlt_f32_e32 vcc, s54, v17
	v_cvt_pk_f16_f32 v55, v55, v13
	s_nop 0
	v_cndmask_b32_e32 v17, v106, v22, vcc
	v_add_f32_e32 v22, v17, v54
	v_ldexp_f32 v54, v58, v59
	v_mul_f32_e32 v58, 0x3fb8aa3b, v11
	v_fma_f32 v59, v11, s35, -v58
	v_rndne_f32_e32 v60, v58
	v_fmac_f32_e32 v59, 0x32a5705f, v11
	v_sub_f32_e32 v58, v58, v60
	v_add_f32_e32 v58, v58, v59
	v_exp_f32_e32 v58, v58
	v_cvt_i32_f32_e32 v59, v60
	v_cmp_ngt_f32_e32 vcc, s77, v10
	s_cselect_b64 s[4:5], -1, 0
	s_and_b64 s[4:5], s[0:1], s[4:5]
	v_cndmask_b32_e32 v54, 0, v54, vcc
	v_cmp_nlt_f32_e32 vcc, s54, v10
	s_nop 1
	v_cndmask_b32_e32 v10, v106, v54, vcc
	v_ldexp_f32 v54, v58, v59
	v_cmp_ngt_f32_e32 vcc, s77, v11
	v_add_f32_e32 v22, v10, v22
	s_nop 0
	v_cndmask_b32_e32 v54, 0, v54, vcc
	v_cmp_nlt_f32_e32 vcc, s54, v11
	s_nop 1
	v_cndmask_b32_e32 v11, v106, v54, vcc
	v_mul_f32_e32 v54, 0x3fb8aa3b, v12
	v_fma_f32 v58, v12, s35, -v54
	v_rndne_f32_e32 v59, v54
	v_fmac_f32_e32 v58, 0x32a5705f, v12
	v_sub_f32_e32 v54, v54, v59
	v_add_f32_e32 v54, v54, v58
	v_cvt_i32_f32_e32 v58, v59
	v_sub_f32_e32 v59, v118, v14
	v_mul_f32_e32 v60, 0x3fb8aa3b, v59
	v_fma_f32 v61, v59, s35, -v60
	v_rndne_f32_e32 v62, v60
	v_fmac_f32_e32 v61, 0x32a5705f, v59
	v_sub_f32_e32 v60, v60, v62
	v_exp_f32_e32 v54, v54
	v_add_f32_e32 v60, v60, v61
	v_exp_f32_e32 v60, v60
	v_cvt_i32_f32_e32 v61, v62
	v_ldexp_f32 v54, v54, v58
	v_cmp_ngt_f32_e32 vcc, s77, v12
	v_add_f32_e32 v22, v11, v22
	v_ldexp_f32 v58, v60, v61
	v_cndmask_b32_e32 v54, 0, v54, vcc
	v_cmp_ngt_f32_e32 vcc, s77, v59
	s_nop 1
	v_cndmask_b32_e32 v58, 0, v58, vcc
	v_cmp_nlt_f32_e32 vcc, s54, v59
	s_nop 1
	v_cndmask_b32_e32 v58, v106, v58, vcc
	v_cmp_le_f32_e32 vcc, s6, v59
	s_nop 1
	v_cndmask_b32_e32 v58, 0, v58, vcc
	v_cvt_f16_f32_e32 v59, v58
	v_cmp_nlt_f32_e32 vcc, s54, v12
	s_nop 1
	v_cndmask_b32_e32 v12, v106, v54, vcc
	v_add_f32_e32 v60, v12, v22
	v_mul_u32_u24_e32 v22, 0x10001, v59
	v_fmac_f32_e32 v60, v121, v58
	v_pk_mul_f16 v54, v111, v22
	v_pk_mul_f16 v58, v113, v22
	;; [unrolled: 1-line block ×3, first 2 shown]
	ds_read_u16 v5, v74
	ds_read_u16 v61, v74 offset:32
	ds_read_u16 v8, v74 offset:4608
	;; [unrolled: 1-line block ×7, first 2 shown]
	ds_read_u16 v6, v75
	ds_read_u16 v114, v75 offset:32
	ds_read_u16 v9, v75 offset:4608
	;; [unrolled: 1-line block ×7, first 2 shown]
	s_waitcnt lgkmcnt(7)
	v_perm_b32 v7, v6, v5, s7
	ds_read_u16 v5, v73 offset:144
	ds_read_u16 v6, v73
	ds_read_u16 v120, v73 offset:32
	ds_read_u16 v121, v73 offset:176
	;; [unrolled: 1-line block ×6, first 2 shown]
	s_waitcnt lgkmcnt(6)
	v_perm_b32 v6, v5, v6, s7
	v_cvt_f32_f16_e32 v2, v54
	v_cvt_f32_f16_sdwa v3, v54 dst_sel:DWORD dst_unused:UNUSED_PAD src0_sel:WORD_1
	v_cvt_f32_f16_e32 v4, v58
	v_cvt_f32_f16_sdwa v5, v58 dst_sel:DWORD dst_unused:UNUSED_PAD src0_sel:WORD_1
	v_cvt_pk_f16_f32 v54, v56, v57
	v_pk_mul_f16 v58, v110, v22
	v_cvt_pk_f16_f32 v57, v11, v12
	v_mfma_f32_16x16x16_f16 v[2:5], v[6:7], v[54:55], v[2:5]
	v_perm_b32 v7, v9, v8, s7
	ds_read_u16 v6, v73 offset:4608
	ds_read_u16 v8, v73 offset:4752
	;; [unrolled: 1-line block ×8, first 2 shown]
	s_waitcnt lgkmcnt(6)
	v_perm_b32 v6, v8, v6, s7
	v_cvt_f16_f32_e32 v2, v2
	v_cvt_f16_f32_e32 v3, v3
	;; [unrolled: 1-line block ×4, first 2 shown]
	v_cvt_f32_f16_e32 v2, v2
	v_cvt_f32_f16_e32 v3, v3
	;; [unrolled: 1-line block ×4, first 2 shown]
	v_cvt_pk_f16_f32 v56, v17, v10
	v_perm_b32 v11, v114, v61, s7
	v_perm_b32 v10, v121, v120, s7
	v_mfma_f32_16x16x16_f16 v[6:9], v[6:7], v[56:57], v[2:5]
	v_pk_mul_f16 v109, v109, v22
	v_pk_mul_f16 v17, v108, v22
	v_perm_b32 v12, v123, v122, s7
	v_cvt_f32_f16_e32 v2, v59
	v_cvt_f32_f16_sdwa v3, v59 dst_sel:DWORD dst_unused:UNUSED_PAD src0_sel:WORD_1
	v_cvt_f32_f16_e32 v4, v58
	v_cvt_f32_f16_sdwa v5, v58 dst_sel:DWORD dst_unused:UNUSED_PAD src0_sel:WORD_1
	s_nop 0
	v_cvt_f16_f32_e32 v59, v8
	v_cvt_f16_f32_e32 v61, v9
	v_mfma_f32_16x16x16_f16 v[2:5], v[10:11], v[54:55], v[2:5]
	v_perm_b32 v11, v115, v62, s7
	s_waitcnt lgkmcnt(4)
	v_perm_b32 v10, v110, v13, s7
	v_perm_b32 v13, v116, v63, s7
	v_pk_mul_f16 v58, v107, v22
	s_nop 2
	v_cvt_f16_f32_e32 v2, v2
	v_cvt_f16_f32_e32 v3, v3
	;; [unrolled: 1-line block ×4, first 2 shown]
	v_cvt_f32_f16_e32 v2, v2
	v_cvt_f32_f16_e32 v3, v3
	;; [unrolled: 1-line block ×4, first 2 shown]
	v_pk_mul_f16 v22, v45, v22
	v_cvt_f16_f32_e32 v45, v6
	v_mfma_f32_16x16x16_f16 v[8:11], v[10:11], v[56:57], v[2:5]
	v_cvt_f16_f32_e32 v62, v7
	s_waitcnt lgkmcnt(0)
	s_nop 0
	v_cvt_f32_f16_e32 v2, v109
	v_cvt_f32_f16_sdwa v3, v109 dst_sel:DWORD dst_unused:UNUSED_PAD src0_sel:WORD_1
	v_cvt_f32_f16_e32 v4, v17
	v_cvt_f32_f16_sdwa v5, v17 dst_sel:DWORD dst_unused:UNUSED_PAD src0_sel:WORD_1
	v_perm_b32 v17, v61, v59, s7
	v_cvt_f16_f32_e32 v107, v10
	v_mfma_f32_16x16x16_f16 v[2:5], v[12:13], v[54:55], v[2:5]
	v_perm_b32 v13, v117, v111, s7
	v_perm_b32 v12, v127, v126, s7
	v_cvt_f16_f32_e32 v108, v11
	v_cvt_f32_f16_e32 v10, v58
	s_nop 3
	v_cvt_f16_f32_e32 v2, v2
	v_cvt_f16_f32_e32 v3, v3
	v_cvt_f16_f32_e32 v4, v4
	v_cvt_f16_f32_e32 v5, v5
	v_cvt_f32_f16_e32 v2, v2
	v_cvt_f32_f16_e32 v3, v3
	;; [unrolled: 1-line block ×4, first 2 shown]
	v_cvt_f32_f16_sdwa v11, v58 dst_sel:DWORD dst_unused:UNUSED_PAD src0_sel:WORD_1
	v_perm_b32 v59, v119, v113, s7
	v_perm_b32 v58, v124, v125, s7
	v_mfma_f32_16x16x16_f16 v[2:5], v[12:13], v[56:57], v[2:5]
	v_cvt_f32_f16_e32 v12, v22
	v_cvt_f32_f16_sdwa v13, v22 dst_sel:DWORD dst_unused:UNUSED_PAD src0_sel:WORD_1
	v_cvt_f16_f32_e32 v61, v8
	v_cvt_f16_f32_e32 v63, v9
	v_mfma_f32_16x16x16_f16 v[10:13], v[58:59], v[54:55], v[10:13]
	s_nop 2
	v_cvt_f16_f32_e32 v4, v4
	v_cvt_f16_f32_e32 v5, v5
	v_perm_b32 v55, v118, v112, s7
	v_perm_b32 v54, v128, v129, s7
	s_nop 0
	v_cvt_f16_f32_e32 v10, v10
	v_cvt_f16_f32_e32 v11, v11
	;; [unrolled: 1-line block ×4, first 2 shown]
	v_cvt_f32_f16_e32 v10, v10
	v_cvt_f32_f16_e32 v11, v11
	;; [unrolled: 1-line block ×4, first 2 shown]
	v_perm_b32 v4, v5, v4, s7
	ds_bpermute_b32 v5, v15, v60
	v_mfma_f32_16x16x16_f16 v[10:13], v[54:55], v[56:57], v[10:13]
	v_cvt_f16_f32_e32 v58, v2
	v_cvt_f16_f32_e32 v59, v3
	s_waitcnt lgkmcnt(0)
	v_add_f32_e32 v15, v60, v5
	ds_bpermute_b32 v56, v16, v15
	s_nop 2
	v_cvt_f16_f32_e32 v54, v10
	v_cvt_f16_f32_e32 v12, v12
	;; [unrolled: 1-line block ×4, first 2 shown]
	v_perm_b32 v22, v108, v107, s7
	s_waitcnt lgkmcnt(0)
	v_add_f32_e32 v15, v15, v56
	v_perm_b32 v5, v13, v12, s7
	v_perm_b32 v12, v62, v45, s7
	;; [unrolled: 1-line block ×5, first 2 shown]
	s_barrier
	s_and_saveexec_b64 s[8:9], s[4:5]
	s_cbranch_execz .LBB0_115
; %bb.114:                              ;   in Loop: Header=BB0_12 Depth=1
	v_lshlrev_b32_e32 v12, 2, v40
	global_load_dword v12, v12, s[86:87]
	v_cvt_pk_f16_f32 v13, v6, v7
	v_max_f32_e32 v6, v14, v14
	v_cvt_pk_f16_f32 v8, v8, v9
	v_cvt_pk_f16_f32 v2, v2, v3
	;; [unrolled: 1-line block ×3, first 2 shown]
	s_waitcnt vmcnt(0)
	v_max_f32_e32 v7, v12, v12
	v_max_f32_e32 v6, v6, v7
	v_sub_f32_e32 v7, v14, v6
	v_sub_f32_e32 v9, v12, v6
	v_mul_f32_e32 v12, 0x3fb8aa3b, v7
	v_mul_f32_e32 v14, 0x3fb8aa3b, v9
	v_fma_f32 v45, v7, s35, -v12
	v_rndne_f32_e32 v54, v12
	v_fma_f32 v55, v9, s35, -v14
	v_rndne_f32_e32 v56, v14
	v_fmac_f32_e32 v45, 0x32a5705f, v7
	v_sub_f32_e32 v12, v12, v54
	v_fmac_f32_e32 v55, 0x32a5705f, v9
	v_sub_f32_e32 v14, v14, v56
	v_add_f32_e32 v12, v12, v45
	v_cvt_i32_f32_e32 v54, v54
	v_add_f32_e32 v14, v14, v55
	v_exp_f32_e32 v12, v12
	v_cvt_i32_f32_e32 v56, v56
	v_exp_f32_e32 v14, v14
	v_cmp_ngt_f32_e32 vcc, s77, v7
	v_ldexp_f32 v10, v12, v54
	v_ldexp_f32 v11, v14, v56
	v_cndmask_b32_e32 v10, 0, v10, vcc
	v_cmp_ngt_f32_e32 vcc, s77, v9
	s_nop 1
	v_cndmask_b32_e32 v11, 0, v11, vcc
	v_cmp_nlt_f32_e32 vcc, s54, v7
	s_nop 1
	v_cndmask_b32_e32 v10, v106, v10, vcc
	v_cmp_le_f32_e32 vcc, s6, v7
	s_nop 1
	v_cndmask_b32_e32 v10, 0, v10, vcc
	v_cvt_f16_f32_e32 v12, v10
	v_cmp_nlt_f32_e32 vcc, s54, v9
	v_mul_u32_u24_e32 v9, 0x10001, v12
	s_nop 0
	v_cndmask_b32_e32 v7, v106, v11, vcc
	v_fmac_f32_e32 v7, v15, v10
	v_pk_mul_f16 v12, v13, v9
	v_pk_mul_f16 v17, v17, v9
	;; [unrolled: 1-line block ×8, first 2 shown]
	v_mov_b64_e32 v[14:15], v[6:7]
.LBB0_115:                              ;   in Loop: Header=BB0_12 Depth=1
	s_or_b64 exec, exec, s[8:9]
	s_mov_b64 s[8:9], exec
	v_readlane_b32 s4, v158, 12
	v_readlane_b32 s5, v158, 13
	s_and_b64 s[4:5], s[8:9], s[4:5]
	s_mov_b64 exec, s[4:5]
; %bb.116:                              ;   in Loop: Header=BB0_12 Depth=1
	v_add_u32_e32 v2, 0, v80
	ds_write2_b32 v2, v14, v15 offset0:32 offset1:33
; %bb.117:                              ;   in Loop: Header=BB0_12 Depth=1
	s_or_b64 exec, exec, s[8:9]
	v_readlane_b32 s8, v158, 10
	v_readlane_b32 s9, v158, 11
	s_waitcnt lgkmcnt(0)
	s_barrier
	s_and_saveexec_b64 s[4:5], s[8:9]
	s_xor_b64 s[8:9], exec, s[4:5]
	s_cbranch_execz .LBB0_119
; %bb.118:                              ;   in Loop: Header=BB0_12 Depth=1
	s_barrier
                                        ; implicit-def: $vgpr16
.LBB0_119:                              ;   in Loop: Header=BB0_12 Depth=1
	s_andn2_saveexec_b64 s[8:9], s[8:9]
	s_cbranch_execz .LBB0_123
; %bb.120:                              ;   in Loop: Header=BB0_12 Depth=1
	v_add_u32_e32 v6, 0, v81
	ds_read_b64 v[2:3], v6 offset:128
	s_waitcnt lgkmcnt(0)
	s_barrier
	ds_bpermute_b32 v7, v16, v2
	v_max_f32_e32 v8, v2, v2
	s_waitcnt lgkmcnt(0)
	v_max_f32_e32 v7, v7, v7
	v_max_f32_e32 v7, v8, v7
	v_sub_f32_e32 v2, v2, v7
	v_mul_f32_e32 v7, 0x3fb8aa3b, v2
	v_fma_f32 v8, v2, s35, -v7
	v_rndne_f32_e32 v9, v7
	v_fmac_f32_e32 v8, 0x32a5705f, v2
	v_sub_f32_e32 v7, v7, v9
	v_add_f32_e32 v7, v7, v8
	v_cvt_i32_f32_e32 v9, v9
	v_exp_f32_e32 v7, v7
	v_cmp_ngt_f32_e32 vcc, s77, v2
	v_ldexp_f32 v7, v7, v9
	s_nop 0
	v_cndmask_b32_e32 v7, 0, v7, vcc
	v_cmp_nlt_f32_e32 vcc, s54, v2
	s_nop 1
	v_cndmask_b32_e32 v2, v106, v7, vcc
	v_mul_f32_e32 v3, v3, v2
	ds_bpermute_b32 v7, v16, v3
	s_mov_b64 s[12:13], exec
	v_readlane_b32 s4, v158, 14
	v_readlane_b32 s5, v158, 15
	s_and_b64 s[4:5], s[12:13], s[4:5]
	s_mov_b64 exec, s[4:5]
	s_cbranch_execz .LBB0_122
; %bb.121:                              ;   in Loop: Header=BB0_12 Depth=1
	s_waitcnt lgkmcnt(0)
	v_add_f32_e32 v3, v3, v7
	ds_write_b64 v6, v[2:3] offset:128
.LBB0_122:                              ;   in Loop: Header=BB0_12 Depth=1
	s_or_b64 exec, exec, s[12:13]
.LBB0_123:                              ;   in Loop: Header=BB0_12 Depth=1
	s_or_b64 exec, exec, s[8:9]
	v_add_u32_e32 v2, v68, v82
	ds_write2_b32 v2, v12, v17 offset1:1
	ds_write2_b32 v2, v13, v22 offset0:8 offset1:9
	ds_write2_b32 v2, v45, v4 offset0:16 offset1:17
	;; [unrolled: 1-line block ×3, first 2 shown]
	s_waitcnt lgkmcnt(0)
	s_barrier
	s_and_saveexec_b64 s[12:13], s[0:1]
	s_cbranch_execz .LBB0_10
; %bb.124:                              ;   in Loop: Header=BB0_12 Depth=1
	v_add_u32_e32 v2, s58, v101
	v_or_b32_e32 v3, s96, v38
	v_cmp_gt_i32_e32 vcc, s28, v2
	v_cmp_gt_i32_e64 s[8:9], s3, v3
	s_and_b64 s[4:5], vcc, s[8:9]
	v_mov_b32_e32 v3, 0x47
	s_and_saveexec_b64 s[14:15], s[4:5]
	s_cbranch_execz .LBB0_126
; %bb.125:                              ;   in Loop: Header=BB0_12 Depth=1
	v_add_u32_e32 v3, v98, v83
	ds_read2st64_b32 v[4:5], v3 offset1:9
	v_add_u32_e32 v3, 0, v83
	ds_read2_b32 v[6:7], v3 offset0:32 offset1:33
	ds_read_b32 v8, v3 offset:2432
	v_mad_u64_u32 v[2:3], s[4:5], v2, s29, v[38:39]
	s_waitcnt lgkmcnt(2)
	v_cvt_f32_f16_e32 v10, v4
	v_cvt_f32_f16_sdwa v11, v4 dst_sel:DWORD dst_unused:UNUSED_PAD src0_sel:WORD_1
	v_cvt_f32_f16_e32 v4, v5
	v_cvt_f32_f16_sdwa v5, v5 dst_sel:DWORD dst_unused:UNUSED_PAD src0_sel:WORD_1
	v_lshl_or_b32 v2, v2, 5, v18
	s_waitcnt lgkmcnt(1)
	v_pk_fma_f32 v[10:11], v[6:7], v[10:11], 0 op_sel_hi:[0,1,0]
	v_ashrrev_i32_e32 v3, 31, v2
	s_waitcnt lgkmcnt(0)
	v_pk_fma_f32 v[4:5], v[8:9], v[4:5], v[10:11] op_sel_hi:[0,1,1]
	v_div_scale_f32 v6, s[4:5], v7, v7, v5
	v_rcp_f32_e32 v8, v6
	v_lshl_add_u64 v[2:3], v[2:3], 3, s[84:85]
	v_fma_f32 v9, -v6, v8, 1.0
	v_fmac_f32_e32 v8, v9, v8
	v_div_scale_f32 v9, vcc, v5, v7, v5
	v_mul_f32_e32 v10, v9, v8
	v_fma_f32 v11, -v6, v10, v9
	v_fmac_f32_e32 v10, v11, v8
	v_fma_f32 v6, -v6, v10, v9
	v_div_scale_f32 v9, s[4:5], v7, v7, v4
	v_rcp_f32_e32 v11, v9
	v_div_fmas_f32 v6, v6, v8, v10
	v_div_fixup_f32 v5, v6, v7, v5
	v_fma_f32 v6, -v9, v11, 1.0
	v_fmac_f32_e32 v11, v6, v11
	v_div_scale_f32 v6, vcc, v4, v7, v4
	v_mul_f32_e32 v8, v6, v11
	v_fma_f32 v10, -v9, v8, v6
	v_fmac_f32_e32 v8, v10, v11
	v_fma_f32 v6, -v9, v8, v6
	v_div_fmas_f32 v6, v6, v11, v8
	v_div_fixup_f32 v4, v6, v7, v4
	global_store_dwordx2 v[2:3], v[4:5], off
	v_mov_b32_e32 v3, 0
.LBB0_126:                              ;   in Loop: Header=BB0_12 Depth=1
	s_or_b64 exec, exec, s[14:15]
	v_cmp_gt_i32_e32 vcc, s25, v3
	s_mov_b64 s[14:15], -1
	s_and_saveexec_b64 s[16:17], vcc
; %bb.127:                              ;   in Loop: Header=BB0_12 Depth=1
	v_cmp_eq_u32_e32 vcc, 0, v3
	s_orn2_b64 s[14:15], vcc, exec
; %bb.128:                              ;   in Loop: Header=BB0_12 Depth=1
	s_or_b64 exec, exec, s[16:17]
	s_and_b64 exec, exec, s[14:15]
	s_cbranch_execz .LBB0_10
; %bb.129:                              ;   in Loop: Header=BB0_12 Depth=1
	v_add_u32_e32 v2, s58, v84
	v_cmp_gt_i32_e32 vcc, s28, v2
	s_and_b64 s[4:5], vcc, s[8:9]
	v_mov_b32_e32 v3, 0x47
	s_and_saveexec_b64 s[14:15], s[4:5]
	s_cbranch_execz .LBB0_131
; %bb.130:                              ;   in Loop: Header=BB0_12 Depth=1
	v_add_u32_e32 v3, v98, v85
	ds_read2st64_b32 v[4:5], v3 offset1:9
	v_add_u32_e32 v3, 0, v85
	ds_read2_b32 v[6:7], v3 offset0:32 offset1:33
	ds_read_b32 v8, v3 offset:2432
	v_mad_u64_u32 v[2:3], s[4:5], v2, s29, v[38:39]
	s_waitcnt lgkmcnt(2)
	v_cvt_f32_f16_e32 v10, v4
	v_cvt_f32_f16_sdwa v11, v4 dst_sel:DWORD dst_unused:UNUSED_PAD src0_sel:WORD_1
	v_cvt_f32_f16_e32 v4, v5
	v_cvt_f32_f16_sdwa v5, v5 dst_sel:DWORD dst_unused:UNUSED_PAD src0_sel:WORD_1
	v_lshl_or_b32 v2, v2, 5, v18
	s_waitcnt lgkmcnt(1)
	v_pk_fma_f32 v[10:11], v[6:7], v[10:11], 0 op_sel_hi:[0,1,0]
	v_ashrrev_i32_e32 v3, 31, v2
	s_waitcnt lgkmcnt(0)
	v_pk_fma_f32 v[4:5], v[8:9], v[4:5], v[10:11] op_sel_hi:[0,1,1]
	v_div_scale_f32 v6, s[4:5], v7, v7, v5
	v_rcp_f32_e32 v8, v6
	v_lshl_add_u64 v[2:3], v[2:3], 3, s[84:85]
	v_fma_f32 v9, -v6, v8, 1.0
	v_fmac_f32_e32 v8, v9, v8
	v_div_scale_f32 v9, vcc, v5, v7, v5
	v_mul_f32_e32 v10, v9, v8
	v_fma_f32 v11, -v6, v10, v9
	v_fmac_f32_e32 v10, v11, v8
	v_fma_f32 v6, -v6, v10, v9
	v_div_scale_f32 v9, s[4:5], v7, v7, v4
	v_rcp_f32_e32 v11, v9
	v_div_fmas_f32 v6, v6, v8, v10
	v_div_fixup_f32 v5, v6, v7, v5
	v_fma_f32 v6, -v9, v11, 1.0
	v_fmac_f32_e32 v11, v6, v11
	v_div_scale_f32 v6, vcc, v4, v7, v4
	v_mul_f32_e32 v8, v6, v11
	v_fma_f32 v10, -v9, v8, v6
	v_fmac_f32_e32 v8, v10, v11
	v_fma_f32 v6, -v9, v8, v6
	v_div_fmas_f32 v6, v6, v11, v8
	v_div_fixup_f32 v4, v6, v7, v4
	global_store_dwordx2 v[2:3], v[4:5], off
	v_mov_b32_e32 v3, 0
.LBB0_131:                              ;   in Loop: Header=BB0_12 Depth=1
	s_or_b64 exec, exec, s[14:15]
	v_cmp_gt_i32_e32 vcc, s25, v3
	s_mov_b64 s[14:15], -1
	s_and_saveexec_b64 s[16:17], vcc
; %bb.132:                              ;   in Loop: Header=BB0_12 Depth=1
	v_cmp_eq_u32_e32 vcc, 0, v3
	s_orn2_b64 s[14:15], vcc, exec
; %bb.133:                              ;   in Loop: Header=BB0_12 Depth=1
	s_or_b64 exec, exec, s[16:17]
	s_and_b64 exec, exec, s[14:15]
	s_cbranch_execz .LBB0_10
; %bb.134:                              ;   in Loop: Header=BB0_12 Depth=1
	v_add_u32_e32 v2, s58, v86
	v_cmp_gt_i32_e32 vcc, s28, v2
	;; [unrolled: 62-line block ×7, first 2 shown]
	s_and_b64 s[4:5], vcc, s[8:9]
	s_and_b64 exec, exec, s[4:5]
	s_cbranch_execz .LBB0_10
; %bb.160:                              ;   in Loop: Header=BB0_12 Depth=1
	v_add_u32_e32 v3, v98, v97
	ds_read2st64_b32 v[4:5], v3 offset1:9
	v_add_u32_e32 v3, 0, v97
	ds_read2_b32 v[6:7], v3 offset0:32 offset1:33
	ds_read_b32 v8, v3 offset:2432
	v_mad_u64_u32 v[2:3], s[4:5], v2, s29, v[38:39]
	s_waitcnt lgkmcnt(2)
	v_cvt_f32_f16_e32 v10, v4
	v_cvt_f32_f16_sdwa v11, v4 dst_sel:DWORD dst_unused:UNUSED_PAD src0_sel:WORD_1
	v_cvt_f32_f16_e32 v4, v5
	v_cvt_f32_f16_sdwa v5, v5 dst_sel:DWORD dst_unused:UNUSED_PAD src0_sel:WORD_1
	v_lshl_or_b32 v2, v2, 5, v18
	s_waitcnt lgkmcnt(1)
	v_pk_fma_f32 v[10:11], v[6:7], v[10:11], 0 op_sel_hi:[0,1,0]
	v_ashrrev_i32_e32 v3, 31, v2
	s_waitcnt lgkmcnt(0)
	v_pk_fma_f32 v[4:5], v[8:9], v[4:5], v[10:11] op_sel_hi:[0,1,1]
	v_div_scale_f32 v6, s[4:5], v7, v7, v5
	v_rcp_f32_e32 v8, v6
	v_lshl_add_u64 v[2:3], v[2:3], 3, s[84:85]
	v_fma_f32 v9, -v6, v8, 1.0
	v_fmac_f32_e32 v8, v9, v8
	v_div_scale_f32 v9, vcc, v5, v7, v5
	v_mul_f32_e32 v10, v9, v8
	v_fma_f32 v11, -v6, v10, v9
	v_fmac_f32_e32 v10, v11, v8
	v_fma_f32 v6, -v6, v10, v9
	v_div_scale_f32 v9, s[4:5], v7, v7, v4
	v_rcp_f32_e32 v11, v9
	v_div_fmas_f32 v6, v6, v8, v10
	v_div_fixup_f32 v5, v6, v7, v5
	v_fma_f32 v6, -v9, v11, 1.0
	v_fmac_f32_e32 v11, v6, v11
	v_div_scale_f32 v6, vcc, v4, v7, v4
	v_mul_f32_e32 v8, v6, v11
	v_fma_f32 v10, -v9, v8, v6
	v_fmac_f32_e32 v8, v10, v11
	v_fma_f32 v6, -v9, v8, v6
	v_div_fmas_f32 v6, v6, v11, v8
	v_div_fixup_f32 v4, v6, v7, v4
	global_store_dwordx2 v[2:3], v[4:5], off
	s_branch .LBB0_10
.LBB0_161:
	v_readlane_b32 s58, v158, 16
	v_readlane_b32 s59, v158, 4
	;; [unrolled: 1-line block ×5, first 2 shown]
	s_andn2_b64 vcc, exec, s[8:9]
	s_cbranch_vccnz .LBB0_8
.LBB0_162:
	s_abs_i32 s0, s95
	v_cvt_f32_u32_e32 v2, s0
	s_sub_i32 s4, 0, s0
	s_abs_i32 s2, s66
	s_xor_b32 s1, s66, s95
	v_rcp_iflag_f32_e32 v2, v2
	s_ashr_i32 s1, s1, 31
	v_mov_b32_e32 v8, s64
	v_mul_f32_e32 v2, 0x4f7ffffe, v2
	v_cvt_u32_f32_e32 v2, v2
	s_nop 0
	v_readfirstlane_b32 s5, v2
	s_mul_i32 s4, s4, s5
	s_mul_hi_u32 s4, s5, s4
	s_add_i32 s5, s5, s4
	s_mul_hi_u32 s4, s2, s5
	s_mul_i32 s5, s4, s0
	s_sub_i32 s2, s2, s5
	s_add_i32 s6, s4, 1
	s_sub_i32 s5, s2, s0
	s_cmp_ge_u32 s2, s0
	s_cselect_b32 s4, s6, s4
	s_cselect_b32 s2, s5, s2
	s_add_i32 s5, s4, 1
	s_cmp_ge_u32 s2, s0
	s_cselect_b32 s0, s5, s4
	s_abs_i32 s4, s67
	v_cvt_f32_u32_e32 v2, s4
	s_xor_b32 s0, s0, s1
	s_sub_i32 s5, 0, s4
	s_sub_i32 s2, s0, s1
	v_rcp_iflag_f32_e32 v2, v2
	s_mul_i32 s0, s2, s95
	s_sub_i32 s0, s66, s0
	s_abs_i32 s6, s0
	v_mul_f32_e32 v2, 0x4f7ffffe, v2
	v_cvt_u32_f32_e32 v2, v2
	s_xor_b32 s1, s0, s67
	s_ashr_i32 s1, s1, 31
	v_readfirstlane_b32 s7, v2
	s_mul_i32 s5, s5, s7
	s_mul_hi_u32 s5, s7, s5
	s_add_i32 s7, s7, s5
	s_mul_hi_u32 s5, s6, s7
	s_mul_i32 s7, s5, s4
	s_sub_i32 s6, s6, s7
	s_add_i32 s8, s5, 1
	s_sub_i32 s7, s6, s4
	s_cmp_ge_u32 s6, s4
	s_cselect_b32 s5, s8, s5
	s_cselect_b32 s6, s7, s6
	s_add_i32 s7, s5, 1
	s_cmp_ge_u32 s6, s4
	s_cselect_b32 s4, s7, s5
	s_abs_i32 s5, s56
	v_cvt_f32_u32_e32 v2, s5
	s_xor_b32 s4, s4, s1
	s_sub_i32 s6, 0, s5
	s_sub_i32 s8, s4, s1
	v_rcp_iflag_f32_e32 v2, v2
	s_mul_i32 s1, s8, s67
	s_sub_i32 s1, s0, s1
	s_abs_i32 s4, s1
	v_mul_f32_e32 v2, 0x4f7ffffe, v2
	v_cvt_u32_f32_e32 v2, v2
	s_xor_b32 s0, s1, s56
	s_ashr_i32 s0, s0, 31
	v_readfirstlane_b32 s7, v2
	s_mul_i32 s6, s6, s7
	s_mul_hi_u32 s6, s7, s6
	s_add_i32 s7, s7, s6
	s_mul_hi_u32 s6, s4, s7
	s_mul_i32 s7, s6, s5
	s_sub_i32 s4, s4, s7
	s_add_i32 s9, s6, 1
	s_sub_i32 s7, s4, s5
	s_cmp_ge_u32 s4, s5
	s_cselect_b32 s6, s9, s6
	s_cselect_b32 s4, s7, s4
	s_add_i32 s7, s6, 1
	s_cmp_ge_u32 s4, s5
	s_cselect_b32 s4, s7, s6
	s_xor_b32 s4, s4, s0
	s_sub_i32 s0, s4, s0
	s_mul_i32 s4, s0, s56
	s_sub_i32 s1, s1, s4
	s_ashr_i32 s4, s1, 31
	v_readlane_b32 s5, v158, 3
	s_abs_i32 s1, s1
	s_xor_b32 s4, s4, s5
	s_mul_hi_u32 s5, s1, s24
	s_mul_i32 s6, s5, s71
	s_sub_i32 s1, s1, s6
	s_add_i32 s6, s5, 1
	s_sub_i32 s7, s1, s71
	s_cmp_ge_u32 s1, s71
	s_cselect_b32 s5, s6, s5
	s_cselect_b32 s1, s7, s1
	s_add_i32 s6, s5, 1
	s_cmp_ge_u32 s1, s71
	s_cselect_b32 s1, s6, s5
	s_abs_i32 s9, s10
	v_cvt_f32_u32_e32 v2, s9
	s_xor_b32 s1, s1, s4
	s_sub_i32 s1, s1, s4
	s_cmp_eq_u64 s[46:47], 0
	v_rcp_iflag_f32_e32 v2, v2
	s_nop 0
	v_mul_f32_e32 v2, 0x4f7ffffe, v2
	v_cvt_u32_f32_e32 v2, v2
	s_nop 0
	v_readfirstlane_b32 s11, v2
	s_cbranch_scc1 .LBB0_164
; %bb.163:
	s_mul_i32 s4, s2, s57
	s_add_i32 s4, s1, s4
	s_ashr_i32 s5, s4, 31
	s_lshl_b64 s[4:5], s[4:5], 2
	s_add_u32 s4, s46, s4
	s_addc_u32 s5, s47, s5
	v_mov_b32_e32 v2, 0
	global_load_dword v2, v2, s[4:5]
	s_waitcnt vmcnt(0)
	v_ashrrev_i32_e32 v3, 31, v2
	v_lshrrev_b32_e32 v3, 26, v3
	v_add_u32_e32 v2, v2, v3
	v_ashrrev_i32_e32 v2, 6, v2
	v_min_i32_e32 v8, s64, v2
.LBB0_164:
	s_mul_i32 s4, s8, s3
	s_lshl_b32 s5, s0, 2
	s_add_i32 s0, s5, s4
	s_mul_i32 s4, s2, s23
	s_ashr_i32 s6, s4, 31
	s_add_u32 s4, s36, s4
	s_mul_i32 s0, s0, s22
	s_addc_u32 s7, s37, s6
	s_ashr_i32 s10, s0, 31
	s_add_u32 s6, s4, s0
	s_addc_u32 s7, s7, s10
	s_lshl_b32 s10, s1, 3
	v_lshrrev_b32_e32 v3, 2, v64
	v_and_b32_e32 v2, 3, v64
	v_add_u32_e32 v3, s10, v3
	v_or_b32_e32 v4, s5, v2
	v_cmp_le_i32_e64 s[0:1], s28, v3
	v_cmp_le_i32_e64 s[4:5], s3, v4
	s_mov_b32 s12, 0x10001
	v_lshl_add_u32 v28, v18, 2, 0
	v_cmp_gt_i32_e32 vcc, s3, v4
	s_or_b64 s[0:1], s[0:1], s[4:5]
	s_and_saveexec_b64 s[4:5], s[0:1]
	s_xor_b64 s[0:1], exec, s[4:5]
; %bb.165:
	s_movk_i32 s3, 0x90
	v_mad_u32_u24 v3, v64, s3, v28
	v_mov_b32_e32 v4, 0
	ds_write_b32 v3, v4
                                        ; implicit-def: $vgpr3
; %bb.166:
	s_or_saveexec_b64 s[0:1], s[0:1]
	v_mul_lo_u32 v1, v1, s12
	s_xor_b64 exec, exec, s[0:1]
	s_cbranch_execz .LBB0_168
; %bb.167:
	v_mul_lo_u32 v3, v3, s20
	v_mul_lo_u32 v4, v2, s21
	v_add3_u32 v4, v4, v18, v3
	v_ashrrev_i32_e32 v5, 31, v4
	v_lshl_add_u64 v[4:5], v[4:5], 3, s[6:7]
	global_load_dwordx2 v[4:5], v[4:5], off
	s_movk_i32 s3, 0x90
	s_waitcnt vmcnt(0)
	v_cvt_pk_f16_f32 v3, v4, v5
	v_pk_mul_f16 v3, v3, v1
	v_mad_u32_u24 v4, v64, s3, v28
	ds_write_b32 v4, v3
.LBB0_168:
	s_or_b64 exec, exec, s[0:1]
	v_add_u32_e32 v3, 8, v64
	v_lshrrev_b32_e32 v4, 2, v3
	v_add_u32_e32 v4, s10, v4
	v_cmp_le_i32_e64 s[0:1], s28, v4
	s_xor_b64 s[4:5], vcc, -1
	s_sub_i32 s3, 0, s9
	s_or_b64 s[0:1], s[0:1], s[4:5]
	s_and_saveexec_b64 s[12:13], s[0:1]
	s_xor_b64 s[0:1], exec, s[12:13]
; %bb.169:
	s_movk_i32 s12, 0x90
	v_mad_u32_u24 v3, v3, s12, v28
	v_mov_b32_e32 v4, 0
	ds_write_b32 v3, v4
                                        ; implicit-def: $vgpr4
                                        ; implicit-def: $vgpr3
; %bb.170:
	s_or_saveexec_b64 s[0:1], s[0:1]
	s_mul_i32 s3, s3, s11
	s_xor_b64 exec, exec, s[0:1]
	s_cbranch_execz .LBB0_172
; %bb.171:
	v_mul_lo_u32 v4, v4, s20
	v_mul_lo_u32 v5, v2, s21
	v_add3_u32 v4, v5, v18, v4
	v_ashrrev_i32_e32 v5, 31, v4
	v_lshl_add_u64 v[4:5], v[4:5], 3, s[6:7]
	global_load_dwordx2 v[4:5], v[4:5], off
	s_movk_i32 s12, 0x90
	v_mad_u32_u24 v3, v3, s12, v28
	s_waitcnt vmcnt(0)
	v_cvt_pk_f16_f32 v4, v4, v5
	v_pk_mul_f16 v4, v4, v1
	ds_write_b32 v3, v4
.LBB0_172:
	s_or_b64 exec, exec, s[0:1]
	v_add_u32_e32 v3, 16, v64
	v_lshrrev_b32_e32 v4, 2, v3
	v_add_u32_e32 v4, s10, v4
	v_cmp_le_i32_e32 vcc, s28, v4
	s_mul_hi_u32 s12, s11, s3
	s_or_b64 s[0:1], vcc, s[4:5]
	s_and_saveexec_b64 s[14:15], s[0:1]
	s_xor_b64 s[0:1], exec, s[14:15]
; %bb.173:
	s_movk_i32 s3, 0x90
	v_mad_u32_u24 v3, v3, s3, v28
	v_mov_b32_e32 v4, 0
	ds_write_b32 v3, v4
                                        ; implicit-def: $vgpr4
                                        ; implicit-def: $vgpr3
; %bb.174:
	s_or_saveexec_b64 s[0:1], s[0:1]
	s_abs_i32 s3, s2
	s_add_i32 s11, s11, s12
	s_xor_b64 exec, exec, s[0:1]
	s_cbranch_execz .LBB0_176
; %bb.175:
	v_mul_lo_u32 v4, v4, s20
	v_mul_lo_u32 v5, v2, s21
	v_add3_u32 v4, v5, v18, v4
	v_ashrrev_i32_e32 v5, 31, v4
	v_lshl_add_u64 v[4:5], v[4:5], 3, s[6:7]
	global_load_dwordx2 v[4:5], v[4:5], off
	s_movk_i32 s12, 0x90
	v_mad_u32_u24 v3, v3, s12, v28
	s_waitcnt vmcnt(0)
	v_cvt_pk_f16_f32 v4, v4, v5
	v_pk_mul_f16 v4, v4, v1
	ds_write_b32 v3, v4
.LBB0_176:
	s_or_b64 exec, exec, s[0:1]
	v_add_u32_e32 v3, 24, v64
	v_lshrrev_b32_e32 v4, 2, v3
	v_add_u32_e32 v4, s10, v4
	v_cmp_le_i32_e32 vcc, s28, v4
	s_mul_hi_u32 s11, s3, s11
	s_or_b64 s[0:1], vcc, s[4:5]
	s_and_saveexec_b64 s[4:5], s[0:1]
	s_xor_b64 s[0:1], exec, s[4:5]
; %bb.177:
	s_movk_i32 s4, 0x90
	v_mad_u32_u24 v1, v3, s4, v28
	v_mov_b32_e32 v2, 0
	ds_write_b32 v1, v2
                                        ; implicit-def: $vgpr4
                                        ; implicit-def: $vgpr2
                                        ; implicit-def: $vgpr1
                                        ; implicit-def: $vgpr3
; %bb.178:
	s_or_saveexec_b64 s[0:1], s[0:1]
	s_ashr_i32 s4, s2, 31
	v_and_b32_e32 v29, 0x3ff, v0
	s_xor_b64 exec, exec, s[0:1]
	s_cbranch_execz .LBB0_180
; %bb.179:
	v_mul_lo_u32 v0, v4, s20
	v_mul_lo_u32 v2, v2, s21
	v_add3_u32 v4, v2, v18, v0
	v_ashrrev_i32_e32 v5, 31, v4
	v_lshl_add_u64 v[4:5], v[4:5], 3, s[6:7]
	global_load_dwordx2 v[4:5], v[4:5], off
	s_movk_i32 s5, 0x90
	s_waitcnt vmcnt(0)
	v_cvt_pk_f16_f32 v0, v4, v5
	v_pk_mul_f16 v0, v0, v1
	v_mad_u32_u24 v1, v3, s5, v28
	ds_write_b32 v1, v0
.LBB0_180:
	s_or_b64 exec, exec, s[0:1]
	s_mul_hi_u32 s0, s52, s2
	s_mul_i32 s1, s52, s4
	s_add_i32 s0, s0, s1
	s_mul_i32 s1, s53, s2
	v_readlane_b32 s6, v158, 1
	s_add_i32 s0, s0, s1
	s_mul_i32 s1, s52, s2
	v_readlane_b32 s7, v158, 2
	s_add_u32 s1, s38, s1
	s_mul_i32 s5, s8, s7
	s_addc_u32 s0, s39, s0
	s_ashr_i32 s6, s5, 31
	s_add_u32 s22, s1, s5
	s_mul_i32 s11, s11, s9
	s_addc_u32 s23, s0, s6
	s_sub_i32 s0, s3, s11
	s_sub_i32 s1, s0, s9
	s_cmp_ge_u32 s0, s9
	s_cselect_b32 s0, s1, s0
	s_sub_i32 s1, s0, s9
	s_cmp_ge_u32 s0, s9
	s_cselect_b32 s0, s1, s0
	s_xor_b32 s0, s0, s4
	s_sub_i32 s0, s0, s4
	s_ashr_i32 s1, s0, 31
	s_mul_i32 s1, s62, s1
	s_mul_hi_u32 s3, s62, s0
	s_add_i32 s1, s3, s1
	s_mul_i32 s3, s63, s0
	s_add_i32 s1, s1, s3
	s_mul_i32 s0, s62, s0
	s_add_u32 s24, s42, s0
	s_addc_u32 s25, s43, s1
	s_mul_hi_u32 s0, s60, s2
	s_mul_i32 s1, s60, s4
	s_add_i32 s0, s0, s1
	s_mul_i32 s1, s61, s2
	s_add_i32 s0, s0, s1
	s_mul_i32 s1, s60, s2
	s_add_u32 s1, s40, s1
	s_mul_i32 s8, s8, s55
	s_addc_u32 s0, s41, s0
	s_ashr_i32 s2, s8, 31
	s_add_u32 s20, s1, s8
	v_lshrrev_b32_e32 v38, 3, v29
	s_addc_u32 s21, s0, s2
	v_and_b32_e32 v40, 0x1ff0, v41
	s_movk_i32 s0, 0x90
	v_and_b32_e32 v30, 15, v29
	v_and_b32_e32 v1, 0x7e, v38
	v_mad_u32_u24 v0, v40, s0, 0
	v_mul_u32_u24_e32 v47, 0x90, v30
	v_lshlrev_b32_e32 v31, 2, v1
	v_add3_u32 v0, v0, v47, v31
	v_add_u32_e32 v61, -1, v8
	v_add_u32_e32 v8, s10, v64
	s_waitcnt lgkmcnt(0)
	s_barrier
	ds_read2_b64 v[4:7], v0 offset1:4
	ds_read2_b64 v[0:3], v0 offset0:8 offset1:12
	v_mul_hi_u32 v9, s18, v8
	v_add_u32_e32 v9, v8, v9
	v_lshrrev_b32_e32 v9, s19, v9
	v_cmp_lt_i32_e32 vcc, s97, v61
	v_mul_lo_u32 v9, v9, s28
	v_sub_u32_e32 v43, v8, v9
	s_waitcnt lgkmcnt(0)
	s_barrier
	s_cbranch_vccnz .LBB0_185
; %bb.181:
	v_lshlrev_b32_e32 v9, 2, v29
	v_lshlrev_b32_e32 v32, 4, v39
	v_lshrrev_b32_e32 v10, 2, v29
	v_and_b32_e32 v14, 28, v9
	v_and_b32_e32 v9, 16, v32
	v_and_b32_e32 v10, 0xfc, v10
	v_mul_u32_u24_e32 v59, 0x90, v9
	v_add_u32_e32 v11, v10, v9
	v_add_u16_e32 v9, v10, v9
	v_lshrrev_b16_e32 v60, 1, v9
	v_add_u32_e32 v9, 32, v11
	v_lshlrev_b32_e32 v8, 1, v29
	v_lshrrev_b32_e32 v54, 1, v9
	v_add_u32_e32 v9, 34, v11
	v_and_b32_e32 v12, 62, v8
	v_add_u32_e32 v8, v41, v38
	v_mov_b32_e32 v24, 0x1200
	v_and_or_b32 v25, v29, 12, v40
	v_lshrrev_b32_e32 v55, 1, v9
	v_mbcnt_lo_u32_b32 v9, -1, 0
	v_lshlrev_b32_e32 v26, 1, v38
	v_mul_u32_u24_e32 v53, 0x90, v8
	v_mul_lo_u32 v20, s26, v8
	v_mad_u32_u24 v56, v8, s0, v24
	v_lshrrev_b32_e32 v25, 2, v25
	v_mbcnt_hi_u32_b32 v48, -1, v9
	v_mul_lo_u32 v8, s30, v8
	v_and_b32_e32 v27, 0xfc, v26
	v_mov_b32_e32 v13, 0
	s_ashr_i32 s27, s26, 31
	v_lshl_add_u32 v22, s26, 5, v20
	v_mul_u32_u24_e32 v58, 0x90, v25
	v_and_b32_e32 v9, 64, v48
	s_ashr_i32 s31, s30, 31
	v_lshl_add_u32 v10, s30, 5, v8
	v_and_b32_e32 v25, 8, v41
	v_mul_u32_u24_e32 v33, 0x90, v27
	v_or_b32_e32 v27, 2, v26
	v_or_b32_e32 v26, 3, v26
	s_movk_i32 s0, 0x120
	v_mad_i64_i32 v[16:17], s[2:3], v43, s94, 0
	v_mov_b32_e32 v15, v13
	v_ashrrev_i32_e32 v21, 31, v20
	v_ashrrev_i32_e32 v23, 31, v22
	v_add_u32_e32 v49, 64, v9
	v_xor_b32_e32 v57, 32, v48
	v_xor_b32_e32 v52, 16, v48
	v_ashrrev_i32_e32 v9, 31, v8
	v_ashrrev_i32_e32 v11, 31, v10
	v_mul_u32_u24_e32 v35, 0x90, v27
	v_mul_u32_u24_e32 v36, 0x90, v26
	;; [unrolled: 1-line block ×3, first 2 shown]
	v_mad_u32_u24 v37, v25, s0, v24
	v_mov_b64_e32 v[24:25], s[30:31]
	v_mov_b64_e32 v[26:27], s[26:27]
	v_mul_u32_u24_e32 v62, 0x90, v64
	v_lshlrev_b32_e32 v34, 1, v30
	s_cbranch_execz .LBB0_186
; %bb.182:
	v_mov_b32_e32 v67, 0xfeffffff
	v_mov_b32_e32 v63, 0
	v_mov_b32_e32 v38, 0
	v_mov_b32_e32 v40, 0
	v_mov_b32_e32 v43, 0
	v_mov_b32_e32 v44, 0
	v_mov_b32_e32 v45, 0
	v_mov_b32_e32 v46, 0
	v_mov_b32_e32 v50, 0
	v_mov_b32_e32 v51, 0
	s_branch .LBB0_189
.LBB0_183:
                                        ; implicit-def: $sgpr66_sgpr67
	v_readlane_b32 s67, v158, 0
	s_load_dwordx2 s[22:23], s[0:1], 0x74
	v_cvt_f32_u32_e32 v1, s59
	s_branch .LBB0_2
.LBB0_184:
                                        ; implicit-def: $sgpr70_sgpr71
	s_load_dwordx2 s[18:19], s[0:1], 0x5c
	s_branch .LBB0_5
.LBB0_185:
                                        ; implicit-def: $vgpr12
                                        ; implicit-def: $vgpr16_vgpr17
                                        ; implicit-def: $vgpr26_vgpr27
                                        ; implicit-def: $vgpr53
                                        ; implicit-def: $vgpr14
                                        ; implicit-def: $vgpr20_vgpr21
                                        ; implicit-def: $vgpr56
                                        ; implicit-def: $vgpr22_vgpr23
                                        ; implicit-def: $vgpr32
                                        ; implicit-def: $vgpr59
                                        ; implicit-def: $vgpr58
                                        ; implicit-def: $vgpr60
                                        ; implicit-def: $vgpr54
                                        ; implicit-def: $vgpr55
                                        ; implicit-def: $vgpr48
                                        ; implicit-def: $vgpr49
                                        ; implicit-def: $vgpr57
                                        ; implicit-def: $vgpr52
                                        ; implicit-def: $vgpr24_vgpr25
                                        ; implicit-def: $vgpr8_vgpr9
                                        ; implicit-def: $vgpr10_vgpr11
                                        ; implicit-def: $vgpr33
                                        ; implicit-def: $vgpr35
                                        ; implicit-def: $vgpr36
                                        ; implicit-def: $vgpr42
                                        ; implicit-def: $vgpr37
	v_mul_u32_u24_e32 v62, 0x90, v64
	v_lshlrev_b32_e32 v34, 1, v30
.LBB0_186:
	v_lshlrev_b32_e32 v8, 1, v29
	v_and_b32_e32 v12, 62, v8
	v_mad_i64_i32 v[16:17], s[0:1], v43, s94, 0
	v_mov_b32_e32 v25, 0
	v_lshlrev_b32_e32 v24, 1, v12
	v_lshl_add_u64 v[8:9], v[16:17], 1, s[24:25]
	v_lshl_add_u64 v[26:27], v[8:9], 0, v[24:25]
	v_lshlrev_b32_e32 v9, 2, v29
	v_add_u32_e32 v8, v41, v38
	v_and_b32_e32 v14, 28, v9
	v_mul_u32_u24_e32 v53, 0x90, v8
	v_lshlrev_b32_e32 v9, 2, v14
	v_lshlrev_b32_e32 v32, 4, v39
	v_lshrrev_b32_e32 v10, 2, v29
	v_add3_u32 v65, 0, v53, v9
	v_and_b32_e32 v9, 16, v32
	v_and_b32_e32 v10, 0xfc, v10
	v_and_or_b32 v33, v29, 12, v40
	s_movk_i32 s0, 0x90
	v_mul_u32_u24_e32 v59, 0x90, v9
	v_add_u32_e32 v11, v10, v9
	v_lshrrev_b32_e32 v33, 2, v33
	v_add_u16_e32 v9, v10, v9
	v_mul_u32_u24_e32 v58, 0x90, v33
	v_mad_u32_u24 v33, v33, s0, 0
	v_lshrrev_b16_e32 v60, 1, v9
	v_add_u32_e32 v9, 32, v11
	v_lshrrev_b32_e32 v54, 1, v9
	v_lshl_add_u32 v68, v9, 1, v33
	v_add_u32_e32 v9, 34, v11
	v_lshrrev_b32_e32 v55, 1, v9
	v_lshl_add_u32 v69, v9, 1, v33
	v_mbcnt_lo_u32_b32 v9, -1, 0
	v_mbcnt_hi_u32_b32 v48, -1, v9
	v_and_b32_e32 v9, 64, v48
	v_add_u32_e32 v49, 64, v9
	v_xor_b32_e32 v57, 32, v48
	v_add3_u32 v64, 0, v62, v24
	v_mov_b32_e32 v24, 0x1200
	v_cmp_lt_i32_e32 vcc, v57, v49
	v_xor_b32_e32 v52, 16, v48
	v_lshlrev_b32_e32 v36, 1, v38
	v_mul_lo_u32 v20, s26, v8
	v_mad_u32_u24 v56, v8, s0, v24
	v_lshl_add_u32 v40, v60, 2, v33
	v_cndmask_b32_e32 v9, v48, v57, vcc
	v_cmp_lt_i32_e32 vcc, v52, v49
	v_mul_lo_u32 v8, s30, v8
	v_and_b32_e32 v37, 8, v41
	v_and_b32_e32 v33, 0xfc, v36
	v_or_b32_e32 v35, 2, v36
	v_or_b32_e32 v36, 3, v36
	s_movk_i32 s0, 0x120
	v_lshl_add_u32 v22, s26, 5, v20
	v_add3_u32 v43, 0, v47, v31
	v_lshlrev_b32_e32 v70, 2, v9
	v_cndmask_b32_e32 v9, v48, v52, vcc
	v_lshl_add_u32 v10, s30, 5, v8
	v_mul_u32_u24_e32 v33, 0x90, v33
	v_mul_u32_u24_e32 v35, 0x90, v35
	;; [unrolled: 1-line block ×3, first 2 shown]
	v_mad_u32_u24 v38, v37, s0, 0
	v_mov_b32_e32 v13, v25
	s_ashr_i32 s27, s26, 31
	v_mov_b32_e32 v15, v25
	v_ashrrev_i32_e32 v21, 31, v20
	v_add_u32_e32 v66, 0x1200, v65
	v_ashrrev_i32_e32 v23, 31, v22
	v_lshlrev_b32_e32 v71, 2, v9
	s_ashr_i32 s31, s30, 31
	v_ashrrev_i32_e32 v9, 31, v8
	v_ashrrev_i32_e32 v11, 31, v10
	v_mul_u32_u24_e32 v42, 0x120, v37
	v_add3_u32 v72, v38, v33, v34
	v_add3_u32 v73, v38, v35, v34
	;; [unrolled: 1-line block ×3, first 2 shown]
	v_mad_u32_u24 v37, v37, s0, v24
	s_lshl_b32 s28, s97, 6
	v_mov_b32_e32 v67, 0xfeffffff
	v_lshlrev_b32_e32 v24, 2, v14
	v_add_u32_e32 v75, v43, v59
	v_add_u32_e32 v76, 0x2400, v40
	s_mov_b32 s2, 0x3fb8aa3b
	s_mov_b32 s3, 0xc2ce8ed0
	;; [unrolled: 1-line block ×5, first 2 shown]
	v_mov_b32_e32 v77, 0x7f800000
	v_mov_b32_e32 v63, v25
	;; [unrolled: 1-line block ×10, first 2 shown]
.LBB0_187:                              ; =>This Inner Loop Header: Depth=1
	s_mul_hi_i32 s1, s28, s26
	s_mul_i32 s0, s28, s26
	s_ashr_i32 s29, s28, 31
	s_lshl_b64 s[0:1], s[0:1], 2
	s_add_u32 s0, s22, s0
	v_lshl_add_u64 v[80:81], s[28:29], 1, v[26:27]
	s_addc_u32 s1, s23, s1
	v_mov_b32_e32 v79, v67
	global_load_dword v67, v[80:81], off
	v_lshl_add_u64 v[80:81], v[20:21], 2, s[0:1]
	v_lshl_add_u64 v[82:83], v[22:23], 2, s[0:1]
	;; [unrolled: 1-line block ×4, first 2 shown]
	global_load_dwordx4 v[80:83], v[88:89], off
	global_load_dwordx4 v[84:87], v[90:91], off
	s_mul_hi_i32 s5, s28, s30
	s_mul_i32 s4, s28, s30
	s_lshl_b64 s[4:5], s[4:5], 2
	s_add_u32 s0, s20, s4
	s_addc_u32 s1, s21, s5
	v_mov_b32_e32 v78, v63
	v_add_u32_e32 v63, 0x1000, v75
	v_lshl_add_u64 v[88:89], v[8:9], 2, s[0:1]
	v_lshl_add_u64 v[90:91], v[10:11], 2, s[0:1]
	;; [unrolled: 1-line block ×4, first 2 shown]
	s_add_i32 s97, s97, 1
	v_cmp_lt_i32_e32 vcc, s97, v61
	s_add_i32 s28, s28, 64
	s_and_b64 vcc, exec, vcc
	s_waitcnt vmcnt(2)
	ds_write_b32 v64, v67 offset:9216
	s_waitcnt vmcnt(1)
	ds_write_b128 v65, v[80:83]
	s_waitcnt vmcnt(0)
	ds_write_b128 v66, v[84:87]
	s_waitcnt lgkmcnt(0)
	s_barrier
	ds_read2_b64 v[80:83], v75 offset1:4
	ds_read2_b64 v[88:91], v63 offset0:64 offset1:68
	s_waitcnt lgkmcnt(1)
	v_mfma_f32_16x16x16_f16 v[84:87], v[80:81], v[4:5], 0
	ds_read2_b64 v[96:99], v75 offset0:8 offset1:12
	ds_read2_b64 v[100:103], v63 offset0:72 offset1:76
	s_waitcnt lgkmcnt(0)
	s_barrier
	v_mfma_f32_16x16x16_f16 v[92:95], v[88:89], v[4:5], 0
	ds_read2_b32 v[108:109], v76 offset1:1
	ds_read_b32 v63, v68 offset:9216
	ds_read_b32 v67, v69 offset:9216
	v_mfma_f32_16x16x16_f16 v[80:83], v[82:83], v[6:7], v[84:87]
	v_mfma_f32_16x16x16_f16 v[84:87], v[90:91], v[6:7], v[92:95]
	global_load_dwordx4 v[88:91], v[104:105], off
	s_nop 1
	global_load_dwordx4 v[92:95], v[106:107], off
	v_mfma_f32_16x16x16_f16 v[80:83], v[96:97], v[0:1], v[80:83]
	s_waitcnt lgkmcnt(2)
	v_cvt_f32_f16_e32 v96, v108
	v_cvt_f32_f16_sdwa v97, v108 dst_sel:DWORD dst_unused:UNUSED_PAD src0_sel:WORD_1
	s_waitcnt lgkmcnt(1)
	v_cvt_f32_f16_e32 v104, v63
	v_mfma_f32_16x16x16_f16 v[84:87], v[100:101], v[0:1], v[84:87]
	v_cvt_f32_f16_e32 v100, v109
	v_cvt_f32_f16_sdwa v101, v109 dst_sel:DWORD dst_unused:UNUSED_PAD src0_sel:WORD_1
	v_cvt_f32_f16_sdwa v63, v63 dst_sel:DWORD dst_unused:UNUSED_PAD src0_sel:WORD_1
	v_mfma_f32_16x16x16_f16 v[80:83], v[98:99], v[2:3], v[80:83]
	s_waitcnt lgkmcnt(0)
	v_cvt_f32_f16_e32 v98, v67
	v_cvt_f32_f16_sdwa v67, v67 dst_sel:DWORD dst_unused:UNUSED_PAD src0_sel:WORD_1
	s_waitcnt vmcnt(1)
	ds_write_b128 v65, v[88:91]
	s_waitcnt vmcnt(0)
	ds_write_b128 v66, v[92:95]
	v_mfma_f32_16x16x16_f16 v[84:87], v[102:103], v[2:3], v[84:87]
	v_add_f32_e32 v80, v80, v96
	v_add_f32_e32 v81, v81, v97
	;; [unrolled: 1-line block ×5, first 2 shown]
	s_nop 2
	v_add_f32_e32 v63, v85, v63
	v_add_f32_e32 v85, v86, v98
	;; [unrolled: 1-line block ×7, first 2 shown]
	v_max3_f32 v67, v79, v67, v87
	v_add_f32_e32 v98, 0x40051340, v84
	v_add_f32_e32 v99, 0x40051340, v63
	v_max3_f32 v67, v67, v96, v97
	v_add_f32_e32 v100, 0x40051340, v85
	v_add_f32_e32 v101, 0x40051340, v86
	v_max3_f32 v67, v67, v98, v99
	v_max3_f32 v67, v67, v100, v101
	ds_bpermute_b32 v87, v70, v67
	s_waitcnt lgkmcnt(0)
	s_barrier
	v_max_f32_e32 v87, v87, v87
	v_max_f32_e32 v67, v67, v87
	ds_bpermute_b32 v87, v71, v67
	s_waitcnt lgkmcnt(0)
	v_max_f32_e32 v87, v87, v87
	v_max_f32_e32 v67, v67, v87
	v_sub_f32_e32 v80, v80, v67
	v_sub_f32_e32 v81, v81, v67
	;; [unrolled: 1-line block ×9, first 2 shown]
	v_mul_f32_e32 v87, 0x3fb8aa3b, v80
	v_mul_f32_e32 v96, 0x3fb8aa3b, v81
	v_mul_f32_e32 v97, 0x3fb8aa3b, v82
	v_mul_f32_e32 v98, 0x3fb8aa3b, v83
	v_mul_f32_e32 v99, 0x3fb8aa3b, v84
	v_mul_f32_e32 v100, 0x3fb8aa3b, v63
	v_mul_f32_e32 v101, 0x3fb8aa3b, v85
	v_mul_f32_e32 v102, 0x3fb8aa3b, v86
	v_mul_f32_e32 v103, 0x3fb8aa3b, v79
	v_fma_f32 v104, v80, s2, -v87
	v_rndne_f32_e32 v105, v87
	v_fma_f32 v106, v81, s2, -v96
	v_rndne_f32_e32 v107, v96
	;; [unrolled: 2-line block ×9, first 2 shown]
	v_fmac_f32_e32 v104, 0x32a5705f, v80
	v_sub_f32_e32 v87, v87, v105
	v_fmac_f32_e32 v106, 0x32a5705f, v81
	v_sub_f32_e32 v96, v96, v107
	;; [unrolled: 2-line block ×9, first 2 shown]
	v_add_f32_e32 v87, v87, v104
	v_add_f32_e32 v96, v96, v106
	;; [unrolled: 1-line block ×9, first 2 shown]
	v_cvt_i32_f32_e32 v105, v105
	v_cvt_i32_f32_e32 v107, v107
	;; [unrolled: 1-line block ×9, first 2 shown]
	v_exp_f32_e32 v87, v87
	v_exp_f32_e32 v96, v96
	;; [unrolled: 1-line block ×9, first 2 shown]
	v_ldexp_f32 v87, v87, v105
	v_ldexp_f32 v96, v96, v107
	v_cmp_ngt_f32_e64 s[0:1], s3, v81
	v_ldexp_f32 v97, v97, v109
	v_cmp_ngt_f32_e64 s[4:5], s3, v82
	v_ldexp_f32 v98, v98, v111
	v_cmp_ngt_f32_e64 s[6:7], s3, v83
	v_ldexp_f32 v99, v99, v113
	v_cmp_ngt_f32_e64 s[8:9], s3, v84
	v_ldexp_f32 v100, v100, v115
	v_cmp_ngt_f32_e64 s[10:11], s3, v63
	v_ldexp_f32 v101, v101, v117
	v_cmp_ngt_f32_e64 s[12:13], s3, v85
	v_ldexp_f32 v102, v102, v119
	v_cmp_ngt_f32_e64 s[14:15], s3, v86
	v_ldexp_f32 v103, v103, v121
	v_cmp_ngt_f32_e64 s[16:17], s3, v79
	v_cmp_ngt_f32_e64 s[18:19], s3, v80
	v_cndmask_b32_e64 v96, 0, v96, s[0:1]
	v_cmp_nlt_f32_e64 s[0:1], s33, v81
	v_cndmask_b32_e64 v87, 0, v87, s[18:19]
	v_cndmask_b32_e64 v81, 0, v97, s[4:5]
	v_cmp_nlt_f32_e64 s[4:5], s33, v82
	v_cndmask_b32_e64 v82, 0, v98, s[6:7]
	v_cmp_nlt_f32_e64 s[6:7], s33, v83
	v_cndmask_b32_e64 v83, 0, v99, s[8:9]
	v_cmp_nlt_f32_e64 s[8:9], s33, v84
	v_cndmask_b32_e64 v84, 0, v100, s[10:11]
	v_cmp_nlt_f32_e64 s[10:11], s33, v63
	v_cndmask_b32_e64 v63, 0, v101, s[12:13]
	v_cmp_nlt_f32_e64 s[12:13], s33, v85
	v_cndmask_b32_e64 v85, 0, v102, s[14:15]
	v_cmp_nlt_f32_e64 s[14:15], s33, v86
	v_cndmask_b32_e64 v86, 0, v103, s[16:17]
	v_cmp_nlt_f32_e64 s[16:17], s33, v79
	v_cmp_nlt_f32_e64 s[18:19], s33, v80
	v_cndmask_b32_e64 v81, v77, v81, s[4:5]
	v_cndmask_b32_e64 v86, v77, v86, s[16:17]
	;; [unrolled: 1-line block ×4, first 2 shown]
	v_cmp_le_f32_e64 s[0:1], s34, v79
	v_add_f32_e32 v79, v80, v87
	v_cndmask_b32_e64 v82, v77, v82, s[6:7]
	v_cndmask_b32_e64 v86, 0, v86, s[0:1]
	v_cvt_pk_f16_f32 v104, v80, v87
	v_add_f32_e32 v79, v81, v79
	v_cvt_f16_f32_e32 v80, v86
	v_cndmask_b32_e64 v83, v77, v83, s[8:9]
	v_add_f32_e32 v79, v82, v79
	v_cndmask_b32_e64 v84, v77, v84, s[10:11]
	v_add_f32_e32 v79, v83, v79
	v_cndmask_b32_e64 v63, v77, v63, s[12:13]
	v_cndmask_b32_e64 v85, v77, v85, s[14:15]
	v_add_f32_e32 v79, v84, v79
	v_cvt_pk_f16_f32 v107, v63, v85
	v_add_f32_e32 v63, v63, v79
	v_mul_u32_u24_e32 v79, 0x10001, v80
	v_add_f32_e32 v63, v85, v63
	v_pk_mul_f16 v51, v51, v79
	v_pk_mul_f16 v50, v50, v79
	v_pk_mul_f16 v46, v46, v79
	v_pk_mul_f16 v45, v45, v79
	v_pk_mul_f16 v44, v44, v79
	v_pk_mul_f16 v43, v43, v79
	v_pk_mul_f16 v40, v40, v79
	v_pk_mul_f16 v38, v38, v79
	v_cvt_pk_f16_f32 v105, v81, v82
	v_cvt_pk_f16_f32 v106, v83, v84
	v_fmac_f32_e32 v63, v78, v86
	v_cvt_f32_f16_e32 v78, v51
	v_cvt_f32_f16_sdwa v79, v51 dst_sel:DWORD dst_unused:UNUSED_PAD src0_sel:WORD_1
	v_cvt_f32_f16_e32 v80, v50
	v_cvt_f32_f16_sdwa v81, v50 dst_sel:DWORD dst_unused:UNUSED_PAD src0_sel:WORD_1
	;; [unrolled: 2-line block ×8, first 2 shown]
	ds_read_u16 v38, v72 offset:144
	ds_read_u16 v40, v72
	ds_read_u16 v43, v72 offset:32
	ds_read_u16 v46, v72 offset:176
	;; [unrolled: 1-line block ×6, first 2 shown]
	ds_read_u16 v44, v73
	ds_read_u16 v86, v73 offset:32
	ds_read_u16 v50, v73 offset:4608
	;; [unrolled: 1-line block ×7, first 2 shown]
	ds_read_u16 v45, v74
	ds_read_u16 v87, v74 offset:32
	ds_read_u16 v51, v74 offset:4608
	;; [unrolled: 1-line block ×15, first 2 shown]
	s_waitcnt lgkmcnt(14)
	v_perm_b32 v45, v45, v44, s35
	v_perm_b32 v44, v38, v40, s35
	s_waitcnt lgkmcnt(13)
	v_perm_b32 v51, v51, v50, s35
	s_waitcnt lgkmcnt(6)
	v_perm_b32 v50, v115, v95, s35
	v_perm_b32 v87, v87, v86, s35
	;; [unrolled: 1-line block ×4, first 2 shown]
	v_mfma_f32_16x16x16_f16 v[78:81], v[44:45], v[104:105], v[78:81]
	v_perm_b32 v45, v109, v93, s35
	v_perm_b32 v44, v89, v88, s35
	;; [unrolled: 1-line block ×4, first 2 shown]
	v_mfma_f32_16x16x16_f16 v[82:85], v[86:87], v[104:105], v[82:85]
	s_nop 2
	v_cvt_f16_f32_e32 v38, v78
	v_cvt_f16_f32_e32 v40, v79
	;; [unrolled: 1-line block ×3, first 2 shown]
	v_mfma_f32_16x16x16_f16 v[86:89], v[44:45], v[104:105], v[96:99]
	v_cvt_f16_f32_e32 v46, v81
	v_cvt_f16_f32_e32 v82, v82
	;; [unrolled: 1-line block ×3, first 2 shown]
	v_mfma_f32_16x16x16_f16 v[90:93], v[90:91], v[104:105], v[100:103]
	v_cvt_f16_f32_e32 v84, v84
	v_cvt_f16_f32_e32 v85, v85
	s_nop 1
	v_cvt_f16_f32_e32 v86, v86
	v_cvt_f16_f32_e32 v87, v87
	;; [unrolled: 1-line block ×8, first 2 shown]
	s_waitcnt lgkmcnt(4)
	v_perm_b32 v94, v117, v116, s35
	v_perm_b32 v109, v112, v108, s35
	s_waitcnt lgkmcnt(2)
	v_perm_b32 v108, v119, v118, s35
	v_perm_b32 v45, v113, v110, s35
	s_waitcnt lgkmcnt(0)
	v_perm_b32 v44, v120, v121, s35
	v_cvt_f32_f16_e32 v78, v38
	v_cvt_f32_f16_e32 v79, v40
	;; [unrolled: 1-line block ×16, first 2 shown]
	v_mfma_f32_16x16x16_f16 v[78:81], v[50:51], v[106:107], v[78:81]
	s_barrier
	v_mfma_f32_16x16x16_f16 v[82:85], v[94:95], v[106:107], v[82:85]
	v_mfma_f32_16x16x16_f16 v[86:89], v[108:109], v[106:107], v[86:89]
	s_nop 4
	v_cvt_pk_f16_f32 v51, v78, v79
	v_cvt_pk_f16_f32 v50, v80, v81
	;; [unrolled: 1-line block ×3, first 2 shown]
	v_mfma_f32_16x16x16_f16 v[90:93], v[44:45], v[106:107], v[90:93]
	v_cvt_pk_f16_f32 v45, v84, v85
	v_cvt_pk_f16_f32 v44, v86, v87
	;; [unrolled: 1-line block ×3, first 2 shown]
	s_nop 4
	v_cvt_pk_f16_f32 v40, v90, v91
	v_cvt_pk_f16_f32 v38, v92, v93
	s_cbranch_vccnz .LBB0_187
; %bb.188:
	v_mov_b64_e32 v[24:25], s[30:31]
	v_mov_b64_e32 v[26:27], s[26:27]
.LBB0_189:
	s_lshl_b32 s0, s97, 6
	s_ashr_i32 s1, s0, 31
	s_lshl_b64 s[2:3], s[0:1], 1
	s_add_u32 s2, s24, s2
	s_addc_u32 s3, s25, s3
	v_lshl_add_u64 v[16:17], v[16:17], 1, s[2:3]
	v_lshl_add_u64 v[16:17], v[12:13], 1, v[16:17]
	global_load_dword v13, v[16:17], off
	v_mul_lo_u32 v16, v26, s1
	v_mul_hi_u32 v17, v26, s0
	v_add_u32_e32 v16, v17, v16
	v_mul_lo_u32 v17, v27, s0
	v_add_u32_e32 v17, v16, v17
	v_mul_lo_u32 v16, v26, s0
	v_lshlrev_b64 v[16:17], 2, v[16:17]
	v_lshl_add_u64 v[26:27], s[22:23], 0, v[16:17]
	v_lshl_add_u64 v[20:21], v[20:21], 2, v[26:27]
	v_lshlrev_b64 v[16:17], 2, v[14:15]
	v_lshl_add_u64 v[64:65], v[20:21], 0, v[16:17]
	v_lshl_add_u64 v[20:21], v[22:23], 2, v[26:27]
	;; [unrolled: 1-line block ×3, first 2 shown]
	global_load_dwordx4 v[20:23], v[64:65], off
	global_load_dwordx4 v[68:71], v[26:27], off
	v_lshlrev_b32_e32 v12, 1, v12
	v_add_u32_e32 v15, 0, v47
	v_lshlrev_b32_e32 v14, 2, v14
	v_add3_u32 v12, 0, v62, v12
	v_add3_u32 v47, v15, v31, v59
	;; [unrolled: 1-line block ×4, first 2 shown]
	v_add_u32_e32 v53, 0x1000, v47
	v_add_u32_e32 v56, 0, v58
	v_lshlrev_b32_e32 v62, 2, v60
	s_movk_i32 s2, 0x2400
	v_cmp_lt_i32_e32 vcc, v57, v49
	v_lshl_add_u32 v64, v55, 2, v56
	s_mov_b32 s4, 0x3fb8aa3b
	s_mov_b32 s3, 0x42b17218
	s_waitcnt vmcnt(2)
	ds_write_b32 v12, v13 offset:9216
	s_waitcnt vmcnt(1)
	ds_write_b128 v26, v[20:23]
	s_waitcnt vmcnt(0)
	ds_write_b128 v27, v[68:71]
	s_waitcnt lgkmcnt(0)
	s_barrier
	ds_read2_b64 v[12:15], v47 offset1:4
	ds_read2_b64 v[20:23], v53 offset0:64 offset1:68
	s_waitcnt lgkmcnt(1)
	v_mfma_f32_16x16x16_f16 v[58:61], v[12:13], v[4:5], 0
	v_cndmask_b32_e32 v12, v48, v57, vcc
	v_add3_u32 v13, v56, v62, s2
	v_lshl_add_u32 v62, v54, 2, v56
	ds_read2_b64 v[54:57], v47 offset0:8 offset1:12
	ds_read2_b64 v[72:75], v53 offset0:72 offset1:76
	s_waitcnt lgkmcnt(2)
	v_mfma_f32_16x16x16_f16 v[68:71], v[20:21], v[4:5], 0
	s_waitcnt lgkmcnt(0)
	s_barrier
	v_mfma_f32_16x16x16_f16 v[58:61], v[14:15], v[6:7], v[58:61]
	ds_read2_b32 v[14:15], v13 offset1:1
	ds_read_b32 v13, v62 offset:9216
	ds_read_b32 v47, v64 offset:9216
	v_lshlrev_b32_e32 v12, 2, v12
	v_mfma_f32_16x16x16_f16 v[4:7], v[22:23], v[6:7], v[68:71]
	v_cmp_lt_i32_e32 vcc, v52, v49
	s_waitcnt lgkmcnt(2)
	v_cvt_f32_f16_e32 v53, v14
	v_cvt_f32_f16_sdwa v14, v14 dst_sel:DWORD dst_unused:UNUSED_PAD src0_sel:WORD_1
	v_mfma_f32_16x16x16_f16 v[20:23], v[54:55], v[0:1], v[58:61]
	v_cvt_f32_f16_e32 v54, v15
	v_cvt_f32_f16_sdwa v15, v15 dst_sel:DWORD dst_unused:UNUSED_PAD src0_sel:WORD_1
	s_waitcnt lgkmcnt(1)
	v_cvt_f32_f16_e32 v55, v13
	v_mfma_f32_16x16x16_f16 v[4:7], v[72:73], v[0:1], v[4:7]
	v_cvt_f32_f16_sdwa v13, v13 dst_sel:DWORD dst_unused:UNUSED_PAD src0_sel:WORD_1
	s_mov_b32 s2, 0xc2ce8ed0
	v_mfma_f32_16x16x16_f16 v[20:23], v[56:57], v[2:3], v[20:23]
	s_waitcnt lgkmcnt(0)
	v_cvt_f32_f16_e32 v56, v47
	v_cvt_f32_f16_sdwa v47, v47 dst_sel:DWORD dst_unused:UNUSED_PAD src0_sel:WORD_1
	v_mfma_f32_16x16x16_f16 v[0:3], v[74:75], v[2:3], v[4:7]
	s_nop 3
	v_add_f32_e32 v4, v20, v53
	v_add_f32_e32 v5, v21, v14
	;; [unrolled: 1-line block ×12, first 2 shown]
	v_max3_f32 v1, v67, v1, v2
	v_add_f32_e32 v21, 0x40051340, v0
	v_add_f32_e32 v22, 0x40051340, v13
	v_max3_f32 v1, v1, v3, v20
	v_add_f32_e32 v23, 0x40051340, v14
	v_add_f32_e32 v47, 0x40051340, v15
	v_max3_f32 v1, v1, v21, v22
	v_max3_f32 v1, v1, v23, v47
	ds_bpermute_b32 v2, v12, v1
	v_cndmask_b32_e32 v3, v48, v52, vcc
	v_lshlrev_b32_e32 v21, 2, v3
	v_mov_b32_e32 v22, 0x7f800000
	s_waitcnt lgkmcnt(0)
	v_max_f32_e32 v2, v2, v2
	v_max_f32_e32 v1, v1, v2
	ds_bpermute_b32 v2, v21, v1
	s_waitcnt lgkmcnt(0)
	v_max_f32_e32 v2, v2, v2
	v_max_f32_e32 v20, v1, v2
	v_sub_f32_e32 v1, v4, v20
	v_sub_f32_e32 v2, v5, v20
	v_mul_f32_e32 v4, 0x3fb8aa3b, v1
	v_mul_f32_e32 v5, 0x3fb8aa3b, v2
	v_fma_f32 v47, v1, s4, -v4
	v_rndne_f32_e32 v48, v4
	v_fma_f32 v49, v2, s4, -v5
	v_rndne_f32_e32 v52, v5
	v_fmac_f32_e32 v47, 0x32a5705f, v1
	v_sub_f32_e32 v4, v4, v48
	v_fmac_f32_e32 v49, 0x32a5705f, v2
	v_sub_f32_e32 v5, v5, v52
	v_add_f32_e32 v4, v4, v47
	v_cvt_i32_f32_e32 v48, v48
	v_add_f32_e32 v5, v5, v49
	v_exp_f32_e32 v4, v4
	v_cvt_i32_f32_e32 v52, v52
	v_exp_f32_e32 v5, v5
	v_sub_f32_e32 v23, v7, v20
	v_ldexp_f32 v4, v4, v48
	v_cmp_ngt_f32_e32 vcc, s2, v1
	v_mul_f32_e32 v7, 0x3fb8aa3b, v23
	v_ldexp_f32 v5, v5, v52
	v_cndmask_b32_e32 v4, 0, v4, vcc
	v_cmp_ngt_f32_e32 vcc, s2, v2
	v_fma_f32 v47, v23, s4, -v7
	v_fmac_f32_e32 v47, 0x32a5705f, v23
	v_cndmask_b32_e32 v5, 0, v5, vcc
	v_cmp_nlt_f32_e32 vcc, s3, v1
	v_rndne_f32_e32 v1, v7
	v_sub_f32_e32 v3, v6, v20
	v_cndmask_b32_e32 v48, v22, v4, vcc
	v_cmp_nlt_f32_e32 vcc, s3, v2
	v_sub_f32_e32 v2, v7, v1
	v_add_f32_e32 v2, v2, v47
	v_mul_f32_e32 v6, 0x3fb8aa3b, v3
	v_exp_f32_e32 v2, v2
	v_cvt_i32_f32_e32 v1, v1
	v_fma_f32 v53, v3, s4, -v6
	v_rndne_f32_e32 v54, v6
	v_fmac_f32_e32 v53, 0x32a5705f, v3
	v_sub_f32_e32 v6, v6, v54
	v_add_f32_e32 v6, v6, v53
	v_cvt_i32_f32_e32 v54, v54
	v_exp_f32_e32 v6, v6
	v_ldexp_f32 v52, v2, v1
	v_sub_f32_e32 v53, v0, v20
	v_mul_lo_u32 v0, v24, s1
	v_mul_hi_u32 v1, v24, s0
	v_add_u32_e32 v0, v1, v0
	v_mul_lo_u32 v1, v25, s0
	v_add_u32_e32 v1, v0, v1
	v_mul_lo_u32 v0, v24, s0
	v_lshlrev_b64 v[0:1], 2, v[0:1]
	v_ldexp_f32 v6, v6, v54
	v_cndmask_b32_e32 v49, v22, v5, vcc
	v_cmp_ngt_f32_e32 vcc, s2, v3
	v_lshl_add_u64 v[0:1], s[20:21], 0, v[0:1]
	v_mul_f32_e32 v54, 0x3fb8aa3b, v53
	v_cndmask_b32_e32 v4, 0, v6, vcc
	v_cmp_nlt_f32_e32 vcc, s3, v3
	v_lshl_add_u64 v[2:3], v[8:9], 2, v[0:1]
	v_lshl_add_u64 v[8:9], v[2:3], 0, v[16:17]
	;; [unrolled: 1-line block ×3, first 2 shown]
	v_cndmask_b32_e32 v47, v22, v4, vcc
	v_lshl_add_u64 v[10:11], v[0:1], 0, v[16:17]
	global_load_dwordx4 v[0:3], v[8:9], off
	global_load_dwordx4 v[4:7], v[10:11], off
	v_fma_f32 v55, v53, s4, -v54
	v_rndne_f32_e32 v8, v54
	v_fmac_f32_e32 v55, 0x32a5705f, v53
	v_sub_f32_e32 v9, v54, v8
	v_add_f32_e32 v9, v9, v55
	v_exp_f32_e32 v9, v9
	v_cvt_i32_f32_e32 v8, v8
	v_cmp_ngt_f32_e32 vcc, s2, v23
	s_mov_b32 s0, 0xc1a00000
	s_waitcnt vmcnt(1)
	ds_write_b128 v26, v[0:3]
	s_waitcnt vmcnt(0)
	ds_write_b128 v27, v[4:7]
	v_cndmask_b32_e32 v10, 0, v52, vcc
	v_cmp_nlt_f32_e32 vcc, s3, v23
	v_ldexp_f32 v8, v9, v8
	v_sub_f32_e32 v9, v13, v20
	v_cndmask_b32_e32 v16, v22, v10, vcc
	v_mul_f32_e32 v10, 0x3fb8aa3b, v9
	v_fma_f32 v11, v9, s4, -v10
	v_rndne_f32_e32 v13, v10
	v_fmac_f32_e32 v11, 0x32a5705f, v9
	v_sub_f32_e32 v10, v10, v13
	v_add_f32_e32 v10, v10, v11
	v_exp_f32_e32 v10, v10
	v_cvt_i32_f32_e32 v11, v13
	v_cmp_ngt_f32_e32 vcc, s2, v53
	v_add_u32_e32 v0, 0, v42
	v_add3_u32 v4, v0, v35, v34
	v_cndmask_b32_e32 v8, 0, v8, vcc
	v_cmp_nlt_f32_e32 vcc, s3, v53
	s_waitcnt lgkmcnt(0)
	s_barrier
	v_cndmask_b32_e32 v13, v22, v8, vcc
	v_ldexp_f32 v8, v10, v11
	v_sub_f32_e32 v10, v14, v20
	v_mul_f32_e32 v11, 0x3fb8aa3b, v10
	v_fma_f32 v14, v10, s4, -v11
	v_rndne_f32_e32 v17, v11
	v_fmac_f32_e32 v14, 0x32a5705f, v10
	v_sub_f32_e32 v11, v11, v17
	v_add_f32_e32 v11, v11, v14
	v_exp_f32_e32 v11, v11
	v_cvt_i32_f32_e32 v14, v17
	v_cmp_ngt_f32_e32 vcc, s2, v9
	v_add3_u32 v3, v0, v33, v34
	s_nop 0
	v_cndmask_b32_e32 v8, 0, v8, vcc
	v_cmp_nlt_f32_e32 vcc, s3, v9
	v_sub_f32_e32 v9, v15, v20
	v_add3_u32 v5, v0, v36, v34
	v_cndmask_b32_e32 v17, v22, v8, vcc
	v_ldexp_f32 v8, v11, v14
	v_mul_f32_e32 v11, 0x3fb8aa3b, v9
	v_fma_f32 v14, v9, s4, -v11
	v_rndne_f32_e32 v15, v11
	v_fmac_f32_e32 v14, 0x32a5705f, v9
	v_sub_f32_e32 v11, v11, v15
	v_add_f32_e32 v11, v11, v14
	v_cvt_i32_f32_e32 v14, v15
	v_sub_f32_e32 v15, v67, v20
	v_mul_f32_e32 v23, 0x3fb8aa3b, v15
	v_fma_f32 v24, v15, s4, -v23
	v_rndne_f32_e32 v25, v23
	v_fmac_f32_e32 v24, 0x32a5705f, v15
	v_sub_f32_e32 v23, v23, v25
	v_add_f32_e32 v23, v23, v24
	v_exp_f32_e32 v23, v23
	v_cvt_i32_f32_e32 v24, v25
	v_cmp_ngt_f32_e32 vcc, s2, v10
	v_exp_f32_e32 v11, v11
	s_nop 0
	v_cndmask_b32_e32 v8, 0, v8, vcc
	v_cmp_nlt_f32_e32 vcc, s3, v10
	v_ldexp_f32 v10, v23, v24
	v_cvt_pk_f16_f32 v23, v47, v16
	v_cndmask_b32_e32 v52, v22, v8, vcc
	v_cmp_ngt_f32_e32 vcc, s2, v15
	v_ldexp_f32 v8, v11, v14
	s_nop 0
	v_cndmask_b32_e32 v10, 0, v10, vcc
	v_cmp_nlt_f32_e32 vcc, s3, v15
	s_nop 1
	v_cndmask_b32_e32 v10, v22, v10, vcc
	v_cmp_le_f32_e32 vcc, s0, v15
	s_mov_b32 s0, 0x5040100
	s_nop 0
	v_cndmask_b32_e32 v53, 0, v10, vcc
	v_cvt_f16_f32_e32 v10, v53
	v_cmp_ngt_f32_e32 vcc, s2, v9
	v_mul_u32_u24_e32 v55, 0x10001, v10
	s_nop 0
	v_cndmask_b32_e32 v8, 0, v8, vcc
	v_cmp_nlt_f32_e32 vcc, s3, v9
	v_pk_mul_f16 v9, v50, v55
	v_pk_mul_f16 v45, v45, v55
	v_cndmask_b32_e32 v54, v22, v8, vcc
	v_pk_mul_f16 v8, v51, v55
	v_cvt_f32_f16_e32 v2, v9
	v_cvt_f32_f16_e32 v0, v8
	v_cvt_f32_f16_sdwa v1, v8 dst_sel:DWORD dst_unused:UNUSED_PAD src0_sel:WORD_1
	ds_read_u16 v6, v4
	ds_read_u16 v7, v4 offset:32
	ds_read_u16 v8, v5
	ds_read_u16 v10, v5 offset:32
	ds_read_u16 v11, v4 offset:64
	;; [unrolled: 1-line block ×5, first 2 shown]
	s_waitcnt lgkmcnt(5)
	v_perm_b32 v5, v8, v6, s0
	ds_read_u16 v4, v3 offset:144
	ds_read_u16 v6, v3
	ds_read_u16 v8, v3 offset:32
	ds_read_u16 v15, v3 offset:176
	;; [unrolled: 1-line block ×6, first 2 shown]
	s_waitcnt lgkmcnt(6)
	v_perm_b32 v4, v4, v6, s0
	v_cvt_f32_f16_sdwa v3, v9 dst_sel:DWORD dst_unused:UNUSED_PAD src0_sel:WORD_1
	v_cvt_pk_f16_f32 v22, v48, v49
	v_pk_mul_f16 v6, v46, v55
	s_waitcnt lgkmcnt(4)
	v_perm_b32 v8, v15, v8, s0
	v_mfma_f32_16x16x16_f16 v[0:3], v[4:5], v[22:23], v[0:3]
	v_add_u32_e32 v4, 0, v37
	v_add3_u32 v5, v4, v35, v34
	v_add3_u32 v9, v4, v33, v34
	;; [unrolled: 1-line block ×3, first 2 shown]
	ds_read_u16 v24, v5
	ds_read_u16 v33, v5 offset:32
	ds_read_u16 v25, v4
	ds_read_u16 v34, v4 offset:32
	ds_read_u16 v35, v5 offset:64
	;; [unrolled: 1-line block ×5, first 2 shown]
	v_cvt_f16_f32_e32 v0, v0
	v_cvt_f16_f32_e32 v1, v1
	;; [unrolled: 1-line block ×4, first 2 shown]
	s_waitcnt lgkmcnt(5)
	v_perm_b32 v5, v25, v24, s0
	ds_read_u16 v4, v9 offset:144
	ds_read_u16 v24, v9
	ds_read_u16 v57, v9 offset:32
	ds_read_u16 v58, v9 offset:176
	;; [unrolled: 1-line block ×6, first 2 shown]
	s_waitcnt lgkmcnt(6)
	v_perm_b32 v4, v4, v24, s0
	v_cvt_f32_f16_e32 v0, v0
	v_cvt_f32_f16_e32 v1, v1
	;; [unrolled: 1-line block ×4, first 2 shown]
	v_cvt_pk_f16_f32 v25, v52, v54
	v_cvt_pk_f16_f32 v24, v13, v17
	v_perm_b32 v9, v10, v7, s0
	v_cvt_f32_f16_sdwa v7, v45 dst_sel:DWORD dst_unused:UNUSED_PAD src0_sel:WORD_1
	v_mfma_f32_16x16x16_f16 v[0:3], v[4:5], v[24:25], v[0:3]
	v_cvt_f32_f16_e32 v4, v6
	v_cvt_f32_f16_sdwa v5, v6 dst_sel:DWORD dst_unused:UNUSED_PAD src0_sel:WORD_1
	v_cvt_f32_f16_e32 v6, v45
	v_pk_mul_f16 v10, v44, v55
	v_perm_b32 v15, v14, v11, s0
	v_mfma_f32_16x16x16_f16 v[4:7], v[8:9], v[22:23], v[4:7]
	v_perm_b32 v9, v34, v33, s0
	s_waitcnt lgkmcnt(4)
	v_perm_b32 v8, v58, v57, s0
	v_pk_mul_f16 v34, v43, v55
	v_perm_b32 v14, v50, v42, s0
	s_nop 2
	v_cvt_f16_f32_e32 v4, v4
	v_cvt_f16_f32_e32 v5, v5
	;; [unrolled: 1-line block ×4, first 2 shown]
	v_cvt_f32_f16_e32 v4, v4
	v_cvt_f32_f16_e32 v5, v5
	;; [unrolled: 1-line block ×4, first 2 shown]
	v_cvt_f32_f16_sdwa v11, v34 dst_sel:DWORD dst_unused:UNUSED_PAD src0_sel:WORD_1
	v_add_f32_e32 v33, v48, v49
	v_mfma_f32_16x16x16_f16 v[4:7], v[8:9], v[24:25], v[4:7]
	v_cvt_f32_f16_e32 v8, v10
	v_cvt_f32_f16_sdwa v9, v10 dst_sel:DWORD dst_unused:UNUSED_PAD src0_sel:WORD_1
	v_cvt_f32_f16_e32 v10, v34
	v_add_f32_e32 v33, v47, v33
	v_add_f32_e32 v16, v16, v33
	v_mfma_f32_16x16x16_f16 v[8:11], v[14:15], v[22:23], v[8:11]
	v_perm_b32 v15, v36, v35, s0
	s_waitcnt lgkmcnt(2)
	v_perm_b32 v14, v60, v59, s0
	v_add_f32_e32 v13, v13, v16
	v_add_f32_e32 v13, v17, v13
	s_nop 2
	v_cvt_f16_f32_e32 v8, v8
	v_cvt_f16_f32_e32 v9, v9
	;; [unrolled: 1-line block ×4, first 2 shown]
	v_cvt_f32_f16_e32 v8, v8
	v_cvt_f32_f16_e32 v9, v9
	;; [unrolled: 1-line block ×4, first 2 shown]
	v_pk_mul_f16 v16, v40, v55
	v_pk_mul_f16 v17, v38, v55
	v_perm_b32 v27, v26, v27, s0
	v_perm_b32 v26, v51, v56, s0
	v_mfma_f32_16x16x16_f16 v[8:11], v[14:15], v[24:25], v[8:11]
	v_cvt_f32_f16_e32 v14, v16
	v_cvt_f32_f16_sdwa v15, v16 dst_sel:DWORD dst_unused:UNUSED_PAD src0_sel:WORD_1
	v_cvt_f32_f16_e32 v16, v17
	v_cvt_f32_f16_sdwa v17, v17 dst_sel:DWORD dst_unused:UNUSED_PAD src0_sel:WORD_1
	v_add_f32_e32 v13, v52, v13
	v_add_f32_e32 v33, v54, v13
	v_mfma_f32_16x16x16_f16 v[14:17], v[26:27], v[22:23], v[14:17]
	v_fmac_f32_e32 v33, v63, v53
	v_perm_b32 v23, v37, v46, s0
	s_waitcnt lgkmcnt(0)
	v_perm_b32 v22, v61, v62, s0
	ds_bpermute_b32 v26, v12, v33
	s_nop 2
	v_cvt_f16_f32_e32 v13, v14
	v_cvt_f16_f32_e32 v15, v15
	;; [unrolled: 1-line block ×4, first 2 shown]
	v_cvt_f32_f16_e32 v14, v13
	v_cvt_f32_f16_e32 v15, v15
	v_cvt_f32_f16_e32 v16, v16
	v_cvt_f32_f16_e32 v17, v17
	v_cmp_gt_u32_e64 s[0:1], 16, v29
	s_waitcnt lgkmcnt(0)
	v_mfma_f32_16x16x16_f16 v[12:15], v[22:23], v[24:25], v[14:17]
	s_barrier
	s_nop 1
	v_add_f32_e32 v16, v33, v26
	ds_bpermute_b32 v17, v21, v16
	s_and_saveexec_b64 s[4:5], s[0:1]
	s_cbranch_execz .LBB0_191
; %bb.190:
	s_waitcnt lgkmcnt(0)
	v_add_f32_e32 v16, v16, v17
	v_or_b32_e32 v17, v32, v29
	s_movk_i32 s2, 0x90
	v_mad_i32_i24 v17, v17, s2, 0
	ds_write2_b32 v17, v20, v16 offset0:32 offset1:33
.LBB0_191:
	s_or_b64 exec, exec, s[4:5]
	v_and_b32_e32 v16, 1, v39
	v_cmp_eq_u32_e32 vcc, 0, v16
	v_cmp_eq_u32_e64 s[4:5], 1, v16
	s_waitcnt lgkmcnt(0)
	s_barrier
	s_and_saveexec_b64 s[2:3], s[4:5]
	s_xor_b64 s[4:5], exec, s[2:3]
	s_cbranch_execz .LBB0_193
; %bb.192:
	s_barrier
                                        ; implicit-def: $vgpr41
                                        ; implicit-def: $vgpr29
                                        ; implicit-def: $vgpr21
.LBB0_193:
	s_andn2_saveexec_b64 s[6:7], s[4:5]
	s_cbranch_execz .LBB0_199
; %bb.194:
	v_add_u32_e32 v17, v32, v18
	s_movk_i32 s2, 0x90
	v_mad_i32_i24 v16, v17, s2, 0
	ds_read_b64 v[22:23], v16 offset:128
	s_mov_b32 s2, 0x3fb8aa3b
	s_mov_b32 s3, 0x42b17218
	s_waitcnt lgkmcnt(0)
	s_barrier
	ds_bpermute_b32 v16, v21, v22
	v_max_f32_e32 v20, v22, v22
	s_waitcnt lgkmcnt(0)
	v_max_f32_e32 v16, v16, v16
	v_max_f32_e32 v16, v20, v16
	v_sub_f32_e32 v20, v22, v16
	v_mul_f32_e32 v22, 0x3fb8aa3b, v20
	v_fma_f32 v24, v20, s2, -v22
	v_rndne_f32_e32 v25, v22
	v_fmamk_f32 v24, v20, 0x32a5705f, v24
	v_sub_f32_e32 v22, v22, v25
	v_add_f32_e32 v22, v22, v24
	v_cvt_i32_f32_e32 v25, v25
	v_exp_f32_e32 v22, v22
	s_mov_b32 s2, 0xc2ce8ed0
	v_cmp_ngt_f32_e64 s[4:5], s2, v20
	v_mov_b32_e32 v24, 0x7f800000
	v_ldexp_f32 v22, v22, v25
	v_cndmask_b32_e64 v22, 0, v22, s[4:5]
	v_cmp_nlt_f32_e64 s[4:5], s3, v20
	s_nop 1
	v_cndmask_b32_e64 v20, v24, v22, s[4:5]
	v_mul_f32_e32 v22, v23, v20
	ds_bpermute_b32 v21, v21, v22
	v_cmp_gt_u32_e64 s[4:5], 32, v29
	s_waitcnt lgkmcnt(0)
	v_fmac_f32_e32 v21, v23, v20
	s_and_saveexec_b64 s[8:9], s[4:5]
; %bb.195:
	v_mul_i32_i24_e32 v17, 0x90, v17
	v_add_u32_e32 v17, 0, v17
	ds_write_b64 v17, v[20:21] offset:128
; %bb.196:
	s_or_b64 exec, exec, s[8:9]
	s_and_saveexec_b64 s[4:5], s[0:1]
	s_cbranch_execz .LBB0_198
; %bb.197:
	s_add_i32 s0, s59, s58
	s_lshl_b32 s0, s0, 5
	s_mov_b32 s1, 0
	s_lshl_b64 s[0:1], s[0:1], 3
	s_add_u32 s0, s50, s0
	v_or_b32_e32 v17, v41, v29
	s_addc_u32 s1, s51, s1
	v_lshlrev_b32_e32 v20, 3, v17
	v_mov_b32_e32 v17, v21
	global_store_dwordx2 v20, v[16:17], s[0:1]
.LBB0_198:
	s_or_b64 exec, exec, s[4:5]
.LBB0_199:
	s_or_b64 exec, exec, s[6:7]
	v_cvt_pk_f16_f32 v2, v2, v3
	v_cvt_pk_f16_f32 v3, v4, v5
	;; [unrolled: 1-line block ×3, first 2 shown]
	v_or_b32_e32 v8, v32, v30
	v_mul_i32_i24_e32 v8, 0x90, v8
	v_cvt_pk_f16_f32 v0, v0, v1
	s_mov_b32 s3, 0
	s_movk_i32 s4, 0x90
	v_add3_u32 v8, 0, v31, v8
	v_cvt_pk_f16_f32 v1, v6, v7
	v_cvt_pk_f16_f32 v4, v10, v11
	;; [unrolled: 1-line block ×4, first 2 shown]
	ds_write2_b32 v8, v0, v2 offset1:1
	ds_write2_b32 v8, v3, v1 offset0:8 offset1:9
	ds_write2_b32 v8, v5, v4 offset0:16 offset1:17
	;; [unrolled: 1-line block ×3, first 2 shown]
	s_waitcnt lgkmcnt(0)
	s_barrier
	s_and_saveexec_b64 s[0:1], vcc
	s_cbranch_execz .LBB0_201
; %bb.200:
	s_lshl_b32 s2, s58, 10
	s_lshl_b64 s[6:7], s[2:3], 3
	s_add_u32 s5, s50, s6
	s_addc_u32 s6, s51, s7
	s_lshl_b32 s2, s59, 6
	s_lshl_b64 s[2:3], s[2:3], 3
	v_add_u32_e32 v6, v19, v39
	s_add_u32 s2, s5, s2
	v_lshlrev_b32_e32 v0, 1, v6
	v_and_b32_e32 v7, 15, v6
	s_movk_i32 s5, 0xfe0
	v_and_or_b32 v2, v0, s5, v7
	v_mad_u32_u24 v0, v2, s4, v28
	ds_read2st64_b32 v[0:1], v0 offset1:9
	v_mad_u32_u24 v2, v2, s4, 0
	v_add_u32_e32 v2, 0x80, v2
	ds_read2st64_b32 v[2:3], v2 offset1:9
	v_add_u32_e32 v10, 4, v6
	s_waitcnt lgkmcnt(1)
	v_cvt_f32_f16_e32 v4, v0
	v_cvt_f32_f16_sdwa v5, v0 dst_sel:DWORD dst_unused:UNUSED_PAD src0_sel:WORD_1
	v_cvt_f32_f16_e32 v0, v1
	v_cvt_f32_f16_sdwa v1, v1 dst_sel:DWORD dst_unused:UNUSED_PAD src0_sel:WORD_1
	s_movk_i32 s5, 0x1fe0
	s_waitcnt lgkmcnt(0)
	v_pk_fma_f32 v[4:5], v[2:3], v[4:5], 0 op_sel_hi:[0,1,0]
	v_mov_b32_e32 v2, v3
	v_pk_fma_f32 v[0:1], v[2:3], v[0:1], v[4:5] op_sel_hi:[0,1,1]
	v_lshlrev_b32_e32 v2, 1, v10
	v_and_b32_e32 v3, 15, v10
	v_and_or_b32 v4, v2, s5, v3
	v_mad_u32_u24 v2, v4, s4, v28
	v_lshlrev_b32_e32 v8, 3, v18
	ds_read2st64_b32 v[2:3], v2 offset1:9
	s_addc_u32 s3, s6, s3
	v_lshl_or_b32 v9, v6, 8, v8
	global_store_dwordx2 v9, v[0:1], s[2:3]
	v_mad_u32_u24 v0, v4, s4, 0
	v_add_u32_e32 v0, 0x80, v0
	ds_read2st64_b32 v[0:1], v0 offset1:9
	s_waitcnt lgkmcnt(1)
	v_cvt_f32_f16_e32 v4, v2
	v_cvt_f32_f16_sdwa v5, v2 dst_sel:DWORD dst_unused:UNUSED_PAD src0_sel:WORD_1
	v_cvt_f32_f16_e32 v2, v3
	v_cvt_f32_f16_sdwa v3, v3 dst_sel:DWORD dst_unused:UNUSED_PAD src0_sel:WORD_1
	v_lshl_or_b32 v9, v10, 8, v8
	s_waitcnt lgkmcnt(0)
	v_pk_fma_f32 v[4:5], v[0:1], v[4:5], 0 op_sel_hi:[0,1,0]
	v_mov_b32_e32 v0, v1
	v_add_u32_e32 v10, 8, v6
	v_pk_fma_f32 v[0:1], v[0:1], v[2:3], v[4:5] op_sel_hi:[0,1,1]
	v_lshlrev_b32_e32 v2, 1, v10
	v_and_b32_e32 v3, 15, v10
	v_and_or_b32 v4, v2, s5, v3
	v_mad_u32_u24 v2, v4, s4, v28
	ds_read2st64_b32 v[2:3], v2 offset1:9
	global_store_dwordx2 v9, v[0:1], s[2:3]
	v_mad_u32_u24 v0, v4, s4, 0
	v_add_u32_e32 v0, 0x80, v0
	ds_read2st64_b32 v[0:1], v0 offset1:9
	s_waitcnt lgkmcnt(1)
	v_cvt_f32_f16_e32 v4, v2
	v_cvt_f32_f16_sdwa v5, v2 dst_sel:DWORD dst_unused:UNUSED_PAD src0_sel:WORD_1
	v_cvt_f32_f16_e32 v2, v3
	v_cvt_f32_f16_sdwa v3, v3 dst_sel:DWORD dst_unused:UNUSED_PAD src0_sel:WORD_1
	v_lshl_or_b32 v9, v10, 8, v8
	s_waitcnt lgkmcnt(0)
	v_pk_fma_f32 v[4:5], v[0:1], v[4:5], 0 op_sel_hi:[0,1,0]
	v_mov_b32_e32 v0, v1
	v_add_u32_e32 v10, 12, v6
	v_pk_fma_f32 v[0:1], v[0:1], v[2:3], v[4:5] op_sel_hi:[0,1,1]
	v_lshlrev_b32_e32 v2, 1, v10
	v_and_b32_e32 v3, 15, v10
	v_and_or_b32 v4, v2, s5, v3
	v_mad_u32_u24 v2, v4, s4, v28
	ds_read2st64_b32 v[2:3], v2 offset1:9
	global_store_dwordx2 v9, v[0:1], s[2:3]
	v_mad_u32_u24 v0, v4, s4, 0
	v_add_u32_e32 v0, 0x80, v0
	ds_read2st64_b32 v[0:1], v0 offset1:9
	s_waitcnt lgkmcnt(1)
	v_cvt_f32_f16_e32 v4, v2
	v_cvt_f32_f16_sdwa v5, v2 dst_sel:DWORD dst_unused:UNUSED_PAD src0_sel:WORD_1
	v_cvt_f32_f16_e32 v2, v3
	v_cvt_f32_f16_sdwa v3, v3 dst_sel:DWORD dst_unused:UNUSED_PAD src0_sel:WORD_1
	v_lshl_or_b32 v9, v10, 8, v8
	s_waitcnt lgkmcnt(0)
	v_pk_fma_f32 v[4:5], v[0:1], v[4:5], 0 op_sel_hi:[0,1,0]
	v_mov_b32_e32 v0, v1
	v_add_u32_e32 v10, 16, v6
	v_pk_fma_f32 v[0:1], v[0:1], v[2:3], v[4:5] op_sel_hi:[0,1,1]
	v_lshlrev_b32_e32 v2, 1, v10
	v_and_or_b32 v4, v2, s5, v7
	v_mad_u32_u24 v2, v4, s4, v28
	ds_read2st64_b32 v[2:3], v2 offset1:9
	global_store_dwordx2 v9, v[0:1], s[2:3]
	v_mad_u32_u24 v0, v4, s4, 0
	v_add_u32_e32 v0, 0x80, v0
	ds_read2st64_b32 v[0:1], v0 offset1:9
	s_waitcnt lgkmcnt(1)
	v_cvt_f32_f16_e32 v4, v2
	v_cvt_f32_f16_sdwa v5, v2 dst_sel:DWORD dst_unused:UNUSED_PAD src0_sel:WORD_1
	v_cvt_f32_f16_e32 v2, v3
	v_cvt_f32_f16_sdwa v3, v3 dst_sel:DWORD dst_unused:UNUSED_PAD src0_sel:WORD_1
	v_add_u32_e32 v9, 20, v6
	s_waitcnt lgkmcnt(0)
	v_pk_fma_f32 v[4:5], v[0:1], v[4:5], 0 op_sel_hi:[0,1,0]
	v_mov_b32_e32 v0, v1
	v_pk_fma_f32 v[0:1], v[0:1], v[2:3], v[4:5] op_sel_hi:[0,1,1]
	v_lshlrev_b32_e32 v2, 1, v9
	v_and_b32_e32 v3, 15, v9
	v_and_or_b32 v4, v2, s5, v3
	v_mad_u32_u24 v2, v4, s4, v28
	ds_read2st64_b32 v[2:3], v2 offset1:9
	v_lshl_or_b32 v7, v10, 8, v8
	global_store_dwordx2 v7, v[0:1], s[2:3]
	v_mad_u32_u24 v0, v4, s4, 0
	v_add_u32_e32 v0, 0x80, v0
	ds_read2st64_b32 v[0:1], v0 offset1:9
	s_waitcnt lgkmcnt(1)
	v_cvt_f32_f16_e32 v4, v2
	v_cvt_f32_f16_sdwa v5, v2 dst_sel:DWORD dst_unused:UNUSED_PAD src0_sel:WORD_1
	v_cvt_f32_f16_e32 v2, v3
	v_cvt_f32_f16_sdwa v3, v3 dst_sel:DWORD dst_unused:UNUSED_PAD src0_sel:WORD_1
	v_lshl_or_b32 v7, v9, 8, v8
	s_waitcnt lgkmcnt(0)
	v_pk_fma_f32 v[4:5], v[0:1], v[4:5], 0 op_sel_hi:[0,1,0]
	v_mov_b32_e32 v0, v1
	v_add_u32_e32 v9, 24, v6
	v_pk_fma_f32 v[0:1], v[0:1], v[2:3], v[4:5] op_sel_hi:[0,1,1]
	v_lshlrev_b32_e32 v2, 1, v9
	v_and_b32_e32 v3, 15, v9
	v_and_or_b32 v4, v2, s5, v3
	v_mad_u32_u24 v2, v4, s4, v28
	ds_read2st64_b32 v[2:3], v2 offset1:9
	global_store_dwordx2 v7, v[0:1], s[2:3]
	v_mad_u32_u24 v0, v4, s4, 0
	v_add_u32_e32 v0, 0x80, v0
	ds_read2st64_b32 v[0:1], v0 offset1:9
	s_waitcnt lgkmcnt(1)
	v_cvt_f32_f16_e32 v4, v2
	v_cvt_f32_f16_sdwa v5, v2 dst_sel:DWORD dst_unused:UNUSED_PAD src0_sel:WORD_1
	v_cvt_f32_f16_e32 v2, v3
	v_cvt_f32_f16_sdwa v3, v3 dst_sel:DWORD dst_unused:UNUSED_PAD src0_sel:WORD_1
	v_add_u32_e32 v6, 28, v6
	s_waitcnt lgkmcnt(0)
	v_pk_fma_f32 v[4:5], v[0:1], v[4:5], 0 op_sel_hi:[0,1,0]
	v_mov_b32_e32 v0, v1
	v_pk_fma_f32 v[0:1], v[0:1], v[2:3], v[4:5] op_sel_hi:[0,1,1]
	v_lshlrev_b32_e32 v2, 1, v6
	v_and_b32_e32 v3, 15, v6
	v_and_or_b32 v4, v2, s5, v3
	v_mad_u32_u24 v2, v4, s4, v28
	ds_read2st64_b32 v[2:3], v2 offset1:9
	v_lshl_or_b32 v7, v9, 8, v8
	global_store_dwordx2 v7, v[0:1], s[2:3]
	v_mad_u32_u24 v0, v4, s4, 0
	v_add_u32_e32 v0, 0x80, v0
	ds_read2st64_b32 v[0:1], v0 offset1:9
	s_waitcnt lgkmcnt(1)
	v_cvt_f32_f16_e32 v4, v2
	v_cvt_f32_f16_sdwa v5, v2 dst_sel:DWORD dst_unused:UNUSED_PAD src0_sel:WORD_1
	v_cvt_f32_f16_e32 v2, v3
	v_cvt_f32_f16_sdwa v3, v3 dst_sel:DWORD dst_unused:UNUSED_PAD src0_sel:WORD_1
	v_lshl_or_b32 v6, v6, 8, v8
	s_waitcnt lgkmcnt(0)
	v_pk_fma_f32 v[4:5], v[0:1], v[4:5], 0 op_sel_hi:[0,1,0]
	v_mov_b32_e32 v0, v1
	v_pk_fma_f32 v[0:1], v[0:1], v[2:3], v[4:5] op_sel_hi:[0,1,1]
	global_store_dwordx2 v6, v[0:1], s[2:3]
.LBB0_201:
	s_or_b64 exec, exec, s[0:1]
	s_barrier
	s_endpgm
	.section	.rodata,"a",@progbits
	.p2align	6, 0x0
	.amdhsa_kernel _ZL18flash_attn_ext_f16ILi64ELi64ELi8ELi4ELb0ELb0EEvPKcS1_S1_S1_S1_PKiPfP15HIP_vector_typeIfLj2EEffffjfiS5_IjLj3EEiiiiiiiiiiiliiliiiiil
		.amdhsa_group_segment_fixed_size 0
		.amdhsa_private_segment_fixed_size 0
		.amdhsa_kernarg_size 464
		.amdhsa_user_sgpr_count 2
		.amdhsa_user_sgpr_dispatch_ptr 0
		.amdhsa_user_sgpr_queue_ptr 0
		.amdhsa_user_sgpr_kernarg_segment_ptr 1
		.amdhsa_user_sgpr_dispatch_id 0
		.amdhsa_user_sgpr_kernarg_preload_length 0
		.amdhsa_user_sgpr_kernarg_preload_offset 0
		.amdhsa_user_sgpr_private_segment_size 0
		.amdhsa_uses_dynamic_stack 0
		.amdhsa_enable_private_segment 0
		.amdhsa_system_sgpr_workgroup_id_x 1
		.amdhsa_system_sgpr_workgroup_id_y 0
		.amdhsa_system_sgpr_workgroup_id_z 0
		.amdhsa_system_sgpr_workgroup_info 0
		.amdhsa_system_vgpr_workitem_id 1
		.amdhsa_next_free_vgpr 159
		.amdhsa_next_free_sgpr 100
		.amdhsa_accum_offset 160
		.amdhsa_reserve_vcc 1
		.amdhsa_float_round_mode_32 0
		.amdhsa_float_round_mode_16_64 0
		.amdhsa_float_denorm_mode_32 3
		.amdhsa_float_denorm_mode_16_64 3
		.amdhsa_dx10_clamp 1
		.amdhsa_ieee_mode 1
		.amdhsa_fp16_overflow 0
		.amdhsa_tg_split 0
		.amdhsa_exception_fp_ieee_invalid_op 0
		.amdhsa_exception_fp_denorm_src 0
		.amdhsa_exception_fp_ieee_div_zero 0
		.amdhsa_exception_fp_ieee_overflow 0
		.amdhsa_exception_fp_ieee_underflow 0
		.amdhsa_exception_fp_ieee_inexact 0
		.amdhsa_exception_int_div_zero 0
	.end_amdhsa_kernel
	.section	.text._ZL18flash_attn_ext_f16ILi64ELi64ELi8ELi4ELb0ELb0EEvPKcS1_S1_S1_S1_PKiPfP15HIP_vector_typeIfLj2EEffffjfiS5_IjLj3EEiiiiiiiiiiiliiliiiiil,"axG",@progbits,_ZL18flash_attn_ext_f16ILi64ELi64ELi8ELi4ELb0ELb0EEvPKcS1_S1_S1_S1_PKiPfP15HIP_vector_typeIfLj2EEffffjfiS5_IjLj3EEiiiiiiiiiiiliiliiiiil,comdat
.Lfunc_end0:
	.size	_ZL18flash_attn_ext_f16ILi64ELi64ELi8ELi4ELb0ELb0EEvPKcS1_S1_S1_S1_PKiPfP15HIP_vector_typeIfLj2EEffffjfiS5_IjLj3EEiiiiiiiiiiiliiliiiiil, .Lfunc_end0-_ZL18flash_attn_ext_f16ILi64ELi64ELi8ELi4ELb0ELb0EEvPKcS1_S1_S1_S1_PKiPfP15HIP_vector_typeIfLj2EEffffjfiS5_IjLj3EEiiiiiiiiiiiliiliiiiil
                                        ; -- End function
	.set _ZL18flash_attn_ext_f16ILi64ELi64ELi8ELi4ELb0ELb0EEvPKcS1_S1_S1_S1_PKiPfP15HIP_vector_typeIfLj2EEffffjfiS5_IjLj3EEiiiiiiiiiiiliiliiiiil.num_vgpr, 159
	.set _ZL18flash_attn_ext_f16ILi64ELi64ELi8ELi4ELb0ELb0EEvPKcS1_S1_S1_S1_PKiPfP15HIP_vector_typeIfLj2EEffffjfiS5_IjLj3EEiiiiiiiiiiiliiliiiiil.num_agpr, 0
	.set _ZL18flash_attn_ext_f16ILi64ELi64ELi8ELi4ELb0ELb0EEvPKcS1_S1_S1_S1_PKiPfP15HIP_vector_typeIfLj2EEffffjfiS5_IjLj3EEiiiiiiiiiiiliiliiiiil.numbered_sgpr, 100
	.set _ZL18flash_attn_ext_f16ILi64ELi64ELi8ELi4ELb0ELb0EEvPKcS1_S1_S1_S1_PKiPfP15HIP_vector_typeIfLj2EEffffjfiS5_IjLj3EEiiiiiiiiiiiliiliiiiil.num_named_barrier, 0
	.set _ZL18flash_attn_ext_f16ILi64ELi64ELi8ELi4ELb0ELb0EEvPKcS1_S1_S1_S1_PKiPfP15HIP_vector_typeIfLj2EEffffjfiS5_IjLj3EEiiiiiiiiiiiliiliiiiil.private_seg_size, 0
	.set _ZL18flash_attn_ext_f16ILi64ELi64ELi8ELi4ELb0ELb0EEvPKcS1_S1_S1_S1_PKiPfP15HIP_vector_typeIfLj2EEffffjfiS5_IjLj3EEiiiiiiiiiiiliiliiiiil.uses_vcc, 1
	.set _ZL18flash_attn_ext_f16ILi64ELi64ELi8ELi4ELb0ELb0EEvPKcS1_S1_S1_S1_PKiPfP15HIP_vector_typeIfLj2EEffffjfiS5_IjLj3EEiiiiiiiiiiiliiliiiiil.uses_flat_scratch, 0
	.set _ZL18flash_attn_ext_f16ILi64ELi64ELi8ELi4ELb0ELb0EEvPKcS1_S1_S1_S1_PKiPfP15HIP_vector_typeIfLj2EEffffjfiS5_IjLj3EEiiiiiiiiiiiliiliiiiil.has_dyn_sized_stack, 0
	.set _ZL18flash_attn_ext_f16ILi64ELi64ELi8ELi4ELb0ELb0EEvPKcS1_S1_S1_S1_PKiPfP15HIP_vector_typeIfLj2EEffffjfiS5_IjLj3EEiiiiiiiiiiiliiliiiiil.has_recursion, 0
	.set _ZL18flash_attn_ext_f16ILi64ELi64ELi8ELi4ELb0ELb0EEvPKcS1_S1_S1_S1_PKiPfP15HIP_vector_typeIfLj2EEffffjfiS5_IjLj3EEiiiiiiiiiiiliiliiiiil.has_indirect_call, 0
	.section	.AMDGPU.csdata,"",@progbits
; Kernel info:
; codeLenInByte = 30032
; TotalNumSgprs: 106
; NumVgprs: 159
; NumAgprs: 0
; TotalNumVgprs: 159
; ScratchSize: 0
; MemoryBound: 0
; FloatMode: 240
; IeeeMode: 1
; LDSByteSize: 0 bytes/workgroup (compile time only)
; SGPRBlocks: 13
; VGPRBlocks: 19
; NumSGPRsForWavesPerEU: 106
; NumVGPRsForWavesPerEU: 159
; AccumOffset: 160
; Occupancy: 3
; WaveLimiterHint : 0
; COMPUTE_PGM_RSRC2:SCRATCH_EN: 0
; COMPUTE_PGM_RSRC2:USER_SGPR: 2
; COMPUTE_PGM_RSRC2:TRAP_HANDLER: 0
; COMPUTE_PGM_RSRC2:TGID_X_EN: 1
; COMPUTE_PGM_RSRC2:TGID_Y_EN: 0
; COMPUTE_PGM_RSRC2:TGID_Z_EN: 0
; COMPUTE_PGM_RSRC2:TIDIG_COMP_CNT: 1
; COMPUTE_PGM_RSRC3_GFX90A:ACCUM_OFFSET: 39
; COMPUTE_PGM_RSRC3_GFX90A:TG_SPLIT: 0
	.text
	.p2align	2                               ; -- Begin function __ockl_printf_append_string_n
	.type	__ockl_printf_append_string_n,@function
__ockl_printf_append_string_n:          ; @__ockl_printf_append_string_n
; %bb.0:
	s_waitcnt vmcnt(0) expcnt(0) lgkmcnt(0)
	s_getpc_b64 s[0:1]
	s_add_u32 s0, s0, __FUNCTION__._ZL18flash_attn_ext_f16ILi64ELi64ELi8ELi4ELb1ELb0EEvPKcS1_S1_S1_S1_PKiPfP15HIP_vector_typeIfLj2EEffffjfiS5_IjLj3EEiiiiiiiiiiiliiliiiiil@rel32@lo+4
	s_addc_u32 s1, s1, __FUNCTION__._ZL18flash_attn_ext_f16ILi64ELi64ELi8ELi4ELb1ELb0EEvPKcS1_S1_S1_S1_PKiPfP15HIP_vector_typeIfLj2EEffffjfiS5_IjLj3EEiiiiiiiiiiiliiliiiiil@rel32@hi+12
	v_mov_b32_e32 v2, v0
	s_mov_b64 s[2:3], 0
	s_cmp_lg_u64 s[0:1], 0
	v_mbcnt_lo_u32_b32 v3, -1, 0
	s_cbranch_scc0 .LBB1_87
; %bb.1:
	s_load_dwordx2 s[4:5], s[8:9], 0x50
	v_and_b32_e32 v0, -3, v2
	s_getpc_b64 s[0:1]
	s_add_u32 s0, s0, __FUNCTION__._ZL18flash_attn_ext_f16ILi64ELi64ELi8ELi4ELb1ELb0EEvPKcS1_S1_S1_S1_PKiPfP15HIP_vector_typeIfLj2EEffffjfiS5_IjLj3EEiiiiiiiiiiiliiliiiiil@rel32@lo+4
	s_addc_u32 s1, s1, __FUNCTION__._ZL18flash_attn_ext_f16ILi64ELi64ELi8ELi4ELb1ELb0EEvPKcS1_S1_S1_S1_PKiPfP15HIP_vector_typeIfLj2EEffffjfiS5_IjLj3EEiiiiiiiiiiiliiliiiiil@rel32@hi+12
	v_and_b32_e32 v26, 2, v2
	s_mov_b32 s16, 0
	v_mov_b32_e32 v29, 0
	v_mbcnt_hi_u32_b32 v30, -1, v3
	v_mov_b64_e32 v[32:33], s[0:1]
	s_movk_i32 s17, 0x1e0
	v_mov_b32_e32 v50, 2
	v_mov_b32_e32 v51, 1
	v_mov_b64_e32 v[6:7], v[0:1]
	s_branch .LBB1_3
.LBB1_2:                                ;   in Loop: Header=BB1_3 Depth=1
	s_or_b64 exec, exec, s[10:11]
	v_sub_co_u32_e32 v4, vcc, v4, v34
	v_lshl_add_u64 v[32:33], v[32:33], 0, v[34:35]
	s_nop 0
	v_subb_co_u32_e32 v5, vcc, v5, v35, vcc
	v_cmp_eq_u64_e32 vcc, 0, v[4:5]
	s_or_b64 s[2:3], vcc, s[2:3]
	s_andn2_b64 exec, exec, s[2:3]
	s_cbranch_execz .LBB1_85
.LBB1_3:                                ; =>This Loop Header: Depth=1
                                        ;     Child Loop BB1_6 Depth 2
                                        ;     Child Loop BB1_14 Depth 2
	;; [unrolled: 1-line block ×11, first 2 shown]
	v_cmp_gt_u64_e32 vcc, 56, v[4:5]
	v_lshl_add_u64 v[12:13], v[32:33], 0, 8
	s_nop 0
	v_cndmask_b32_e32 v35, 0, v5, vcc
	v_cndmask_b32_e32 v34, 56, v4, vcc
	v_cmp_gt_u64_e32 vcc, 8, v[4:5]
	s_and_saveexec_b64 s[0:1], vcc
	s_xor_b64 s[0:1], exec, s[0:1]
	s_cbranch_execz .LBB1_9
; %bb.4:                                ;   in Loop: Header=BB1_3 Depth=1
	v_mov_b64_e32 v[8:9], 0
	v_cmp_ne_u64_e32 vcc, 0, v[4:5]
	s_and_saveexec_b64 s[6:7], vcc
	s_cbranch_execz .LBB1_8
; %bb.5:                                ;   in Loop: Header=BB1_3 Depth=1
	v_lshlrev_b64 v[10:11], 3, v[34:35]
	s_mov_b64 s[10:11], 0
	v_mov_b64_e32 v[8:9], 0
	v_mov_b64_e32 v[12:13], v[32:33]
	s_mov_b64 s[12:13], 0
.LBB1_6:                                ;   Parent Loop BB1_3 Depth=1
                                        ; =>  This Inner Loop Header: Depth=2
	global_load_ubyte v0, v[12:13], off
	v_mov_b32_e32 v15, s16
	v_lshl_add_u64 v[12:13], v[12:13], 0, 1
	s_waitcnt vmcnt(0)
	v_and_b32_e32 v14, 0xffff, v0
	v_lshlrev_b64 v[14:15], s12, v[14:15]
	s_add_u32 s12, s12, 8
	s_addc_u32 s13, s13, 0
	v_cmp_eq_u32_e32 vcc, s12, v10
	v_or_b32_e32 v9, v15, v9
	s_or_b64 s[10:11], vcc, s[10:11]
	v_or_b32_e32 v8, v14, v8
	s_andn2_b64 exec, exec, s[10:11]
	s_cbranch_execnz .LBB1_6
; %bb.7:                                ;   in Loop: Header=BB1_3 Depth=1
	s_or_b64 exec, exec, s[10:11]
.LBB1_8:                                ;   in Loop: Header=BB1_3 Depth=1
	s_or_b64 exec, exec, s[6:7]
	v_mov_b64_e32 v[12:13], v[32:33]
.LBB1_9:                                ;   in Loop: Header=BB1_3 Depth=1
	s_or_saveexec_b64 s[0:1], s[0:1]
	v_mov_b32_e32 v0, 0
	s_xor_b64 exec, exec, s[0:1]
	s_cbranch_execz .LBB1_11
; %bb.10:                               ;   in Loop: Header=BB1_3 Depth=1
	global_load_dwordx2 v[8:9], v[32:33], off
	v_add_u32_e32 v0, -8, v34
.LBB1_11:                               ;   in Loop: Header=BB1_3 Depth=1
	s_or_b64 exec, exec, s[0:1]
	v_cmp_gt_u32_e32 vcc, 8, v0
	v_lshl_add_u64 v[14:15], v[12:13], 0, 8
                                        ; implicit-def: $vgpr10_vgpr11
	s_and_saveexec_b64 s[0:1], vcc
	s_xor_b64 s[0:1], exec, s[0:1]
	s_cbranch_execz .LBB1_17
; %bb.12:                               ;   in Loop: Header=BB1_3 Depth=1
	v_cmp_ne_u32_e32 vcc, 0, v0
	v_mov_b64_e32 v[10:11], 0
	s_and_saveexec_b64 s[6:7], vcc
	s_cbranch_execz .LBB1_16
; %bb.13:                               ;   in Loop: Header=BB1_3 Depth=1
	s_mov_b64 s[10:11], 0
	v_mov_b64_e32 v[10:11], 0
	s_mov_b64 s[12:13], 0
	s_mov_b64 s[14:15], 0
.LBB1_14:                               ;   Parent Loop BB1_3 Depth=1
                                        ; =>  This Inner Loop Header: Depth=2
	v_lshl_add_u64 v[14:15], v[12:13], 0, s[14:15]
	global_load_ubyte v14, v[14:15], off
	s_add_u32 s14, s14, 1
	v_mov_b32_e32 v15, s16
	s_addc_u32 s15, s15, 0
	v_cmp_eq_u32_e32 vcc, s14, v0
	s_waitcnt vmcnt(0)
	v_and_b32_e32 v14, 0xffff, v14
	v_lshlrev_b64 v[14:15], s12, v[14:15]
	s_add_u32 s12, s12, 8
	s_addc_u32 s13, s13, 0
	v_or_b32_e32 v11, v15, v11
	s_or_b64 s[10:11], vcc, s[10:11]
	v_or_b32_e32 v10, v14, v10
	s_andn2_b64 exec, exec, s[10:11]
	s_cbranch_execnz .LBB1_14
; %bb.15:                               ;   in Loop: Header=BB1_3 Depth=1
	s_or_b64 exec, exec, s[10:11]
.LBB1_16:                               ;   in Loop: Header=BB1_3 Depth=1
	s_or_b64 exec, exec, s[6:7]
	v_mov_b64_e32 v[14:15], v[12:13]
                                        ; implicit-def: $vgpr0
.LBB1_17:                               ;   in Loop: Header=BB1_3 Depth=1
	s_or_saveexec_b64 s[0:1], s[0:1]
	v_mov_b32_e32 v18, 0
	s_xor_b64 exec, exec, s[0:1]
	s_cbranch_execz .LBB1_19
; %bb.18:                               ;   in Loop: Header=BB1_3 Depth=1
	global_load_dwordx2 v[10:11], v[12:13], off
	v_add_u32_e32 v18, -8, v0
.LBB1_19:                               ;   in Loop: Header=BB1_3 Depth=1
	s_or_b64 exec, exec, s[0:1]
	v_cmp_gt_u32_e32 vcc, 8, v18
	v_lshl_add_u64 v[16:17], v[14:15], 0, 8
	s_and_saveexec_b64 s[0:1], vcc
	s_xor_b64 s[0:1], exec, s[0:1]
	s_cbranch_execz .LBB1_25
; %bb.20:                               ;   in Loop: Header=BB1_3 Depth=1
	v_cmp_ne_u32_e32 vcc, 0, v18
	v_mov_b64_e32 v[12:13], 0
	s_and_saveexec_b64 s[6:7], vcc
	s_cbranch_execz .LBB1_24
; %bb.21:                               ;   in Loop: Header=BB1_3 Depth=1
	s_mov_b64 s[10:11], 0
	v_mov_b64_e32 v[12:13], 0
	s_mov_b64 s[12:13], 0
	s_mov_b64 s[14:15], 0
.LBB1_22:                               ;   Parent Loop BB1_3 Depth=1
                                        ; =>  This Inner Loop Header: Depth=2
	v_lshl_add_u64 v[16:17], v[14:15], 0, s[14:15]
	global_load_ubyte v0, v[16:17], off
	s_add_u32 s14, s14, 1
	v_mov_b32_e32 v17, s16
	s_addc_u32 s15, s15, 0
	v_cmp_eq_u32_e32 vcc, s14, v18
	s_waitcnt vmcnt(0)
	v_and_b32_e32 v16, 0xffff, v0
	v_lshlrev_b64 v[16:17], s12, v[16:17]
	s_add_u32 s12, s12, 8
	s_addc_u32 s13, s13, 0
	v_or_b32_e32 v13, v17, v13
	s_or_b64 s[10:11], vcc, s[10:11]
	v_or_b32_e32 v12, v16, v12
	s_andn2_b64 exec, exec, s[10:11]
	s_cbranch_execnz .LBB1_22
; %bb.23:                               ;   in Loop: Header=BB1_3 Depth=1
	s_or_b64 exec, exec, s[10:11]
.LBB1_24:                               ;   in Loop: Header=BB1_3 Depth=1
	s_or_b64 exec, exec, s[6:7]
	v_mov_b64_e32 v[16:17], v[14:15]
                                        ; implicit-def: $vgpr18
.LBB1_25:                               ;   in Loop: Header=BB1_3 Depth=1
	s_or_saveexec_b64 s[0:1], s[0:1]
	v_mov_b32_e32 v0, 0
	s_xor_b64 exec, exec, s[0:1]
	s_cbranch_execz .LBB1_27
; %bb.26:                               ;   in Loop: Header=BB1_3 Depth=1
	global_load_dwordx2 v[12:13], v[14:15], off
	v_add_u32_e32 v0, -8, v18
.LBB1_27:                               ;   in Loop: Header=BB1_3 Depth=1
	s_or_b64 exec, exec, s[0:1]
	v_cmp_gt_u32_e32 vcc, 8, v0
	v_lshl_add_u64 v[18:19], v[16:17], 0, 8
                                        ; implicit-def: $vgpr14_vgpr15
	s_and_saveexec_b64 s[0:1], vcc
	s_xor_b64 s[0:1], exec, s[0:1]
	s_cbranch_execz .LBB1_33
; %bb.28:                               ;   in Loop: Header=BB1_3 Depth=1
	v_cmp_ne_u32_e32 vcc, 0, v0
	v_mov_b64_e32 v[14:15], 0
	s_and_saveexec_b64 s[6:7], vcc
	s_cbranch_execz .LBB1_32
; %bb.29:                               ;   in Loop: Header=BB1_3 Depth=1
	s_mov_b64 s[10:11], 0
	v_mov_b64_e32 v[14:15], 0
	s_mov_b64 s[12:13], 0
	s_mov_b64 s[14:15], 0
.LBB1_30:                               ;   Parent Loop BB1_3 Depth=1
                                        ; =>  This Inner Loop Header: Depth=2
	v_lshl_add_u64 v[18:19], v[16:17], 0, s[14:15]
	global_load_ubyte v18, v[18:19], off
	s_add_u32 s14, s14, 1
	v_mov_b32_e32 v19, s16
	s_addc_u32 s15, s15, 0
	v_cmp_eq_u32_e32 vcc, s14, v0
	s_waitcnt vmcnt(0)
	v_and_b32_e32 v18, 0xffff, v18
	v_lshlrev_b64 v[18:19], s12, v[18:19]
	s_add_u32 s12, s12, 8
	s_addc_u32 s13, s13, 0
	v_or_b32_e32 v15, v19, v15
	s_or_b64 s[10:11], vcc, s[10:11]
	v_or_b32_e32 v14, v18, v14
	s_andn2_b64 exec, exec, s[10:11]
	s_cbranch_execnz .LBB1_30
; %bb.31:                               ;   in Loop: Header=BB1_3 Depth=1
	s_or_b64 exec, exec, s[10:11]
.LBB1_32:                               ;   in Loop: Header=BB1_3 Depth=1
	s_or_b64 exec, exec, s[6:7]
	v_mov_b64_e32 v[18:19], v[16:17]
                                        ; implicit-def: $vgpr0
.LBB1_33:                               ;   in Loop: Header=BB1_3 Depth=1
	s_or_saveexec_b64 s[0:1], s[0:1]
	v_mov_b32_e32 v22, 0
	s_xor_b64 exec, exec, s[0:1]
	s_cbranch_execz .LBB1_35
; %bb.34:                               ;   in Loop: Header=BB1_3 Depth=1
	global_load_dwordx2 v[14:15], v[16:17], off
	v_add_u32_e32 v22, -8, v0
.LBB1_35:                               ;   in Loop: Header=BB1_3 Depth=1
	s_or_b64 exec, exec, s[0:1]
	v_cmp_gt_u32_e32 vcc, 8, v22
	v_lshl_add_u64 v[20:21], v[18:19], 0, 8
	s_and_saveexec_b64 s[0:1], vcc
	s_xor_b64 s[0:1], exec, s[0:1]
	s_cbranch_execz .LBB1_41
; %bb.36:                               ;   in Loop: Header=BB1_3 Depth=1
	v_cmp_ne_u32_e32 vcc, 0, v22
	v_mov_b64_e32 v[16:17], 0
	s_and_saveexec_b64 s[6:7], vcc
	s_cbranch_execz .LBB1_40
; %bb.37:                               ;   in Loop: Header=BB1_3 Depth=1
	s_mov_b64 s[10:11], 0
	v_mov_b64_e32 v[16:17], 0
	s_mov_b64 s[12:13], 0
	s_mov_b64 s[14:15], 0
.LBB1_38:                               ;   Parent Loop BB1_3 Depth=1
                                        ; =>  This Inner Loop Header: Depth=2
	v_lshl_add_u64 v[20:21], v[18:19], 0, s[14:15]
	global_load_ubyte v0, v[20:21], off
	s_add_u32 s14, s14, 1
	v_mov_b32_e32 v21, s16
	s_addc_u32 s15, s15, 0
	v_cmp_eq_u32_e32 vcc, s14, v22
	s_waitcnt vmcnt(0)
	v_and_b32_e32 v20, 0xffff, v0
	v_lshlrev_b64 v[20:21], s12, v[20:21]
	s_add_u32 s12, s12, 8
	s_addc_u32 s13, s13, 0
	v_or_b32_e32 v17, v21, v17
	s_or_b64 s[10:11], vcc, s[10:11]
	v_or_b32_e32 v16, v20, v16
	s_andn2_b64 exec, exec, s[10:11]
	s_cbranch_execnz .LBB1_38
; %bb.39:                               ;   in Loop: Header=BB1_3 Depth=1
	s_or_b64 exec, exec, s[10:11]
.LBB1_40:                               ;   in Loop: Header=BB1_3 Depth=1
	s_or_b64 exec, exec, s[6:7]
	v_mov_b64_e32 v[20:21], v[18:19]
                                        ; implicit-def: $vgpr22
.LBB1_41:                               ;   in Loop: Header=BB1_3 Depth=1
	s_or_saveexec_b64 s[0:1], s[0:1]
	v_mov_b32_e32 v0, 0
	s_xor_b64 exec, exec, s[0:1]
	s_cbranch_execz .LBB1_43
; %bb.42:                               ;   in Loop: Header=BB1_3 Depth=1
	global_load_dwordx2 v[16:17], v[18:19], off
	v_add_u32_e32 v0, -8, v22
.LBB1_43:                               ;   in Loop: Header=BB1_3 Depth=1
	s_or_b64 exec, exec, s[0:1]
	v_cmp_gt_u32_e32 vcc, 8, v0
	v_lshl_add_u64 v[22:23], v[20:21], 0, 8
                                        ; implicit-def: $vgpr18_vgpr19
	s_and_saveexec_b64 s[0:1], vcc
	s_xor_b64 s[0:1], exec, s[0:1]
	s_cbranch_execz .LBB1_49
; %bb.44:                               ;   in Loop: Header=BB1_3 Depth=1
	v_cmp_ne_u32_e32 vcc, 0, v0
	v_mov_b64_e32 v[18:19], 0
	s_and_saveexec_b64 s[6:7], vcc
	s_cbranch_execz .LBB1_48
; %bb.45:                               ;   in Loop: Header=BB1_3 Depth=1
	s_mov_b64 s[10:11], 0
	v_mov_b64_e32 v[18:19], 0
	s_mov_b64 s[12:13], 0
	s_mov_b64 s[14:15], 0
.LBB1_46:                               ;   Parent Loop BB1_3 Depth=1
                                        ; =>  This Inner Loop Header: Depth=2
	v_lshl_add_u64 v[22:23], v[20:21], 0, s[14:15]
	global_load_ubyte v22, v[22:23], off
	s_add_u32 s14, s14, 1
	v_mov_b32_e32 v23, s16
	s_addc_u32 s15, s15, 0
	v_cmp_eq_u32_e32 vcc, s14, v0
	s_waitcnt vmcnt(0)
	v_and_b32_e32 v22, 0xffff, v22
	v_lshlrev_b64 v[22:23], s12, v[22:23]
	s_add_u32 s12, s12, 8
	s_addc_u32 s13, s13, 0
	v_or_b32_e32 v19, v23, v19
	s_or_b64 s[10:11], vcc, s[10:11]
	v_or_b32_e32 v18, v22, v18
	s_andn2_b64 exec, exec, s[10:11]
	s_cbranch_execnz .LBB1_46
; %bb.47:                               ;   in Loop: Header=BB1_3 Depth=1
	s_or_b64 exec, exec, s[10:11]
.LBB1_48:                               ;   in Loop: Header=BB1_3 Depth=1
	s_or_b64 exec, exec, s[6:7]
	v_mov_b64_e32 v[22:23], v[20:21]
                                        ; implicit-def: $vgpr0
.LBB1_49:                               ;   in Loop: Header=BB1_3 Depth=1
	s_or_saveexec_b64 s[0:1], s[0:1]
	v_mov_b32_e32 v24, 0
	s_xor_b64 exec, exec, s[0:1]
	s_cbranch_execz .LBB1_51
; %bb.50:                               ;   in Loop: Header=BB1_3 Depth=1
	global_load_dwordx2 v[18:19], v[20:21], off
	v_add_u32_e32 v24, -8, v0
.LBB1_51:                               ;   in Loop: Header=BB1_3 Depth=1
	s_or_b64 exec, exec, s[0:1]
	v_cmp_gt_u32_e32 vcc, 8, v24
	s_and_saveexec_b64 s[0:1], vcc
	s_xor_b64 s[0:1], exec, s[0:1]
	s_cbranch_execz .LBB1_57
; %bb.52:                               ;   in Loop: Header=BB1_3 Depth=1
	v_cmp_ne_u32_e32 vcc, 0, v24
	v_mov_b64_e32 v[20:21], 0
	s_and_saveexec_b64 s[6:7], vcc
	s_cbranch_execz .LBB1_56
; %bb.53:                               ;   in Loop: Header=BB1_3 Depth=1
	s_mov_b64 s[10:11], 0
	v_mov_b64_e32 v[20:21], 0
	s_mov_b64 s[12:13], 0
.LBB1_54:                               ;   Parent Loop BB1_3 Depth=1
                                        ; =>  This Inner Loop Header: Depth=2
	global_load_ubyte v0, v[22:23], off
	v_mov_b32_e32 v37, s16
	v_add_u32_e32 v24, -1, v24
	v_cmp_eq_u32_e32 vcc, 0, v24
	v_lshl_add_u64 v[22:23], v[22:23], 0, 1
	s_waitcnt vmcnt(0)
	v_and_b32_e32 v36, 0xffff, v0
	v_lshlrev_b64 v[36:37], s12, v[36:37]
	s_add_u32 s12, s12, 8
	s_addc_u32 s13, s13, 0
	v_or_b32_e32 v21, v37, v21
	s_or_b64 s[10:11], vcc, s[10:11]
	v_or_b32_e32 v20, v36, v20
	s_andn2_b64 exec, exec, s[10:11]
	s_cbranch_execnz .LBB1_54
; %bb.55:                               ;   in Loop: Header=BB1_3 Depth=1
	s_or_b64 exec, exec, s[10:11]
.LBB1_56:                               ;   in Loop: Header=BB1_3 Depth=1
	s_or_b64 exec, exec, s[6:7]
                                        ; implicit-def: $vgpr22_vgpr23
.LBB1_57:                               ;   in Loop: Header=BB1_3 Depth=1
	s_andn2_saveexec_b64 s[0:1], s[0:1]
	s_cbranch_execz .LBB1_59
; %bb.58:                               ;   in Loop: Header=BB1_3 Depth=1
	global_load_dwordx2 v[20:21], v[22:23], off
.LBB1_59:                               ;   in Loop: Header=BB1_3 Depth=1
	s_or_b64 exec, exec, s[0:1]
	v_readfirstlane_b32 s0, v30
	v_mov_b64_e32 v[36:37], 0
	s_nop 0
	v_cmp_eq_u32_e64 s[0:1], s0, v30
	s_and_saveexec_b64 s[6:7], s[0:1]
	s_cbranch_execz .LBB1_65
; %bb.60:                               ;   in Loop: Header=BB1_3 Depth=1
	s_waitcnt lgkmcnt(0)
	global_load_dwordx2 v[24:25], v29, s[4:5] offset:24 sc0 sc1
	s_waitcnt vmcnt(0)
	buffer_inv sc0 sc1
	global_load_dwordx2 v[22:23], v29, s[4:5] offset:40
	global_load_dwordx2 v[36:37], v29, s[4:5]
	s_waitcnt vmcnt(1)
	v_and_b32_e32 v0, v22, v24
	v_and_b32_e32 v22, v23, v25
	v_mul_lo_u32 v22, v22, 24
	v_mul_hi_u32 v23, v0, 24
	v_add_u32_e32 v23, v23, v22
	v_mul_lo_u32 v22, v0, 24
	s_waitcnt vmcnt(0)
	v_lshl_add_u64 v[22:23], v[36:37], 0, v[22:23]
	global_load_dwordx2 v[22:23], v[22:23], off sc0 sc1
	s_waitcnt vmcnt(0)
	global_atomic_cmpswap_x2 v[36:37], v29, v[22:25], s[4:5] offset:24 sc0 sc1
	s_waitcnt vmcnt(0)
	buffer_inv sc0 sc1
	v_cmp_ne_u64_e32 vcc, v[36:37], v[24:25]
	s_and_saveexec_b64 s[10:11], vcc
	s_cbranch_execz .LBB1_64
; %bb.61:                               ;   in Loop: Header=BB1_3 Depth=1
	s_mov_b64 s[12:13], 0
.LBB1_62:                               ;   Parent Loop BB1_3 Depth=1
                                        ; =>  This Inner Loop Header: Depth=2
	s_sleep 1
	global_load_dwordx2 v[22:23], v29, s[4:5] offset:40
	global_load_dwordx2 v[38:39], v29, s[4:5]
	v_mov_b64_e32 v[24:25], v[36:37]
	s_waitcnt vmcnt(1)
	v_and_b32_e32 v0, v22, v24
	v_and_b32_e32 v27, v23, v25
	s_waitcnt vmcnt(0)
	v_mad_u64_u32 v[22:23], s[14:15], v0, 24, v[38:39]
	v_mov_b32_e32 v0, v23
	v_mad_u64_u32 v[36:37], s[14:15], v27, 24, v[0:1]
	v_mov_b32_e32 v23, v36
	global_load_dwordx2 v[22:23], v[22:23], off sc0 sc1
	s_waitcnt vmcnt(0)
	global_atomic_cmpswap_x2 v[36:37], v29, v[22:25], s[4:5] offset:24 sc0 sc1
	s_waitcnt vmcnt(0)
	buffer_inv sc0 sc1
	v_cmp_eq_u64_e32 vcc, v[36:37], v[24:25]
	s_or_b64 s[12:13], vcc, s[12:13]
	s_andn2_b64 exec, exec, s[12:13]
	s_cbranch_execnz .LBB1_62
; %bb.63:                               ;   in Loop: Header=BB1_3 Depth=1
	s_or_b64 exec, exec, s[12:13]
.LBB1_64:                               ;   in Loop: Header=BB1_3 Depth=1
	s_or_b64 exec, exec, s[10:11]
.LBB1_65:                               ;   in Loop: Header=BB1_3 Depth=1
	s_or_b64 exec, exec, s[6:7]
	s_waitcnt lgkmcnt(0)
	global_load_dwordx2 v[38:39], v29, s[4:5] offset:40
	global_load_dwordx4 v[22:25], v29, s[4:5]
	v_readfirstlane_b32 s7, v37
	v_readfirstlane_b32 s6, v36
	s_mov_b64 s[10:11], exec
	s_waitcnt vmcnt(1)
	v_readfirstlane_b32 s12, v38
	v_readfirstlane_b32 s13, v39
	s_and_b64 s[12:13], s[12:13], s[6:7]
	s_mul_i32 s14, s13, 24
	s_mul_hi_u32 s15, s12, 24
	s_add_i32 s15, s15, s14
	s_mul_i32 s14, s12, 24
	s_waitcnt vmcnt(0)
	v_lshl_add_u64 v[36:37], v[22:23], 0, s[14:15]
	s_and_saveexec_b64 s[14:15], s[0:1]
	s_cbranch_execz .LBB1_67
; %bb.66:                               ;   in Loop: Header=BB1_3 Depth=1
	v_mov_b64_e32 v[48:49], s[10:11]
	global_store_dwordx4 v[36:37], v[48:51], off offset:8
.LBB1_67:                               ;   in Loop: Header=BB1_3 Depth=1
	s_or_b64 exec, exec, s[14:15]
	v_cmp_gt_u64_e32 vcc, 57, v[4:5]
	s_lshl_b64 s[10:11], s[12:13], 12
	v_and_b32_e32 v6, 0xffffff1f, v6
	v_cndmask_b32_e32 v0, 0, v26, vcc
	v_lshl_add_u64 v[24:25], v[24:25], 0, s[10:11]
	v_lshl_add_u32 v27, v34, 2, 28
	v_or_b32_e32 v0, v6, v0
	v_and_or_b32 v6, v27, s17, v0
	v_lshlrev_b32_e32 v28, 6, v30
	v_readfirstlane_b32 s10, v24
	v_readfirstlane_b32 s11, v25
	s_nop 4
	global_store_dwordx4 v28, v[6:9], s[10:11]
	global_store_dwordx4 v28, v[10:13], s[10:11] offset:16
	global_store_dwordx4 v28, v[14:17], s[10:11] offset:32
	;; [unrolled: 1-line block ×3, first 2 shown]
	s_and_saveexec_b64 s[10:11], s[0:1]
	s_cbranch_execz .LBB1_75
; %bb.68:                               ;   in Loop: Header=BB1_3 Depth=1
	global_load_dwordx2 v[14:15], v29, s[4:5] offset:32 sc0 sc1
	global_load_dwordx2 v[6:7], v29, s[4:5] offset:40
	v_mov_b32_e32 v12, s6
	v_mov_b32_e32 v13, s7
	s_waitcnt vmcnt(0)
	v_readfirstlane_b32 s12, v6
	v_readfirstlane_b32 s13, v7
	s_and_b64 s[12:13], s[12:13], s[6:7]
	s_mul_i32 s13, s13, 24
	s_mul_hi_u32 s14, s12, 24
	s_mul_i32 s12, s12, 24
	s_add_i32 s13, s14, s13
	v_lshl_add_u64 v[10:11], v[22:23], 0, s[12:13]
	global_store_dwordx2 v[10:11], v[14:15], off
	buffer_wbl2 sc0 sc1
	s_waitcnt vmcnt(0)
	global_atomic_cmpswap_x2 v[8:9], v29, v[12:15], s[4:5] offset:32 sc0 sc1
	s_waitcnt vmcnt(0)
	v_cmp_ne_u64_e32 vcc, v[8:9], v[14:15]
	s_and_saveexec_b64 s[12:13], vcc
	s_cbranch_execz .LBB1_71
; %bb.69:                               ;   in Loop: Header=BB1_3 Depth=1
	s_mov_b64 s[14:15], 0
.LBB1_70:                               ;   Parent Loop BB1_3 Depth=1
                                        ; =>  This Inner Loop Header: Depth=2
	s_sleep 1
	global_store_dwordx2 v[10:11], v[8:9], off
	v_mov_b32_e32 v6, s6
	v_mov_b32_e32 v7, s7
	buffer_wbl2 sc0 sc1
	s_waitcnt vmcnt(0)
	global_atomic_cmpswap_x2 v[6:7], v29, v[6:9], s[4:5] offset:32 sc0 sc1
	s_waitcnt vmcnt(0)
	v_cmp_eq_u64_e32 vcc, v[6:7], v[8:9]
	s_or_b64 s[14:15], vcc, s[14:15]
	v_mov_b64_e32 v[8:9], v[6:7]
	s_andn2_b64 exec, exec, s[14:15]
	s_cbranch_execnz .LBB1_70
.LBB1_71:                               ;   in Loop: Header=BB1_3 Depth=1
	s_or_b64 exec, exec, s[12:13]
	global_load_dwordx2 v[6:7], v29, s[4:5] offset:16
	s_mov_b64 s[14:15], exec
	v_mbcnt_lo_u32_b32 v0, s14, 0
	v_mbcnt_hi_u32_b32 v0, s15, v0
	v_cmp_eq_u32_e32 vcc, 0, v0
	s_and_saveexec_b64 s[12:13], vcc
	s_cbranch_execz .LBB1_73
; %bb.72:                               ;   in Loop: Header=BB1_3 Depth=1
	s_bcnt1_i32_b64 s14, s[14:15]
	v_mov_b32_e32 v8, s14
	v_mov_b32_e32 v9, v29
	buffer_wbl2 sc0 sc1
	s_waitcnt vmcnt(0)
	global_atomic_add_x2 v[6:7], v[8:9], off offset:8 sc1
.LBB1_73:                               ;   in Loop: Header=BB1_3 Depth=1
	s_or_b64 exec, exec, s[12:13]
	s_waitcnt vmcnt(0)
	global_load_dwordx2 v[8:9], v[6:7], off offset:16
	s_waitcnt vmcnt(0)
	v_cmp_eq_u64_e32 vcc, 0, v[8:9]
	s_cbranch_vccnz .LBB1_75
; %bb.74:                               ;   in Loop: Header=BB1_3 Depth=1
	global_load_dword v6, v[6:7], off offset:24
	v_mov_b32_e32 v7, v29
	s_waitcnt vmcnt(0)
	v_readfirstlane_b32 s12, v6
	s_and_b32 m0, s12, 0xffffff
	buffer_wbl2 sc0 sc1
	global_store_dwordx2 v[8:9], v[6:7], off sc0 sc1
	s_sendmsg sendmsg(MSG_INTERRUPT)
.LBB1_75:                               ;   in Loop: Header=BB1_3 Depth=1
	s_or_b64 exec, exec, s[10:11]
	v_lshl_add_u64 v[6:7], v[24:25], 0, v[28:29]
	s_branch .LBB1_79
.LBB1_76:                               ;   in Loop: Header=BB1_79 Depth=2
	s_or_b64 exec, exec, s[10:11]
	v_readfirstlane_b32 s10, v0
	s_cmp_eq_u32 s10, 0
	s_cbranch_scc1 .LBB1_78
; %bb.77:                               ;   in Loop: Header=BB1_79 Depth=2
	s_sleep 1
	s_cbranch_execnz .LBB1_79
	s_branch .LBB1_81
.LBB1_78:                               ;   in Loop: Header=BB1_3 Depth=1
	s_branch .LBB1_81
.LBB1_79:                               ;   Parent Loop BB1_3 Depth=1
                                        ; =>  This Inner Loop Header: Depth=2
	v_mov_b32_e32 v0, 1
	s_and_saveexec_b64 s[10:11], s[0:1]
	s_cbranch_execz .LBB1_76
; %bb.80:                               ;   in Loop: Header=BB1_79 Depth=2
	global_load_dword v0, v[36:37], off offset:20 sc0 sc1
	s_waitcnt vmcnt(0)
	buffer_inv sc0 sc1
	v_and_b32_e32 v0, 1, v0
	s_branch .LBB1_76
.LBB1_81:                               ;   in Loop: Header=BB1_3 Depth=1
	global_load_dwordx2 v[6:7], v[6:7], off
	s_and_saveexec_b64 s[10:11], s[0:1]
	s_cbranch_execz .LBB1_2
; %bb.82:                               ;   in Loop: Header=BB1_3 Depth=1
	global_load_dwordx2 v[8:9], v29, s[4:5] offset:40
	global_load_dwordx2 v[16:17], v29, s[4:5] offset:24 sc0 sc1
	global_load_dwordx2 v[10:11], v29, s[4:5]
	s_waitcnt vmcnt(2)
	v_readfirstlane_b32 s12, v8
	v_readfirstlane_b32 s13, v9
	s_add_u32 s14, s12, 1
	s_addc_u32 s15, s13, 0
	s_add_u32 s0, s14, s6
	s_addc_u32 s1, s15, s7
	s_cmp_eq_u64 s[0:1], 0
	s_cselect_b32 s1, s15, s1
	s_cselect_b32 s0, s14, s0
	s_and_b64 s[6:7], s[0:1], s[12:13]
	s_mul_i32 s7, s7, 24
	s_mul_hi_u32 s12, s6, 24
	s_mul_i32 s6, s6, 24
	s_add_i32 s7, s12, s7
	s_waitcnt vmcnt(0)
	v_lshl_add_u64 v[12:13], v[10:11], 0, s[6:7]
	v_mov_b32_e32 v14, s0
	global_store_dwordx2 v[12:13], v[16:17], off
	v_mov_b32_e32 v15, s1
	buffer_wbl2 sc0 sc1
	s_waitcnt vmcnt(0)
	global_atomic_cmpswap_x2 v[10:11], v29, v[14:17], s[4:5] offset:24 sc0 sc1
	s_waitcnt vmcnt(0)
	v_cmp_ne_u64_e32 vcc, v[10:11], v[16:17]
	s_and_b64 exec, exec, vcc
	s_cbranch_execz .LBB1_2
; %bb.83:                               ;   in Loop: Header=BB1_3 Depth=1
	s_mov_b64 s[6:7], 0
.LBB1_84:                               ;   Parent Loop BB1_3 Depth=1
                                        ; =>  This Inner Loop Header: Depth=2
	s_sleep 1
	global_store_dwordx2 v[12:13], v[10:11], off
	v_mov_b32_e32 v8, s0
	v_mov_b32_e32 v9, s1
	buffer_wbl2 sc0 sc1
	s_waitcnt vmcnt(0)
	global_atomic_cmpswap_x2 v[8:9], v29, v[8:11], s[4:5] offset:24 sc0 sc1
	s_waitcnt vmcnt(0)
	v_cmp_eq_u64_e32 vcc, v[8:9], v[10:11]
	s_or_b64 s[6:7], vcc, s[6:7]
	v_mov_b64_e32 v[10:11], v[8:9]
	s_andn2_b64 exec, exec, s[6:7]
	s_cbranch_execnz .LBB1_84
	s_branch .LBB1_2
.LBB1_85:
	s_or_b64 exec, exec, s[2:3]
.LBB1_86:
	s_waitcnt vmcnt(0)
	v_mov_b32_e32 v0, v6
	v_mov_b32_e32 v1, v7
	s_waitcnt lgkmcnt(0)
	s_setpc_b64 s[30:31]
.LBB1_87:
                                        ; implicit-def: $vgpr6_vgpr7
	s_cbranch_execz .LBB1_86
; %bb.88:
	s_load_dwordx2 s[2:3], s[8:9], 0x50
	v_mbcnt_hi_u32_b32 v3, -1, v3
	v_mov_b64_e32 v[8:9], 0
	v_readfirstlane_b32 s0, v3
	s_nop 1
	v_cmp_eq_u32_e64 s[0:1], s0, v3
	s_and_saveexec_b64 s[4:5], s[0:1]
	s_cbranch_execz .LBB1_94
; %bb.89:
	v_mov_b32_e32 v0, 0
	s_waitcnt lgkmcnt(0)
	global_load_dwordx2 v[6:7], v0, s[2:3] offset:24 sc0 sc1
	s_waitcnt vmcnt(0)
	buffer_inv sc0 sc1
	global_load_dwordx2 v[4:5], v0, s[2:3] offset:40
	global_load_dwordx2 v[8:9], v0, s[2:3]
	s_waitcnt vmcnt(1)
	v_and_b32_e32 v4, v4, v6
	v_and_b32_e32 v5, v5, v7
	v_mul_lo_u32 v5, v5, 24
	v_mul_hi_u32 v10, v4, 24
	v_add_u32_e32 v5, v10, v5
	v_mul_lo_u32 v4, v4, 24
	s_waitcnt vmcnt(0)
	v_lshl_add_u64 v[4:5], v[8:9], 0, v[4:5]
	global_load_dwordx2 v[4:5], v[4:5], off sc0 sc1
	s_waitcnt vmcnt(0)
	global_atomic_cmpswap_x2 v[8:9], v0, v[4:7], s[2:3] offset:24 sc0 sc1
	s_waitcnt vmcnt(0)
	buffer_inv sc0 sc1
	v_cmp_ne_u64_e32 vcc, v[8:9], v[6:7]
	s_and_saveexec_b64 s[6:7], vcc
	s_cbranch_execz .LBB1_93
; %bb.90:
	s_mov_b64 s[8:9], 0
.LBB1_91:                               ; =>This Inner Loop Header: Depth=1
	s_sleep 1
	global_load_dwordx2 v[4:5], v0, s[2:3] offset:40
	global_load_dwordx2 v[10:11], v0, s[2:3]
	v_mov_b64_e32 v[6:7], v[8:9]
	s_waitcnt vmcnt(1)
	v_and_b32_e32 v4, v4, v6
	v_and_b32_e32 v9, v5, v7
	s_waitcnt vmcnt(0)
	v_mad_u64_u32 v[4:5], s[10:11], v4, 24, v[10:11]
	v_mov_b32_e32 v8, v5
	v_mad_u64_u32 v[8:9], s[10:11], v9, 24, v[8:9]
	v_mov_b32_e32 v5, v8
	global_load_dwordx2 v[4:5], v[4:5], off sc0 sc1
	s_waitcnt vmcnt(0)
	global_atomic_cmpswap_x2 v[8:9], v0, v[4:7], s[2:3] offset:24 sc0 sc1
	s_waitcnt vmcnt(0)
	buffer_inv sc0 sc1
	v_cmp_eq_u64_e32 vcc, v[8:9], v[6:7]
	s_or_b64 s[8:9], vcc, s[8:9]
	s_andn2_b64 exec, exec, s[8:9]
	s_cbranch_execnz .LBB1_91
; %bb.92:
	s_or_b64 exec, exec, s[8:9]
.LBB1_93:
	s_or_b64 exec, exec, s[6:7]
.LBB1_94:
	s_or_b64 exec, exec, s[4:5]
	v_mov_b32_e32 v11, 0
	s_waitcnt lgkmcnt(0)
	global_load_dwordx2 v[12:13], v11, s[2:3] offset:40
	global_load_dwordx4 v[4:7], v11, s[2:3]
	v_readfirstlane_b32 s5, v9
	v_readfirstlane_b32 s4, v8
	s_mov_b64 s[6:7], exec
	s_waitcnt vmcnt(1)
	v_readfirstlane_b32 s8, v12
	v_readfirstlane_b32 s9, v13
	s_and_b64 s[8:9], s[8:9], s[4:5]
	s_mul_i32 s10, s9, 24
	s_mul_hi_u32 s11, s8, 24
	s_add_i32 s11, s11, s10
	s_mul_i32 s10, s8, 24
	s_waitcnt vmcnt(0)
	v_lshl_add_u64 v[8:9], v[4:5], 0, s[10:11]
	s_and_saveexec_b64 s[10:11], s[0:1]
	s_cbranch_execz .LBB1_96
; %bb.95:
	v_mov_b64_e32 v[12:13], s[6:7]
	v_mov_b32_e32 v14, 2
	v_mov_b32_e32 v15, 1
	global_store_dwordx4 v[8:9], v[12:15], off offset:8
.LBB1_96:
	s_or_b64 exec, exec, s[10:11]
	s_lshl_b64 s[6:7], s[8:9], 12
	v_lshl_add_u64 v[6:7], v[6:7], 0, s[6:7]
	s_movk_i32 s6, 0xff1f
	s_mov_b32 s8, 0
	v_and_or_b32 v0, v2, s6, 32
	v_lshlrev_b32_e32 v10, 6, v3
	v_mov_b32_e32 v2, v11
	v_mov_b32_e32 v3, v11
	v_readfirstlane_b32 s6, v6
	v_readfirstlane_b32 s7, v7
	s_mov_b32 s9, s8
	s_mov_b32 s10, s8
	;; [unrolled: 1-line block ×3, first 2 shown]
	s_nop 1
	global_store_dwordx4 v10, v[0:3], s[6:7]
	s_nop 1
	v_mov_b64_e32 v[0:1], s[8:9]
	v_mov_b64_e32 v[2:3], s[10:11]
	global_store_dwordx4 v10, v[0:3], s[6:7] offset:16
	global_store_dwordx4 v10, v[0:3], s[6:7] offset:32
	;; [unrolled: 1-line block ×3, first 2 shown]
	s_and_saveexec_b64 s[6:7], s[0:1]
	s_cbranch_execz .LBB1_104
; %bb.97:
	v_mov_b32_e32 v12, 0
	global_load_dwordx2 v[16:17], v12, s[2:3] offset:32 sc0 sc1
	global_load_dwordx2 v[0:1], v12, s[2:3] offset:40
	v_mov_b32_e32 v14, s4
	v_mov_b32_e32 v15, s5
	s_waitcnt vmcnt(0)
	v_and_b32_e32 v0, s4, v0
	v_and_b32_e32 v1, s5, v1
	v_mul_lo_u32 v1, v1, 24
	v_mul_hi_u32 v2, v0, 24
	v_mul_lo_u32 v0, v0, 24
	v_add_u32_e32 v1, v2, v1
	v_lshl_add_u64 v[4:5], v[4:5], 0, v[0:1]
	global_store_dwordx2 v[4:5], v[16:17], off
	buffer_wbl2 sc0 sc1
	s_waitcnt vmcnt(0)
	global_atomic_cmpswap_x2 v[2:3], v12, v[14:17], s[2:3] offset:32 sc0 sc1
	s_waitcnt vmcnt(0)
	v_cmp_ne_u64_e32 vcc, v[2:3], v[16:17]
	s_and_saveexec_b64 s[8:9], vcc
	s_cbranch_execz .LBB1_100
; %bb.98:
	s_mov_b64 s[10:11], 0
.LBB1_99:                               ; =>This Inner Loop Header: Depth=1
	s_sleep 1
	global_store_dwordx2 v[4:5], v[2:3], off
	v_mov_b32_e32 v0, s4
	v_mov_b32_e32 v1, s5
	buffer_wbl2 sc0 sc1
	s_waitcnt vmcnt(0)
	global_atomic_cmpswap_x2 v[0:1], v12, v[0:3], s[2:3] offset:32 sc0 sc1
	s_waitcnt vmcnt(0)
	v_cmp_eq_u64_e32 vcc, v[0:1], v[2:3]
	s_or_b64 s[10:11], vcc, s[10:11]
	v_mov_b64_e32 v[2:3], v[0:1]
	s_andn2_b64 exec, exec, s[10:11]
	s_cbranch_execnz .LBB1_99
.LBB1_100:
	s_or_b64 exec, exec, s[8:9]
	v_mov_b32_e32 v3, 0
	global_load_dwordx2 v[0:1], v3, s[2:3] offset:16
	s_mov_b64 s[8:9], exec
	v_mbcnt_lo_u32_b32 v2, s8, 0
	v_mbcnt_hi_u32_b32 v2, s9, v2
	v_cmp_eq_u32_e32 vcc, 0, v2
	s_and_saveexec_b64 s[10:11], vcc
	s_cbranch_execz .LBB1_102
; %bb.101:
	s_bcnt1_i32_b64 s8, s[8:9]
	v_mov_b32_e32 v2, s8
	buffer_wbl2 sc0 sc1
	s_waitcnt vmcnt(0)
	global_atomic_add_x2 v[0:1], v[2:3], off offset:8 sc1
.LBB1_102:
	s_or_b64 exec, exec, s[10:11]
	s_waitcnt vmcnt(0)
	global_load_dwordx2 v[2:3], v[0:1], off offset:16
	s_waitcnt vmcnt(0)
	v_cmp_eq_u64_e32 vcc, 0, v[2:3]
	s_cbranch_vccnz .LBB1_104
; %bb.103:
	global_load_dword v0, v[0:1], off offset:24
	v_mov_b32_e32 v1, 0
	s_waitcnt vmcnt(0)
	v_readfirstlane_b32 s8, v0
	s_and_b32 m0, s8, 0xffffff
	buffer_wbl2 sc0 sc1
	global_store_dwordx2 v[2:3], v[0:1], off sc0 sc1
	s_sendmsg sendmsg(MSG_INTERRUPT)
.LBB1_104:
	s_or_b64 exec, exec, s[6:7]
	v_lshl_add_u64 v[0:1], v[6:7], 0, v[10:11]
	s_branch .LBB1_108
.LBB1_105:                              ;   in Loop: Header=BB1_108 Depth=1
	s_or_b64 exec, exec, s[6:7]
	v_readfirstlane_b32 s6, v2
	s_cmp_eq_u32 s6, 0
	s_cbranch_scc1 .LBB1_107
; %bb.106:                              ;   in Loop: Header=BB1_108 Depth=1
	s_sleep 1
	s_cbranch_execnz .LBB1_108
	s_branch .LBB1_110
.LBB1_107:
	s_branch .LBB1_110
.LBB1_108:                              ; =>This Inner Loop Header: Depth=1
	v_mov_b32_e32 v2, 1
	s_and_saveexec_b64 s[6:7], s[0:1]
	s_cbranch_execz .LBB1_105
; %bb.109:                              ;   in Loop: Header=BB1_108 Depth=1
	global_load_dword v2, v[8:9], off offset:20 sc0 sc1
	s_waitcnt vmcnt(0)
	buffer_inv sc0 sc1
	v_and_b32_e32 v2, 1, v2
	s_branch .LBB1_105
.LBB1_110:
	global_load_dwordx2 v[6:7], v[0:1], off
	s_and_saveexec_b64 s[6:7], s[0:1]
	s_cbranch_execz .LBB1_113
; %bb.111:
	v_mov_b32_e32 v8, 0
	global_load_dwordx2 v[0:1], v8, s[2:3] offset:40
	global_load_dwordx2 v[12:13], v8, s[2:3] offset:24 sc0 sc1
	global_load_dwordx2 v[2:3], v8, s[2:3]
	s_waitcnt vmcnt(2)
	v_readfirstlane_b32 s8, v0
	v_readfirstlane_b32 s9, v1
	s_add_u32 s10, s8, 1
	s_addc_u32 s11, s9, 0
	s_add_u32 s0, s10, s4
	s_addc_u32 s1, s11, s5
	s_cmp_eq_u64 s[0:1], 0
	s_cselect_b32 s1, s11, s1
	s_cselect_b32 s0, s10, s0
	s_and_b64 s[4:5], s[0:1], s[8:9]
	s_mul_i32 s5, s5, 24
	s_mul_hi_u32 s8, s4, 24
	s_mul_i32 s4, s4, 24
	s_add_i32 s5, s8, s5
	s_waitcnt vmcnt(0)
	v_lshl_add_u64 v[4:5], v[2:3], 0, s[4:5]
	v_mov_b32_e32 v10, s0
	global_store_dwordx2 v[4:5], v[12:13], off
	v_mov_b32_e32 v11, s1
	buffer_wbl2 sc0 sc1
	s_waitcnt vmcnt(0)
	global_atomic_cmpswap_x2 v[2:3], v8, v[10:13], s[2:3] offset:24 sc0 sc1
	s_mov_b64 s[4:5], 0
	s_waitcnt vmcnt(0)
	v_cmp_ne_u64_e32 vcc, v[2:3], v[12:13]
	s_and_b64 exec, exec, vcc
	s_cbranch_execz .LBB1_113
.LBB1_112:                              ; =>This Inner Loop Header: Depth=1
	s_sleep 1
	global_store_dwordx2 v[4:5], v[2:3], off
	v_mov_b32_e32 v0, s0
	v_mov_b32_e32 v1, s1
	buffer_wbl2 sc0 sc1
	s_waitcnt vmcnt(0)
	global_atomic_cmpswap_x2 v[0:1], v8, v[0:3], s[2:3] offset:24 sc0 sc1
	s_waitcnt vmcnt(0)
	v_cmp_eq_u64_e32 vcc, v[0:1], v[2:3]
	s_or_b64 s[4:5], vcc, s[4:5]
	v_mov_b64_e32 v[2:3], v[0:1]
	s_andn2_b64 exec, exec, s[4:5]
	s_cbranch_execnz .LBB1_112
.LBB1_113:
	s_or_b64 exec, exec, s[6:7]
	s_waitcnt vmcnt(0)
	v_mov_b32_e32 v0, v6
	v_mov_b32_e32 v1, v7
	s_waitcnt lgkmcnt(0)
	s_setpc_b64 s[30:31]
.Lfunc_end1:
	.size	__ockl_printf_append_string_n, .Lfunc_end1-__ockl_printf_append_string_n
                                        ; -- End function
	.set .L__ockl_printf_append_string_n.num_vgpr, 52
	.set .L__ockl_printf_append_string_n.num_agpr, 0
	.set .L__ockl_printf_append_string_n.numbered_sgpr, 32
	.set .L__ockl_printf_append_string_n.num_named_barrier, 0
	.set .L__ockl_printf_append_string_n.private_seg_size, 0
	.set .L__ockl_printf_append_string_n.uses_vcc, 1
	.set .L__ockl_printf_append_string_n.uses_flat_scratch, 0
	.set .L__ockl_printf_append_string_n.has_dyn_sized_stack, 0
	.set .L__ockl_printf_append_string_n.has_recursion, 0
	.set .L__ockl_printf_append_string_n.has_indirect_call, 0
	.section	.AMDGPU.csdata,"",@progbits
; Function info:
; codeLenInByte = 3812
; TotalNumSgprs: 38
; NumVgprs: 52
; NumAgprs: 0
; TotalNumVgprs: 52
; ScratchSize: 0
; MemoryBound: 0
	.text
	.p2align	2                               ; -- Begin function __ockl_printf_append_args
	.type	__ockl_printf_append_args,@function
__ockl_printf_append_args:              ; @__ockl_printf_append_args
; %bb.0:
	s_waitcnt vmcnt(0) expcnt(0) lgkmcnt(0)
	s_load_dwordx2 s[2:3], s[8:9], 0x50
	v_mbcnt_lo_u32_b32 v5, -1, 0
	v_mbcnt_hi_u32_b32 v5, -1, v5
	v_mov_b64_e32 v[10:11], 0
	v_readfirstlane_b32 s0, v5
	s_nop 1
	v_cmp_eq_u32_e64 s[0:1], s0, v5
	s_and_saveexec_b64 s[4:5], s[0:1]
	s_cbranch_execz .LBB2_6
; %bb.1:
	v_mov_b32_e32 v6, 0
	s_waitcnt lgkmcnt(0)
	global_load_dwordx2 v[12:13], v6, s[2:3] offset:24 sc0 sc1
	s_waitcnt vmcnt(0)
	buffer_inv sc0 sc1
	global_load_dwordx2 v[8:9], v6, s[2:3] offset:40
	global_load_dwordx2 v[10:11], v6, s[2:3]
	s_waitcnt vmcnt(1)
	v_and_b32_e32 v7, v8, v12
	v_and_b32_e32 v8, v9, v13
	v_mul_lo_u32 v8, v8, 24
	v_mul_hi_u32 v9, v7, 24
	v_add_u32_e32 v9, v9, v8
	v_mul_lo_u32 v8, v7, 24
	s_waitcnt vmcnt(0)
	v_lshl_add_u64 v[8:9], v[10:11], 0, v[8:9]
	global_load_dwordx2 v[10:11], v[8:9], off sc0 sc1
	s_waitcnt vmcnt(0)
	global_atomic_cmpswap_x2 v[10:11], v6, v[10:13], s[2:3] offset:24 sc0 sc1
	s_waitcnt vmcnt(0)
	buffer_inv sc0 sc1
	v_cmp_ne_u64_e32 vcc, v[10:11], v[12:13]
	s_and_saveexec_b64 s[6:7], vcc
	s_cbranch_execz .LBB2_5
; %bb.2:
	s_mov_b64 s[8:9], 0
.LBB2_3:                                ; =>This Inner Loop Header: Depth=1
	s_sleep 1
	global_load_dwordx2 v[8:9], v6, s[2:3] offset:40
	global_load_dwordx2 v[14:15], v6, s[2:3]
	v_mov_b64_e32 v[12:13], v[10:11]
	s_waitcnt vmcnt(1)
	v_and_b32_e32 v8, v8, v12
	v_and_b32_e32 v7, v9, v13
	s_waitcnt vmcnt(0)
	v_mad_u64_u32 v[8:9], s[10:11], v8, 24, v[14:15]
	v_mov_b32_e32 v10, v9
	v_mad_u64_u32 v[10:11], s[10:11], v7, 24, v[10:11]
	v_mov_b32_e32 v9, v10
	global_load_dwordx2 v[10:11], v[8:9], off sc0 sc1
	s_waitcnt vmcnt(0)
	global_atomic_cmpswap_x2 v[10:11], v6, v[10:13], s[2:3] offset:24 sc0 sc1
	s_waitcnt vmcnt(0)
	buffer_inv sc0 sc1
	v_cmp_eq_u64_e32 vcc, v[10:11], v[12:13]
	s_or_b64 s[8:9], vcc, s[8:9]
	s_andn2_b64 exec, exec, s[8:9]
	s_cbranch_execnz .LBB2_3
; %bb.4:
	s_or_b64 exec, exec, s[8:9]
.LBB2_5:
	s_or_b64 exec, exec, s[6:7]
.LBB2_6:
	s_or_b64 exec, exec, s[4:5]
	v_mov_b32_e32 v14, 0
	s_waitcnt lgkmcnt(0)
	global_load_dwordx2 v[12:13], v14, s[2:3] offset:40
	global_load_dwordx4 v[6:9], v14, s[2:3]
	v_readfirstlane_b32 s5, v11
	v_readfirstlane_b32 s4, v10
	s_mov_b64 s[6:7], exec
	s_waitcnt vmcnt(1)
	v_readfirstlane_b32 s8, v12
	v_readfirstlane_b32 s9, v13
	s_and_b64 s[8:9], s[8:9], s[4:5]
	s_mul_i32 s10, s9, 24
	s_mul_hi_u32 s11, s8, 24
	s_add_i32 s11, s11, s10
	s_mul_i32 s10, s8, 24
	s_waitcnt vmcnt(0)
	v_lshl_add_u64 v[10:11], v[6:7], 0, s[10:11]
	s_and_saveexec_b64 s[10:11], s[0:1]
	s_cbranch_execz .LBB2_8
; %bb.7:
	v_mov_b64_e32 v[12:13], s[6:7]
	v_mov_b32_e32 v14, 2
	v_mov_b32_e32 v15, 1
	global_store_dwordx4 v[10:11], v[12:15], off offset:8
.LBB2_8:
	s_or_b64 exec, exec, s[10:11]
	s_lshl_b64 s[6:7], s[8:9], 12
	v_or_b32_e32 v12, 2, v0
	v_cmp_eq_u32_e32 vcc, 0, v4
	v_lshl_add_u64 v[8:9], v[8:9], 0, s[6:7]
	s_mov_b32 s8, 0
	v_cndmask_b32_e32 v0, v12, v0, vcc
	s_movk_i32 s6, 0xff1f
	v_and_or_b32 v0, v0, s6, 32
	v_lshlrev_b32_e32 v4, 6, v5
	v_readfirstlane_b32 s6, v8
	v_readfirstlane_b32 s7, v9
	s_mov_b32 s9, s8
	s_mov_b32 s10, s8
	;; [unrolled: 1-line block ×3, first 2 shown]
	s_nop 1
	global_store_dwordx4 v4, v[0:3], s[6:7]
	s_nop 1
	v_mov_b64_e32 v[0:1], s[8:9]
	v_mov_b64_e32 v[2:3], s[10:11]
	global_store_dwordx4 v4, v[0:3], s[6:7] offset:16
	global_store_dwordx4 v4, v[0:3], s[6:7] offset:32
	;; [unrolled: 1-line block ×3, first 2 shown]
	s_and_saveexec_b64 s[6:7], s[0:1]
	s_cbranch_execz .LBB2_16
; %bb.9:
	v_mov_b32_e32 v8, 0
	global_load_dwordx2 v[14:15], v8, s[2:3] offset:32 sc0 sc1
	global_load_dwordx2 v[0:1], v8, s[2:3] offset:40
	v_mov_b32_e32 v12, s4
	v_mov_b32_e32 v13, s5
	s_waitcnt vmcnt(0)
	v_and_b32_e32 v0, s4, v0
	v_and_b32_e32 v1, s5, v1
	v_mul_lo_u32 v1, v1, 24
	v_mul_hi_u32 v2, v0, 24
	v_mul_lo_u32 v0, v0, 24
	v_add_u32_e32 v1, v2, v1
	v_lshl_add_u64 v[4:5], v[6:7], 0, v[0:1]
	global_store_dwordx2 v[4:5], v[14:15], off
	buffer_wbl2 sc0 sc1
	s_waitcnt vmcnt(0)
	global_atomic_cmpswap_x2 v[2:3], v8, v[12:15], s[2:3] offset:32 sc0 sc1
	s_waitcnt vmcnt(0)
	v_cmp_ne_u64_e32 vcc, v[2:3], v[14:15]
	s_and_saveexec_b64 s[8:9], vcc
	s_cbranch_execz .LBB2_12
; %bb.10:
	s_mov_b64 s[10:11], 0
.LBB2_11:                               ; =>This Inner Loop Header: Depth=1
	s_sleep 1
	global_store_dwordx2 v[4:5], v[2:3], off
	v_mov_b32_e32 v0, s4
	v_mov_b32_e32 v1, s5
	buffer_wbl2 sc0 sc1
	s_waitcnt vmcnt(0)
	global_atomic_cmpswap_x2 v[0:1], v8, v[0:3], s[2:3] offset:32 sc0 sc1
	s_waitcnt vmcnt(0)
	v_cmp_eq_u64_e32 vcc, v[0:1], v[2:3]
	s_or_b64 s[10:11], vcc, s[10:11]
	v_mov_b64_e32 v[2:3], v[0:1]
	s_andn2_b64 exec, exec, s[10:11]
	s_cbranch_execnz .LBB2_11
.LBB2_12:
	s_or_b64 exec, exec, s[8:9]
	v_mov_b32_e32 v3, 0
	global_load_dwordx2 v[0:1], v3, s[2:3] offset:16
	s_mov_b64 s[8:9], exec
	v_mbcnt_lo_u32_b32 v2, s8, 0
	v_mbcnt_hi_u32_b32 v2, s9, v2
	v_cmp_eq_u32_e32 vcc, 0, v2
	s_and_saveexec_b64 s[10:11], vcc
	s_cbranch_execz .LBB2_14
; %bb.13:
	s_bcnt1_i32_b64 s8, s[8:9]
	v_mov_b32_e32 v2, s8
	buffer_wbl2 sc0 sc1
	s_waitcnt vmcnt(0)
	global_atomic_add_x2 v[0:1], v[2:3], off offset:8 sc1
.LBB2_14:
	s_or_b64 exec, exec, s[10:11]
	s_waitcnt vmcnt(0)
	global_load_dwordx2 v[2:3], v[0:1], off offset:16
	s_waitcnt vmcnt(0)
	v_cmp_eq_u64_e32 vcc, 0, v[2:3]
	s_cbranch_vccnz .LBB2_16
; %bb.15:
	global_load_dword v0, v[0:1], off offset:24
	v_mov_b32_e32 v1, 0
	s_waitcnt vmcnt(0)
	v_readfirstlane_b32 s8, v0
	s_and_b32 m0, s8, 0xffffff
	buffer_wbl2 sc0 sc1
	global_store_dwordx2 v[2:3], v[0:1], off sc0 sc1
	s_sendmsg sendmsg(MSG_INTERRUPT)
.LBB2_16:
	s_or_b64 exec, exec, s[6:7]
	s_branch .LBB2_20
.LBB2_17:                               ;   in Loop: Header=BB2_20 Depth=1
	s_or_b64 exec, exec, s[6:7]
	v_readfirstlane_b32 s6, v0
	s_cmp_eq_u32 s6, 0
	s_cbranch_scc1 .LBB2_19
; %bb.18:                               ;   in Loop: Header=BB2_20 Depth=1
	s_sleep 1
	s_cbranch_execnz .LBB2_20
	s_branch .LBB2_22
.LBB2_19:
	s_branch .LBB2_22
.LBB2_20:                               ; =>This Inner Loop Header: Depth=1
	v_mov_b32_e32 v0, 1
	s_and_saveexec_b64 s[6:7], s[0:1]
	s_cbranch_execz .LBB2_17
; %bb.21:                               ;   in Loop: Header=BB2_20 Depth=1
	global_load_dword v0, v[10:11], off offset:20 sc0 sc1
	s_waitcnt vmcnt(0)
	buffer_inv sc0 sc1
	v_and_b32_e32 v0, 1, v0
	s_branch .LBB2_17
.LBB2_22:
	s_and_saveexec_b64 s[6:7], s[0:1]
	s_cbranch_execz .LBB2_25
; %bb.23:
	v_mov_b32_e32 v6, 0
	global_load_dwordx2 v[0:1], v6, s[2:3] offset:40
	global_load_dwordx2 v[10:11], v6, s[2:3] offset:24 sc0 sc1
	global_load_dwordx2 v[2:3], v6, s[2:3]
	s_waitcnt vmcnt(2)
	v_readfirstlane_b32 s8, v0
	v_readfirstlane_b32 s9, v1
	s_add_u32 s10, s8, 1
	s_addc_u32 s11, s9, 0
	s_add_u32 s0, s10, s4
	s_addc_u32 s1, s11, s5
	s_cmp_eq_u64 s[0:1], 0
	s_cselect_b32 s1, s11, s1
	s_cselect_b32 s0, s10, s0
	s_and_b64 s[4:5], s[0:1], s[8:9]
	s_mul_i32 s5, s5, 24
	s_mul_hi_u32 s8, s4, 24
	s_mul_i32 s4, s4, 24
	s_add_i32 s5, s8, s5
	s_waitcnt vmcnt(0)
	v_lshl_add_u64 v[4:5], v[2:3], 0, s[4:5]
	v_mov_b32_e32 v8, s0
	global_store_dwordx2 v[4:5], v[10:11], off
	v_mov_b32_e32 v9, s1
	buffer_wbl2 sc0 sc1
	s_waitcnt vmcnt(0)
	global_atomic_cmpswap_x2 v[2:3], v6, v[8:11], s[2:3] offset:24 sc0 sc1
	s_mov_b64 s[4:5], 0
	s_waitcnt vmcnt(0)
	v_cmp_ne_u64_e32 vcc, v[2:3], v[10:11]
	s_and_b64 exec, exec, vcc
	s_cbranch_execz .LBB2_25
.LBB2_24:                               ; =>This Inner Loop Header: Depth=1
	s_sleep 1
	global_store_dwordx2 v[4:5], v[2:3], off
	v_mov_b32_e32 v0, s0
	v_mov_b32_e32 v1, s1
	buffer_wbl2 sc0 sc1
	s_waitcnt vmcnt(0)
	global_atomic_cmpswap_x2 v[0:1], v6, v[0:3], s[2:3] offset:24 sc0 sc1
	s_waitcnt vmcnt(0)
	v_cmp_eq_u64_e32 vcc, v[0:1], v[2:3]
	s_or_b64 s[4:5], vcc, s[4:5]
	v_mov_b64_e32 v[2:3], v[0:1]
	s_andn2_b64 exec, exec, s[4:5]
	s_cbranch_execnz .LBB2_24
.LBB2_25:
	s_or_b64 exec, exec, s[6:7]
	s_waitcnt vmcnt(0) lgkmcnt(0)
	s_setpc_b64 s[30:31]
.Lfunc_end2:
	.size	__ockl_printf_append_args, .Lfunc_end2-__ockl_printf_append_args
                                        ; -- End function
	.set .L__ockl_printf_append_args.num_vgpr, 16
	.set .L__ockl_printf_append_args.num_agpr, 0
	.set .L__ockl_printf_append_args.numbered_sgpr, 32
	.set .L__ockl_printf_append_args.num_named_barrier, 0
	.set .L__ockl_printf_append_args.private_seg_size, 0
	.set .L__ockl_printf_append_args.uses_vcc, 1
	.set .L__ockl_printf_append_args.uses_flat_scratch, 0
	.set .L__ockl_printf_append_args.has_dyn_sized_stack, 0
	.set .L__ockl_printf_append_args.has_recursion, 0
	.set .L__ockl_printf_append_args.has_indirect_call, 0
	.section	.AMDGPU.csdata,"",@progbits
; Function info:
; codeLenInByte = 1216
; TotalNumSgprs: 38
; NumVgprs: 16
; NumAgprs: 0
; TotalNumVgprs: 16
; ScratchSize: 0
; MemoryBound: 0
	.text
	.p2align	2                               ; -- Begin function _ZL14no_device_codePKciS0_iS0_
	.type	_ZL14no_device_codePKciS0_iS0_,@function
_ZL14no_device_codePKciS0_iS0_:         ; @_ZL14no_device_codePKciS0_iS0_
; %bb.0:
	s_waitcnt vmcnt(0) expcnt(0) lgkmcnt(0)
	s_mov_b32 s20, s33
	s_mov_b32 s33, s32
	s_or_saveexec_b64 s[0:1], -1
	scratch_store_dword off, v40, s33       ; 4-byte Folded Spill
	s_mov_b64 exec, s[0:1]
	v_writelane_b32 v40, s30, 0
	s_add_i32 s32, s32, 16
	s_nop 0
	v_writelane_b32 v40, s31, 1
	s_load_dwordx2 s[2:3], s[8:9], 0x50
	v_mbcnt_lo_u32_b32 v1, -1, 0
	v_mbcnt_hi_u32_b32 v1, -1, v1
	v_mov_b64_e32 v[6:7], 0
	v_readfirstlane_b32 s0, v1
	s_nop 1
	v_cmp_eq_u32_e64 s[0:1], s0, v1
	s_and_saveexec_b64 s[4:5], s[0:1]
	s_cbranch_execz .LBB3_6
; %bb.1:
	v_mov_b32_e32 v2, 0
	s_waitcnt lgkmcnt(0)
	global_load_dwordx2 v[8:9], v2, s[2:3] offset:24 sc0 sc1
	s_waitcnt vmcnt(0)
	buffer_inv sc0 sc1
	global_load_dwordx2 v[4:5], v2, s[2:3] offset:40
	global_load_dwordx2 v[6:7], v2, s[2:3]
	s_waitcnt vmcnt(1)
	v_and_b32_e32 v3, v4, v8
	v_and_b32_e32 v4, v5, v9
	v_mul_lo_u32 v4, v4, 24
	v_mul_hi_u32 v5, v3, 24
	v_add_u32_e32 v5, v5, v4
	v_mul_lo_u32 v4, v3, 24
	s_waitcnt vmcnt(0)
	v_lshl_add_u64 v[4:5], v[6:7], 0, v[4:5]
	global_load_dwordx2 v[6:7], v[4:5], off sc0 sc1
	s_waitcnt vmcnt(0)
	global_atomic_cmpswap_x2 v[6:7], v2, v[6:9], s[2:3] offset:24 sc0 sc1
	s_waitcnt vmcnt(0)
	buffer_inv sc0 sc1
	v_cmp_ne_u64_e32 vcc, v[6:7], v[8:9]
	s_and_saveexec_b64 s[6:7], vcc
	s_cbranch_execz .LBB3_5
; %bb.2:
	s_mov_b64 s[10:11], 0
.LBB3_3:                                ; =>This Inner Loop Header: Depth=1
	s_sleep 1
	global_load_dwordx2 v[4:5], v2, s[2:3] offset:40
	global_load_dwordx2 v[10:11], v2, s[2:3]
	v_mov_b64_e32 v[8:9], v[6:7]
	s_waitcnt vmcnt(1)
	v_and_b32_e32 v4, v4, v8
	v_and_b32_e32 v3, v5, v9
	s_waitcnt vmcnt(0)
	v_mad_u64_u32 v[4:5], s[12:13], v4, 24, v[10:11]
	v_mov_b32_e32 v6, v5
	v_mad_u64_u32 v[6:7], s[12:13], v3, 24, v[6:7]
	v_mov_b32_e32 v5, v6
	global_load_dwordx2 v[6:7], v[4:5], off sc0 sc1
	s_waitcnt vmcnt(0)
	global_atomic_cmpswap_x2 v[6:7], v2, v[6:9], s[2:3] offset:24 sc0 sc1
	s_waitcnt vmcnt(0)
	buffer_inv sc0 sc1
	v_cmp_eq_u64_e32 vcc, v[6:7], v[8:9]
	s_or_b64 s[10:11], vcc, s[10:11]
	s_andn2_b64 exec, exec, s[10:11]
	s_cbranch_execnz .LBB3_3
; %bb.4:
	s_or_b64 exec, exec, s[10:11]
.LBB3_5:
	s_or_b64 exec, exec, s[6:7]
.LBB3_6:
	s_or_b64 exec, exec, s[4:5]
	v_mov_b32_e32 v25, 0
	s_waitcnt lgkmcnt(0)
	global_load_dwordx2 v[8:9], v25, s[2:3] offset:40
	global_load_dwordx4 v[2:5], v25, s[2:3]
	v_readfirstlane_b32 s5, v7
	v_readfirstlane_b32 s4, v6
	s_mov_b64 s[6:7], exec
	s_waitcnt vmcnt(1)
	v_readfirstlane_b32 s10, v8
	v_readfirstlane_b32 s11, v9
	s_and_b64 s[10:11], s[10:11], s[4:5]
	s_mul_i32 s12, s11, 24
	s_mul_hi_u32 s13, s10, 24
	s_add_i32 s13, s13, s12
	s_mul_i32 s12, s10, 24
	s_waitcnt vmcnt(0)
	v_lshl_add_u64 v[6:7], v[2:3], 0, s[12:13]
	s_and_saveexec_b64 s[12:13], s[0:1]
	s_cbranch_execz .LBB3_8
; %bb.7:
	v_mov_b64_e32 v[8:9], s[6:7]
	v_mov_b32_e32 v10, 2
	v_mov_b32_e32 v11, 1
	global_store_dwordx4 v[6:7], v[8:11], off offset:8
.LBB3_8:
	s_or_b64 exec, exec, s[12:13]
	s_lshl_b64 s[6:7], s[10:11], 12
	v_lshl_add_u64 v[8:9], v[4:5], 0, s[6:7]
	s_mov_b32 s12, 0
	v_lshlrev_b32_e32 v24, 6, v1
	v_mov_b32_e32 v10, 33
	v_mov_b32_e32 v11, v25
	;; [unrolled: 1-line block ×4, first 2 shown]
	v_readfirstlane_b32 s6, v8
	v_readfirstlane_b32 s7, v9
	s_mov_b32 s13, s12
	s_mov_b32 s14, s12
	s_mov_b32 s15, s12
	s_nop 1
	global_store_dwordx4 v24, v[10:13], s[6:7]
	s_nop 1
	v_mov_b64_e32 v[10:11], s[12:13]
	v_mov_b64_e32 v[12:13], s[14:15]
	global_store_dwordx4 v24, v[10:13], s[6:7] offset:16
	global_store_dwordx4 v24, v[10:13], s[6:7] offset:32
	;; [unrolled: 1-line block ×3, first 2 shown]
	s_and_saveexec_b64 s[6:7], s[0:1]
	s_cbranch_execz .LBB3_16
; %bb.9:
	v_mov_b32_e32 v12, 0
	global_load_dwordx2 v[16:17], v12, s[2:3] offset:32 sc0 sc1
	global_load_dwordx2 v[4:5], v12, s[2:3] offset:40
	v_mov_b32_e32 v14, s4
	v_mov_b32_e32 v15, s5
	s_waitcnt vmcnt(0)
	v_and_b32_e32 v4, s4, v4
	v_and_b32_e32 v5, s5, v5
	v_mul_lo_u32 v5, v5, 24
	v_mul_hi_u32 v10, v4, 24
	v_mul_lo_u32 v4, v4, 24
	v_add_u32_e32 v5, v10, v5
	v_lshl_add_u64 v[10:11], v[2:3], 0, v[4:5]
	global_store_dwordx2 v[10:11], v[16:17], off
	buffer_wbl2 sc0 sc1
	s_waitcnt vmcnt(0)
	global_atomic_cmpswap_x2 v[4:5], v12, v[14:17], s[2:3] offset:32 sc0 sc1
	s_waitcnt vmcnt(0)
	v_cmp_ne_u64_e32 vcc, v[4:5], v[16:17]
	s_and_saveexec_b64 s[10:11], vcc
	s_cbranch_execz .LBB3_12
; %bb.10:
	s_mov_b64 s[12:13], 0
.LBB3_11:                               ; =>This Inner Loop Header: Depth=1
	s_sleep 1
	global_store_dwordx2 v[10:11], v[4:5], off
	v_mov_b32_e32 v2, s4
	v_mov_b32_e32 v3, s5
	buffer_wbl2 sc0 sc1
	s_waitcnt vmcnt(0)
	global_atomic_cmpswap_x2 v[2:3], v12, v[2:5], s[2:3] offset:32 sc0 sc1
	s_waitcnt vmcnt(0)
	v_cmp_eq_u64_e32 vcc, v[2:3], v[4:5]
	s_or_b64 s[12:13], vcc, s[12:13]
	v_mov_b64_e32 v[4:5], v[2:3]
	s_andn2_b64 exec, exec, s[12:13]
	s_cbranch_execnz .LBB3_11
.LBB3_12:
	s_or_b64 exec, exec, s[10:11]
	v_mov_b32_e32 v5, 0
	global_load_dwordx2 v[2:3], v5, s[2:3] offset:16
	s_mov_b64 s[10:11], exec
	v_mbcnt_lo_u32_b32 v4, s10, 0
	v_mbcnt_hi_u32_b32 v4, s11, v4
	v_cmp_eq_u32_e32 vcc, 0, v4
	s_and_saveexec_b64 s[12:13], vcc
	s_cbranch_execz .LBB3_14
; %bb.13:
	s_bcnt1_i32_b64 s10, s[10:11]
	v_mov_b32_e32 v4, s10
	buffer_wbl2 sc0 sc1
	s_waitcnt vmcnt(0)
	global_atomic_add_x2 v[2:3], v[4:5], off offset:8 sc1
.LBB3_14:
	s_or_b64 exec, exec, s[12:13]
	s_waitcnt vmcnt(0)
	global_load_dwordx2 v[4:5], v[2:3], off offset:16
	s_waitcnt vmcnt(0)
	v_cmp_eq_u64_e32 vcc, 0, v[4:5]
	s_cbranch_vccnz .LBB3_16
; %bb.15:
	global_load_dword v2, v[2:3], off offset:24
	v_mov_b32_e32 v3, 0
	s_waitcnt vmcnt(0)
	v_readfirstlane_b32 s10, v2
	s_and_b32 m0, s10, 0xffffff
	buffer_wbl2 sc0 sc1
	global_store_dwordx2 v[4:5], v[2:3], off sc0 sc1
	s_sendmsg sendmsg(MSG_INTERRUPT)
.LBB3_16:
	s_or_b64 exec, exec, s[6:7]
	v_lshl_add_u64 v[2:3], v[8:9], 0, v[24:25]
	s_branch .LBB3_20
.LBB3_17:                               ;   in Loop: Header=BB3_20 Depth=1
	s_or_b64 exec, exec, s[6:7]
	v_readfirstlane_b32 s6, v4
	s_cmp_eq_u32 s6, 0
	s_cbranch_scc1 .LBB3_19
; %bb.18:                               ;   in Loop: Header=BB3_20 Depth=1
	s_sleep 1
	s_cbranch_execnz .LBB3_20
	s_branch .LBB3_22
.LBB3_19:
	s_branch .LBB3_22
.LBB3_20:                               ; =>This Inner Loop Header: Depth=1
	v_mov_b32_e32 v4, 1
	s_and_saveexec_b64 s[6:7], s[0:1]
	s_cbranch_execz .LBB3_17
; %bb.21:                               ;   in Loop: Header=BB3_20 Depth=1
	global_load_dword v4, v[6:7], off offset:20 sc0 sc1
	s_waitcnt vmcnt(0)
	buffer_inv sc0 sc1
	v_and_b32_e32 v4, 1, v4
	s_branch .LBB3_17
.LBB3_22:
	global_load_dwordx2 v[6:7], v[2:3], off
	s_and_saveexec_b64 s[6:7], s[0:1]
	s_cbranch_execz .LBB3_25
; %bb.23:
	v_mov_b32_e32 v10, 0
	global_load_dwordx2 v[2:3], v10, s[2:3] offset:40
	global_load_dwordx2 v[14:15], v10, s[2:3] offset:24 sc0 sc1
	global_load_dwordx2 v[4:5], v10, s[2:3]
	s_waitcnt vmcnt(2)
	v_readfirstlane_b32 s10, v2
	v_readfirstlane_b32 s11, v3
	s_add_u32 s12, s10, 1
	s_addc_u32 s13, s11, 0
	s_add_u32 s0, s12, s4
	s_addc_u32 s1, s13, s5
	s_cmp_eq_u64 s[0:1], 0
	s_cselect_b32 s1, s13, s1
	s_cselect_b32 s0, s12, s0
	s_and_b64 s[4:5], s[0:1], s[10:11]
	s_mul_i32 s5, s5, 24
	s_mul_hi_u32 s10, s4, 24
	s_mul_i32 s4, s4, 24
	s_add_i32 s5, s10, s5
	s_waitcnt vmcnt(0)
	v_lshl_add_u64 v[8:9], v[4:5], 0, s[4:5]
	v_mov_b32_e32 v12, s0
	global_store_dwordx2 v[8:9], v[14:15], off
	v_mov_b32_e32 v13, s1
	buffer_wbl2 sc0 sc1
	s_waitcnt vmcnt(0)
	global_atomic_cmpswap_x2 v[4:5], v10, v[12:15], s[2:3] offset:24 sc0 sc1
	s_mov_b64 s[4:5], 0
	s_waitcnt vmcnt(0)
	v_cmp_ne_u64_e32 vcc, v[4:5], v[14:15]
	s_and_b64 exec, exec, vcc
	s_cbranch_execz .LBB3_25
.LBB3_24:                               ; =>This Inner Loop Header: Depth=1
	s_sleep 1
	global_store_dwordx2 v[8:9], v[4:5], off
	v_mov_b32_e32 v2, s0
	v_mov_b32_e32 v3, s1
	buffer_wbl2 sc0 sc1
	s_waitcnt vmcnt(0)
	global_atomic_cmpswap_x2 v[2:3], v10, v[2:5], s[2:3] offset:24 sc0 sc1
	s_waitcnt vmcnt(0)
	v_cmp_eq_u64_e32 vcc, v[2:3], v[4:5]
	s_or_b64 s[4:5], vcc, s[4:5]
	v_mov_b64_e32 v[4:5], v[2:3]
	s_andn2_b64 exec, exec, s[4:5]
	s_cbranch_execnz .LBB3_24
.LBB3_25:
	s_or_b64 exec, exec, s[6:7]
	s_getpc_b64 s[4:5]
	s_add_u32 s4, s4, .str.5@rel32@lo+4
	s_addc_u32 s5, s5, .str.5@rel32@hi+12
	s_cmp_lg_u64 s[4:5], 0
	s_cbranch_scc0 .LBB3_110
; %bb.26:
	s_waitcnt vmcnt(0)
	v_and_b32_e32 v26, 2, v6
	v_mov_b32_e32 v29, 0
	v_and_b32_e32 v2, -3, v6
	v_mov_b32_e32 v3, v7
	s_mov_b64 s[6:7], 0x4d
	v_mov_b32_e32 v34, 2
	v_mov_b32_e32 v35, 1
	s_branch .LBB3_28
.LBB3_27:                               ;   in Loop: Header=BB3_28 Depth=1
	s_or_b64 exec, exec, s[14:15]
	s_sub_u32 s6, s6, s10
	s_subb_u32 s7, s7, s11
	s_add_u32 s4, s4, s10
	s_addc_u32 s5, s5, s11
	s_cmp_lg_u64 s[6:7], 0
	s_cbranch_scc0 .LBB3_111
.LBB3_28:                               ; =>This Loop Header: Depth=1
                                        ;     Child Loop BB3_31 Depth 2
                                        ;     Child Loop BB3_39 Depth 2
                                        ;     Child Loop BB3_47 Depth 2
                                        ;     Child Loop BB3_55 Depth 2
                                        ;     Child Loop BB3_63 Depth 2
                                        ;     Child Loop BB3_71 Depth 2
                                        ;     Child Loop BB3_79 Depth 2
                                        ;     Child Loop BB3_87 Depth 2
                                        ;     Child Loop BB3_95 Depth 2
                                        ;     Child Loop BB3_104 Depth 2
                                        ;     Child Loop BB3_109 Depth 2
	v_cmp_lt_u64_e64 s[0:1], s[6:7], 56
	s_and_b64 s[0:1], s[0:1], exec
	s_cselect_b32 s11, s7, 0
	s_cselect_b32 s10, s6, 56
	v_cmp_gt_u64_e64 s[12:13], s[6:7], 7
	s_add_u32 s0, s4, 8
	s_addc_u32 s1, s5, 0
	s_and_b64 vcc, exec, s[12:13]
	s_cbranch_vccnz .LBB3_32
; %bb.29:                               ;   in Loop: Header=BB3_28 Depth=1
	s_cmp_eq_u64 s[6:7], 0
	s_cbranch_scc1 .LBB3_33
; %bb.30:                               ;   in Loop: Header=BB3_28 Depth=1
	s_lshl_b64 s[0:1], s[10:11], 3
	s_mov_b64 s[12:13], 0
	v_mov_b64_e32 v[4:5], 0
	s_mov_b64 s[14:15], s[4:5]
.LBB3_31:                               ;   Parent Loop BB3_28 Depth=1
                                        ; =>  This Inner Loop Header: Depth=2
	global_load_ubyte v8, v29, s[14:15]
	s_waitcnt vmcnt(0)
	v_and_b32_e32 v28, 0xffff, v8
	v_lshlrev_b64 v[8:9], s12, v[28:29]
	s_add_u32 s12, s12, 8
	s_addc_u32 s13, s13, 0
	s_add_u32 s14, s14, 1
	s_addc_u32 s15, s15, 0
	v_or_b32_e32 v4, v8, v4
	s_cmp_lg_u32 s0, s12
	v_or_b32_e32 v5, v9, v5
	s_cbranch_scc1 .LBB3_31
	s_branch .LBB3_34
.LBB3_32:                               ;   in Loop: Header=BB3_28 Depth=1
	s_mov_b32 s16, 0
	s_branch .LBB3_35
.LBB3_33:                               ;   in Loop: Header=BB3_28 Depth=1
	v_mov_b64_e32 v[4:5], 0
.LBB3_34:                               ;   in Loop: Header=BB3_28 Depth=1
	s_mov_b64 s[0:1], s[4:5]
	s_mov_b32 s16, 0
	s_cbranch_execnz .LBB3_36
.LBB3_35:                               ;   in Loop: Header=BB3_28 Depth=1
	global_load_dwordx2 v[4:5], v29, s[4:5]
	s_add_i32 s16, s10, -8
.LBB3_36:                               ;   in Loop: Header=BB3_28 Depth=1
	s_add_u32 s12, s0, 8
	s_addc_u32 s13, s1, 0
	s_cmp_gt_u32 s16, 7
	s_cbranch_scc1 .LBB3_40
; %bb.37:                               ;   in Loop: Header=BB3_28 Depth=1
	s_cmp_eq_u32 s16, 0
	s_cbranch_scc1 .LBB3_41
; %bb.38:                               ;   in Loop: Header=BB3_28 Depth=1
	s_mov_b64 s[12:13], 0
	v_mov_b64_e32 v[8:9], 0
	s_mov_b64 s[14:15], 0
.LBB3_39:                               ;   Parent Loop BB3_28 Depth=1
                                        ; =>  This Inner Loop Header: Depth=2
	s_add_u32 s18, s0, s14
	s_addc_u32 s19, s1, s15
	global_load_ubyte v10, v29, s[18:19]
	s_add_u32 s14, s14, 1
	s_addc_u32 s15, s15, 0
	s_waitcnt vmcnt(0)
	v_and_b32_e32 v28, 0xffff, v10
	v_lshlrev_b64 v[10:11], s12, v[28:29]
	s_add_u32 s12, s12, 8
	s_addc_u32 s13, s13, 0
	v_or_b32_e32 v8, v10, v8
	s_cmp_lg_u32 s16, s14
	v_or_b32_e32 v9, v11, v9
	s_cbranch_scc1 .LBB3_39
	s_branch .LBB3_42
.LBB3_40:                               ;   in Loop: Header=BB3_28 Depth=1
                                        ; implicit-def: $vgpr8_vgpr9
	s_mov_b32 s17, 0
	s_branch .LBB3_43
.LBB3_41:                               ;   in Loop: Header=BB3_28 Depth=1
	v_mov_b64_e32 v[8:9], 0
.LBB3_42:                               ;   in Loop: Header=BB3_28 Depth=1
	s_mov_b64 s[12:13], s[0:1]
	s_mov_b32 s17, 0
	s_cbranch_execnz .LBB3_44
.LBB3_43:                               ;   in Loop: Header=BB3_28 Depth=1
	global_load_dwordx2 v[8:9], v29, s[0:1]
	s_add_i32 s17, s16, -8
.LBB3_44:                               ;   in Loop: Header=BB3_28 Depth=1
	s_add_u32 s0, s12, 8
	s_addc_u32 s1, s13, 0
	s_cmp_gt_u32 s17, 7
	s_cbranch_scc1 .LBB3_48
; %bb.45:                               ;   in Loop: Header=BB3_28 Depth=1
	s_cmp_eq_u32 s17, 0
	s_cbranch_scc1 .LBB3_49
; %bb.46:                               ;   in Loop: Header=BB3_28 Depth=1
	s_mov_b64 s[0:1], 0
	v_mov_b64_e32 v[10:11], 0
	s_mov_b64 s[14:15], 0
.LBB3_47:                               ;   Parent Loop BB3_28 Depth=1
                                        ; =>  This Inner Loop Header: Depth=2
	s_add_u32 s18, s12, s14
	s_addc_u32 s19, s13, s15
	global_load_ubyte v12, v29, s[18:19]
	s_add_u32 s14, s14, 1
	s_addc_u32 s15, s15, 0
	s_waitcnt vmcnt(0)
	v_and_b32_e32 v28, 0xffff, v12
	v_lshlrev_b64 v[12:13], s0, v[28:29]
	s_add_u32 s0, s0, 8
	s_addc_u32 s1, s1, 0
	v_or_b32_e32 v10, v12, v10
	s_cmp_lg_u32 s17, s14
	v_or_b32_e32 v11, v13, v11
	s_cbranch_scc1 .LBB3_47
	s_branch .LBB3_50
.LBB3_48:                               ;   in Loop: Header=BB3_28 Depth=1
	s_mov_b32 s16, 0
	s_branch .LBB3_51
.LBB3_49:                               ;   in Loop: Header=BB3_28 Depth=1
	v_mov_b64_e32 v[10:11], 0
.LBB3_50:                               ;   in Loop: Header=BB3_28 Depth=1
	s_mov_b64 s[0:1], s[12:13]
	s_mov_b32 s16, 0
	s_cbranch_execnz .LBB3_52
.LBB3_51:                               ;   in Loop: Header=BB3_28 Depth=1
	global_load_dwordx2 v[10:11], v29, s[12:13]
	s_add_i32 s16, s17, -8
.LBB3_52:                               ;   in Loop: Header=BB3_28 Depth=1
	s_add_u32 s12, s0, 8
	s_addc_u32 s13, s1, 0
	s_cmp_gt_u32 s16, 7
	s_cbranch_scc1 .LBB3_56
; %bb.53:                               ;   in Loop: Header=BB3_28 Depth=1
	s_cmp_eq_u32 s16, 0
	s_cbranch_scc1 .LBB3_57
; %bb.54:                               ;   in Loop: Header=BB3_28 Depth=1
	s_mov_b64 s[12:13], 0
	v_mov_b64_e32 v[12:13], 0
	s_mov_b64 s[14:15], 0
.LBB3_55:                               ;   Parent Loop BB3_28 Depth=1
                                        ; =>  This Inner Loop Header: Depth=2
	s_add_u32 s18, s0, s14
	s_addc_u32 s19, s1, s15
	global_load_ubyte v14, v29, s[18:19]
	s_add_u32 s14, s14, 1
	s_addc_u32 s15, s15, 0
	s_waitcnt vmcnt(0)
	v_and_b32_e32 v28, 0xffff, v14
	v_lshlrev_b64 v[14:15], s12, v[28:29]
	s_add_u32 s12, s12, 8
	s_addc_u32 s13, s13, 0
	v_or_b32_e32 v12, v14, v12
	s_cmp_lg_u32 s16, s14
	v_or_b32_e32 v13, v15, v13
	s_cbranch_scc1 .LBB3_55
	s_branch .LBB3_58
.LBB3_56:                               ;   in Loop: Header=BB3_28 Depth=1
                                        ; implicit-def: $vgpr12_vgpr13
	s_mov_b32 s17, 0
	s_branch .LBB3_59
.LBB3_57:                               ;   in Loop: Header=BB3_28 Depth=1
	v_mov_b64_e32 v[12:13], 0
.LBB3_58:                               ;   in Loop: Header=BB3_28 Depth=1
	s_mov_b64 s[12:13], s[0:1]
	s_mov_b32 s17, 0
	s_cbranch_execnz .LBB3_60
.LBB3_59:                               ;   in Loop: Header=BB3_28 Depth=1
	global_load_dwordx2 v[12:13], v29, s[0:1]
	s_add_i32 s17, s16, -8
.LBB3_60:                               ;   in Loop: Header=BB3_28 Depth=1
	s_add_u32 s0, s12, 8
	s_addc_u32 s1, s13, 0
	s_cmp_gt_u32 s17, 7
	s_cbranch_scc1 .LBB3_64
; %bb.61:                               ;   in Loop: Header=BB3_28 Depth=1
	s_cmp_eq_u32 s17, 0
	s_cbranch_scc1 .LBB3_65
; %bb.62:                               ;   in Loop: Header=BB3_28 Depth=1
	s_mov_b64 s[0:1], 0
	v_mov_b64_e32 v[14:15], 0
	s_mov_b64 s[14:15], 0
.LBB3_63:                               ;   Parent Loop BB3_28 Depth=1
                                        ; =>  This Inner Loop Header: Depth=2
	s_add_u32 s18, s12, s14
	s_addc_u32 s19, s13, s15
	global_load_ubyte v16, v29, s[18:19]
	s_add_u32 s14, s14, 1
	s_addc_u32 s15, s15, 0
	s_waitcnt vmcnt(0)
	v_and_b32_e32 v28, 0xffff, v16
	v_lshlrev_b64 v[16:17], s0, v[28:29]
	s_add_u32 s0, s0, 8
	s_addc_u32 s1, s1, 0
	v_or_b32_e32 v14, v16, v14
	s_cmp_lg_u32 s17, s14
	v_or_b32_e32 v15, v17, v15
	s_cbranch_scc1 .LBB3_63
	s_branch .LBB3_66
.LBB3_64:                               ;   in Loop: Header=BB3_28 Depth=1
	s_mov_b32 s16, 0
	s_branch .LBB3_67
.LBB3_65:                               ;   in Loop: Header=BB3_28 Depth=1
	v_mov_b64_e32 v[14:15], 0
.LBB3_66:                               ;   in Loop: Header=BB3_28 Depth=1
	s_mov_b64 s[0:1], s[12:13]
	s_mov_b32 s16, 0
	s_cbranch_execnz .LBB3_68
.LBB3_67:                               ;   in Loop: Header=BB3_28 Depth=1
	global_load_dwordx2 v[14:15], v29, s[12:13]
	s_add_i32 s16, s17, -8
.LBB3_68:                               ;   in Loop: Header=BB3_28 Depth=1
	s_add_u32 s12, s0, 8
	s_addc_u32 s13, s1, 0
	s_cmp_gt_u32 s16, 7
	s_cbranch_scc1 .LBB3_72
; %bb.69:                               ;   in Loop: Header=BB3_28 Depth=1
	s_cmp_eq_u32 s16, 0
	s_cbranch_scc1 .LBB3_73
; %bb.70:                               ;   in Loop: Header=BB3_28 Depth=1
	s_mov_b64 s[12:13], 0
	v_mov_b64_e32 v[16:17], 0
	s_mov_b64 s[14:15], 0
.LBB3_71:                               ;   Parent Loop BB3_28 Depth=1
                                        ; =>  This Inner Loop Header: Depth=2
	s_add_u32 s18, s0, s14
	s_addc_u32 s19, s1, s15
	global_load_ubyte v18, v29, s[18:19]
	s_add_u32 s14, s14, 1
	s_addc_u32 s15, s15, 0
	s_waitcnt vmcnt(0)
	v_and_b32_e32 v28, 0xffff, v18
	v_lshlrev_b64 v[18:19], s12, v[28:29]
	s_add_u32 s12, s12, 8
	s_addc_u32 s13, s13, 0
	v_or_b32_e32 v16, v18, v16
	s_cmp_lg_u32 s16, s14
	v_or_b32_e32 v17, v19, v17
	s_cbranch_scc1 .LBB3_71
	s_branch .LBB3_74
.LBB3_72:                               ;   in Loop: Header=BB3_28 Depth=1
                                        ; implicit-def: $vgpr16_vgpr17
	s_mov_b32 s17, 0
	s_branch .LBB3_75
.LBB3_73:                               ;   in Loop: Header=BB3_28 Depth=1
	v_mov_b64_e32 v[16:17], 0
.LBB3_74:                               ;   in Loop: Header=BB3_28 Depth=1
	s_mov_b64 s[12:13], s[0:1]
	s_mov_b32 s17, 0
	s_cbranch_execnz .LBB3_76
.LBB3_75:                               ;   in Loop: Header=BB3_28 Depth=1
	global_load_dwordx2 v[16:17], v29, s[0:1]
	s_add_i32 s17, s16, -8
.LBB3_76:                               ;   in Loop: Header=BB3_28 Depth=1
	s_cmp_gt_u32 s17, 7
	s_cbranch_scc1 .LBB3_80
; %bb.77:                               ;   in Loop: Header=BB3_28 Depth=1
	s_cmp_eq_u32 s17, 0
	s_cbranch_scc1 .LBB3_81
; %bb.78:                               ;   in Loop: Header=BB3_28 Depth=1
	s_mov_b64 s[0:1], 0
	v_mov_b64_e32 v[18:19], 0
	s_mov_b64 s[14:15], s[12:13]
.LBB3_79:                               ;   Parent Loop BB3_28 Depth=1
                                        ; =>  This Inner Loop Header: Depth=2
	global_load_ubyte v20, v29, s[14:15]
	s_add_i32 s17, s17, -1
	s_waitcnt vmcnt(0)
	v_and_b32_e32 v28, 0xffff, v20
	v_lshlrev_b64 v[20:21], s0, v[28:29]
	s_add_u32 s0, s0, 8
	s_addc_u32 s1, s1, 0
	s_add_u32 s14, s14, 1
	s_addc_u32 s15, s15, 0
	v_or_b32_e32 v18, v20, v18
	s_cmp_lg_u32 s17, 0
	v_or_b32_e32 v19, v21, v19
	s_cbranch_scc1 .LBB3_79
	s_branch .LBB3_82
.LBB3_80:                               ;   in Loop: Header=BB3_28 Depth=1
	s_branch .LBB3_83
.LBB3_81:                               ;   in Loop: Header=BB3_28 Depth=1
	v_mov_b64_e32 v[18:19], 0
.LBB3_82:                               ;   in Loop: Header=BB3_28 Depth=1
	s_cbranch_execnz .LBB3_84
.LBB3_83:                               ;   in Loop: Header=BB3_28 Depth=1
	global_load_dwordx2 v[18:19], v29, s[12:13]
.LBB3_84:                               ;   in Loop: Header=BB3_28 Depth=1
	v_readfirstlane_b32 s0, v1
	v_mov_b64_e32 v[30:31], 0
	s_nop 0
	v_cmp_eq_u32_e64 s[0:1], s0, v1
	s_and_saveexec_b64 s[12:13], s[0:1]
	s_cbranch_execz .LBB3_90
; %bb.85:                               ;   in Loop: Header=BB3_28 Depth=1
	global_load_dwordx2 v[22:23], v29, s[2:3] offset:24 sc0 sc1
	s_waitcnt vmcnt(0)
	buffer_inv sc0 sc1
	global_load_dwordx2 v[20:21], v29, s[2:3] offset:40
	global_load_dwordx2 v[30:31], v29, s[2:3]
	s_waitcnt vmcnt(1)
	v_and_b32_e32 v20, v20, v22
	v_and_b32_e32 v21, v21, v23
	v_mul_lo_u32 v21, v21, 24
	v_mul_hi_u32 v25, v20, 24
	v_add_u32_e32 v21, v25, v21
	v_mul_lo_u32 v20, v20, 24
	s_waitcnt vmcnt(0)
	v_lshl_add_u64 v[20:21], v[30:31], 0, v[20:21]
	global_load_dwordx2 v[20:21], v[20:21], off sc0 sc1
	s_waitcnt vmcnt(0)
	global_atomic_cmpswap_x2 v[30:31], v29, v[20:23], s[2:3] offset:24 sc0 sc1
	s_waitcnt vmcnt(0)
	buffer_inv sc0 sc1
	v_cmp_ne_u64_e32 vcc, v[30:31], v[22:23]
	s_and_saveexec_b64 s[14:15], vcc
	s_cbranch_execz .LBB3_89
; %bb.86:                               ;   in Loop: Header=BB3_28 Depth=1
	s_mov_b64 s[16:17], 0
.LBB3_87:                               ;   Parent Loop BB3_28 Depth=1
                                        ; =>  This Inner Loop Header: Depth=2
	s_sleep 1
	global_load_dwordx2 v[20:21], v29, s[2:3] offset:40
	global_load_dwordx2 v[32:33], v29, s[2:3]
	v_mov_b64_e32 v[22:23], v[30:31]
	s_waitcnt vmcnt(1)
	v_and_b32_e32 v20, v20, v22
	v_and_b32_e32 v25, v21, v23
	s_waitcnt vmcnt(0)
	v_mad_u64_u32 v[20:21], s[18:19], v20, 24, v[32:33]
	v_mov_b32_e32 v28, v21
	v_mad_u64_u32 v[30:31], s[18:19], v25, 24, v[28:29]
	v_mov_b32_e32 v21, v30
	global_load_dwordx2 v[20:21], v[20:21], off sc0 sc1
	s_waitcnt vmcnt(0)
	global_atomic_cmpswap_x2 v[30:31], v29, v[20:23], s[2:3] offset:24 sc0 sc1
	s_waitcnt vmcnt(0)
	buffer_inv sc0 sc1
	v_cmp_eq_u64_e32 vcc, v[30:31], v[22:23]
	s_or_b64 s[16:17], vcc, s[16:17]
	s_andn2_b64 exec, exec, s[16:17]
	s_cbranch_execnz .LBB3_87
; %bb.88:                               ;   in Loop: Header=BB3_28 Depth=1
	s_or_b64 exec, exec, s[16:17]
.LBB3_89:                               ;   in Loop: Header=BB3_28 Depth=1
	s_or_b64 exec, exec, s[14:15]
.LBB3_90:                               ;   in Loop: Header=BB3_28 Depth=1
	s_or_b64 exec, exec, s[12:13]
	global_load_dwordx2 v[32:33], v29, s[2:3] offset:40
	global_load_dwordx4 v[20:23], v29, s[2:3]
	v_readfirstlane_b32 s13, v31
	v_readfirstlane_b32 s12, v30
	s_mov_b64 s[14:15], exec
	s_waitcnt vmcnt(1)
	v_readfirstlane_b32 s16, v32
	v_readfirstlane_b32 s17, v33
	s_and_b64 s[16:17], s[16:17], s[12:13]
	s_mul_i32 s18, s17, 24
	s_mul_hi_u32 s19, s16, 24
	s_add_i32 s19, s19, s18
	s_mul_i32 s18, s16, 24
	s_waitcnt vmcnt(0)
	v_lshl_add_u64 v[30:31], v[20:21], 0, s[18:19]
	s_and_saveexec_b64 s[18:19], s[0:1]
	s_cbranch_execz .LBB3_92
; %bb.91:                               ;   in Loop: Header=BB3_28 Depth=1
	v_mov_b64_e32 v[32:33], s[14:15]
	global_store_dwordx4 v[30:31], v[32:35], off offset:8
.LBB3_92:                               ;   in Loop: Header=BB3_28 Depth=1
	s_or_b64 exec, exec, s[18:19]
	s_lshl_b64 s[14:15], s[16:17], 12
	v_lshl_add_u64 v[22:23], v[22:23], 0, s[14:15]
	v_cmp_lt_u64_e64 vcc, s[6:7], 57
	s_lshl_b32 s14, s10, 2
	s_add_i32 s14, s14, 28
	v_cndmask_b32_e32 v25, 0, v26, vcc
	v_and_b32_e32 v2, 0xffffff1f, v2
	s_and_b32 s14, s14, 0x1e0
	v_or_b32_e32 v2, v2, v25
	v_or_b32_e32 v2, s14, v2
	v_readfirstlane_b32 s14, v22
	v_readfirstlane_b32 s15, v23
	s_nop 4
	global_store_dwordx4 v24, v[2:5], s[14:15]
	global_store_dwordx4 v24, v[8:11], s[14:15] offset:16
	global_store_dwordx4 v24, v[12:15], s[14:15] offset:32
	;; [unrolled: 1-line block ×3, first 2 shown]
	s_and_saveexec_b64 s[14:15], s[0:1]
	s_cbranch_execz .LBB3_100
; %bb.93:                               ;   in Loop: Header=BB3_28 Depth=1
	global_load_dwordx2 v[12:13], v29, s[2:3] offset:32 sc0 sc1
	global_load_dwordx2 v[2:3], v29, s[2:3] offset:40
	v_mov_b32_e32 v10, s12
	v_mov_b32_e32 v11, s13
	s_waitcnt vmcnt(0)
	v_readfirstlane_b32 s16, v2
	v_readfirstlane_b32 s17, v3
	s_and_b64 s[16:17], s[16:17], s[12:13]
	s_mul_i32 s17, s17, 24
	s_mul_hi_u32 s18, s16, 24
	s_mul_i32 s16, s16, 24
	s_add_i32 s17, s18, s17
	v_lshl_add_u64 v[8:9], v[20:21], 0, s[16:17]
	global_store_dwordx2 v[8:9], v[12:13], off
	buffer_wbl2 sc0 sc1
	s_waitcnt vmcnt(0)
	global_atomic_cmpswap_x2 v[4:5], v29, v[10:13], s[2:3] offset:32 sc0 sc1
	s_waitcnt vmcnt(0)
	v_cmp_ne_u64_e32 vcc, v[4:5], v[12:13]
	s_and_saveexec_b64 s[16:17], vcc
	s_cbranch_execz .LBB3_96
; %bb.94:                               ;   in Loop: Header=BB3_28 Depth=1
	s_mov_b64 s[18:19], 0
.LBB3_95:                               ;   Parent Loop BB3_28 Depth=1
                                        ; =>  This Inner Loop Header: Depth=2
	s_sleep 1
	global_store_dwordx2 v[8:9], v[4:5], off
	v_mov_b32_e32 v2, s12
	v_mov_b32_e32 v3, s13
	buffer_wbl2 sc0 sc1
	s_waitcnt vmcnt(0)
	global_atomic_cmpswap_x2 v[2:3], v29, v[2:5], s[2:3] offset:32 sc0 sc1
	s_waitcnt vmcnt(0)
	v_cmp_eq_u64_e32 vcc, v[2:3], v[4:5]
	s_or_b64 s[18:19], vcc, s[18:19]
	v_mov_b64_e32 v[4:5], v[2:3]
	s_andn2_b64 exec, exec, s[18:19]
	s_cbranch_execnz .LBB3_95
.LBB3_96:                               ;   in Loop: Header=BB3_28 Depth=1
	s_or_b64 exec, exec, s[16:17]
	global_load_dwordx2 v[2:3], v29, s[2:3] offset:16
	s_mov_b64 s[18:19], exec
	v_mbcnt_lo_u32_b32 v4, s18, 0
	v_mbcnt_hi_u32_b32 v4, s19, v4
	v_cmp_eq_u32_e32 vcc, 0, v4
	s_and_saveexec_b64 s[16:17], vcc
	s_cbranch_execz .LBB3_98
; %bb.97:                               ;   in Loop: Header=BB3_28 Depth=1
	s_bcnt1_i32_b64 s18, s[18:19]
	v_mov_b32_e32 v28, s18
	buffer_wbl2 sc0 sc1
	s_waitcnt vmcnt(0)
	global_atomic_add_x2 v[2:3], v[28:29], off offset:8 sc1
.LBB3_98:                               ;   in Loop: Header=BB3_28 Depth=1
	s_or_b64 exec, exec, s[16:17]
	s_waitcnt vmcnt(0)
	global_load_dwordx2 v[4:5], v[2:3], off offset:16
	s_waitcnt vmcnt(0)
	v_cmp_eq_u64_e32 vcc, 0, v[4:5]
	s_cbranch_vccnz .LBB3_100
; %bb.99:                               ;   in Loop: Header=BB3_28 Depth=1
	global_load_dword v28, v[2:3], off offset:24
	s_waitcnt vmcnt(0)
	v_readfirstlane_b32 s16, v28
	s_and_b32 m0, s16, 0xffffff
	buffer_wbl2 sc0 sc1
	global_store_dwordx2 v[4:5], v[28:29], off sc0 sc1
	s_sendmsg sendmsg(MSG_INTERRUPT)
.LBB3_100:                              ;   in Loop: Header=BB3_28 Depth=1
	s_or_b64 exec, exec, s[14:15]
	v_mov_b32_e32 v25, v29
	v_lshl_add_u64 v[2:3], v[22:23], 0, v[24:25]
	s_branch .LBB3_104
.LBB3_101:                              ;   in Loop: Header=BB3_104 Depth=2
	s_or_b64 exec, exec, s[14:15]
	v_readfirstlane_b32 s14, v4
	s_cmp_eq_u32 s14, 0
	s_cbranch_scc1 .LBB3_103
; %bb.102:                              ;   in Loop: Header=BB3_104 Depth=2
	s_sleep 1
	s_cbranch_execnz .LBB3_104
	s_branch .LBB3_106
.LBB3_103:                              ;   in Loop: Header=BB3_28 Depth=1
	s_branch .LBB3_106
.LBB3_104:                              ;   Parent Loop BB3_28 Depth=1
                                        ; =>  This Inner Loop Header: Depth=2
	v_mov_b32_e32 v4, 1
	s_and_saveexec_b64 s[14:15], s[0:1]
	s_cbranch_execz .LBB3_101
; %bb.105:                              ;   in Loop: Header=BB3_104 Depth=2
	global_load_dword v4, v[30:31], off offset:20 sc0 sc1
	s_waitcnt vmcnt(0)
	buffer_inv sc0 sc1
	v_and_b32_e32 v4, 1, v4
	s_branch .LBB3_101
.LBB3_106:                              ;   in Loop: Header=BB3_28 Depth=1
	global_load_dwordx2 v[2:3], v[2:3], off
	s_and_saveexec_b64 s[14:15], s[0:1]
	s_cbranch_execz .LBB3_27
; %bb.107:                              ;   in Loop: Header=BB3_28 Depth=1
	global_load_dwordx2 v[4:5], v29, s[2:3] offset:40
	global_load_dwordx2 v[12:13], v29, s[2:3] offset:24 sc0 sc1
	global_load_dwordx2 v[8:9], v29, s[2:3]
	s_waitcnt vmcnt(2)
	v_readfirstlane_b32 s16, v4
	v_readfirstlane_b32 s17, v5
	s_add_u32 s18, s16, 1
	s_addc_u32 s19, s17, 0
	s_add_u32 s0, s18, s12
	s_addc_u32 s1, s19, s13
	s_cmp_eq_u64 s[0:1], 0
	s_cselect_b32 s1, s19, s1
	s_cselect_b32 s0, s18, s0
	s_and_b64 s[12:13], s[0:1], s[16:17]
	s_mul_i32 s13, s13, 24
	s_mul_hi_u32 s16, s12, 24
	s_mul_i32 s12, s12, 24
	s_add_i32 s13, s16, s13
	s_waitcnt vmcnt(0)
	v_lshl_add_u64 v[4:5], v[8:9], 0, s[12:13]
	v_mov_b32_e32 v10, s0
	global_store_dwordx2 v[4:5], v[12:13], off
	v_mov_b32_e32 v11, s1
	buffer_wbl2 sc0 sc1
	s_waitcnt vmcnt(0)
	global_atomic_cmpswap_x2 v[10:11], v29, v[10:13], s[2:3] offset:24 sc0 sc1
	s_waitcnt vmcnt(0)
	v_cmp_ne_u64_e32 vcc, v[10:11], v[12:13]
	s_and_b64 exec, exec, vcc
	s_cbranch_execz .LBB3_27
; %bb.108:                              ;   in Loop: Header=BB3_28 Depth=1
	s_mov_b64 s[12:13], 0
.LBB3_109:                              ;   Parent Loop BB3_28 Depth=1
                                        ; =>  This Inner Loop Header: Depth=2
	s_sleep 1
	global_store_dwordx2 v[4:5], v[10:11], off
	v_mov_b32_e32 v8, s0
	v_mov_b32_e32 v9, s1
	buffer_wbl2 sc0 sc1
	s_waitcnt vmcnt(0)
	global_atomic_cmpswap_x2 v[8:9], v29, v[8:11], s[2:3] offset:24 sc0 sc1
	s_waitcnt vmcnt(0)
	v_cmp_eq_u64_e32 vcc, v[8:9], v[10:11]
	s_or_b64 s[12:13], vcc, s[12:13]
	v_mov_b64_e32 v[10:11], v[8:9]
	s_andn2_b64 exec, exec, s[12:13]
	s_cbranch_execnz .LBB3_109
	s_branch .LBB3_27
.LBB3_110:
                                        ; implicit-def: $vgpr2_vgpr3
	s_cbranch_execnz .LBB3_112
	s_branch .LBB3_138
.LBB3_111:
	s_branch .LBB3_138
.LBB3_112:
	v_readfirstlane_b32 s0, v1
	v_mov_b64_e32 v[8:9], 0
	s_nop 0
	v_cmp_eq_u32_e64 s[0:1], s0, v1
	s_and_saveexec_b64 s[4:5], s[0:1]
	s_cbranch_execz .LBB3_118
; %bb.113:
	s_waitcnt vmcnt(0)
	v_mov_b32_e32 v2, 0
	global_load_dwordx2 v[10:11], v2, s[2:3] offset:24 sc0 sc1
	s_waitcnt vmcnt(0)
	buffer_inv sc0 sc1
	global_load_dwordx2 v[4:5], v2, s[2:3] offset:40
	global_load_dwordx2 v[8:9], v2, s[2:3]
	s_waitcnt vmcnt(1)
	v_and_b32_e32 v3, v4, v10
	v_and_b32_e32 v4, v5, v11
	v_mul_lo_u32 v4, v4, 24
	v_mul_hi_u32 v5, v3, 24
	v_add_u32_e32 v5, v5, v4
	v_mul_lo_u32 v4, v3, 24
	s_waitcnt vmcnt(0)
	v_lshl_add_u64 v[4:5], v[8:9], 0, v[4:5]
	global_load_dwordx2 v[8:9], v[4:5], off sc0 sc1
	s_waitcnt vmcnt(0)
	global_atomic_cmpswap_x2 v[8:9], v2, v[8:11], s[2:3] offset:24 sc0 sc1
	s_waitcnt vmcnt(0)
	buffer_inv sc0 sc1
	v_cmp_ne_u64_e32 vcc, v[8:9], v[10:11]
	s_and_saveexec_b64 s[6:7], vcc
	s_cbranch_execz .LBB3_117
; %bb.114:
	s_mov_b64 s[10:11], 0
.LBB3_115:                              ; =>This Inner Loop Header: Depth=1
	s_sleep 1
	global_load_dwordx2 v[4:5], v2, s[2:3] offset:40
	global_load_dwordx2 v[12:13], v2, s[2:3]
	v_mov_b64_e32 v[10:11], v[8:9]
	s_waitcnt vmcnt(1)
	v_and_b32_e32 v4, v4, v10
	v_and_b32_e32 v3, v5, v11
	s_waitcnt vmcnt(0)
	v_mad_u64_u32 v[4:5], s[12:13], v4, 24, v[12:13]
	v_mov_b32_e32 v8, v5
	v_mad_u64_u32 v[8:9], s[12:13], v3, 24, v[8:9]
	v_mov_b32_e32 v5, v8
	global_load_dwordx2 v[8:9], v[4:5], off sc0 sc1
	s_waitcnt vmcnt(0)
	global_atomic_cmpswap_x2 v[8:9], v2, v[8:11], s[2:3] offset:24 sc0 sc1
	s_waitcnt vmcnt(0)
	buffer_inv sc0 sc1
	v_cmp_eq_u64_e32 vcc, v[8:9], v[10:11]
	s_or_b64 s[10:11], vcc, s[10:11]
	s_andn2_b64 exec, exec, s[10:11]
	s_cbranch_execnz .LBB3_115
; %bb.116:
	s_or_b64 exec, exec, s[10:11]
.LBB3_117:
	s_or_b64 exec, exec, s[6:7]
.LBB3_118:
	s_or_b64 exec, exec, s[4:5]
	v_mov_b32_e32 v25, 0
	global_load_dwordx2 v[10:11], v25, s[2:3] offset:40
	global_load_dwordx4 v[2:5], v25, s[2:3]
	v_readfirstlane_b32 s5, v9
	v_readfirstlane_b32 s4, v8
	s_mov_b64 s[6:7], exec
	s_waitcnt vmcnt(1)
	v_readfirstlane_b32 s10, v10
	v_readfirstlane_b32 s11, v11
	s_and_b64 s[10:11], s[10:11], s[4:5]
	s_mul_i32 s12, s11, 24
	s_mul_hi_u32 s13, s10, 24
	s_add_i32 s13, s13, s12
	s_mul_i32 s12, s10, 24
	s_waitcnt vmcnt(0)
	v_lshl_add_u64 v[10:11], v[2:3], 0, s[12:13]
	s_and_saveexec_b64 s[12:13], s[0:1]
	s_cbranch_execz .LBB3_120
; %bb.119:
	v_mov_b64_e32 v[12:13], s[6:7]
	v_mov_b32_e32 v14, 2
	v_mov_b32_e32 v15, 1
	global_store_dwordx4 v[10:11], v[12:15], off offset:8
.LBB3_120:
	s_or_b64 exec, exec, s[12:13]
	s_lshl_b64 s[6:7], s[10:11], 12
	v_lshl_add_u64 v[12:13], v[4:5], 0, s[6:7]
	s_movk_i32 s6, 0xff1f
	s_mov_b32 s12, 0
	v_and_or_b32 v6, v6, s6, 32
	v_mov_b32_e32 v8, v25
	v_mov_b32_e32 v9, v25
	v_readfirstlane_b32 s6, v12
	v_readfirstlane_b32 s7, v13
	s_mov_b32 s13, s12
	s_mov_b32 s14, s12
	;; [unrolled: 1-line block ×3, first 2 shown]
	s_nop 1
	global_store_dwordx4 v24, v[6:9], s[6:7]
	v_mov_b64_e32 v[4:5], s[12:13]
	s_nop 0
	v_mov_b64_e32 v[6:7], s[14:15]
	global_store_dwordx4 v24, v[4:7], s[6:7] offset:16
	global_store_dwordx4 v24, v[4:7], s[6:7] offset:32
	;; [unrolled: 1-line block ×3, first 2 shown]
	s_and_saveexec_b64 s[6:7], s[0:1]
	s_cbranch_execz .LBB3_128
; %bb.121:
	v_mov_b32_e32 v8, 0
	global_load_dwordx2 v[16:17], v8, s[2:3] offset:32 sc0 sc1
	global_load_dwordx2 v[4:5], v8, s[2:3] offset:40
	v_mov_b32_e32 v14, s4
	v_mov_b32_e32 v15, s5
	s_waitcnt vmcnt(0)
	v_readfirstlane_b32 s10, v4
	v_readfirstlane_b32 s11, v5
	s_and_b64 s[10:11], s[10:11], s[4:5]
	s_mul_i32 s11, s11, 24
	s_mul_hi_u32 s12, s10, 24
	s_mul_i32 s10, s10, 24
	s_add_i32 s11, s12, s11
	v_lshl_add_u64 v[6:7], v[2:3], 0, s[10:11]
	global_store_dwordx2 v[6:7], v[16:17], off
	buffer_wbl2 sc0 sc1
	s_waitcnt vmcnt(0)
	global_atomic_cmpswap_x2 v[4:5], v8, v[14:17], s[2:3] offset:32 sc0 sc1
	s_waitcnt vmcnt(0)
	v_cmp_ne_u64_e32 vcc, v[4:5], v[16:17]
	s_and_saveexec_b64 s[10:11], vcc
	s_cbranch_execz .LBB3_124
; %bb.122:
	s_mov_b64 s[12:13], 0
.LBB3_123:                              ; =>This Inner Loop Header: Depth=1
	s_sleep 1
	global_store_dwordx2 v[6:7], v[4:5], off
	v_mov_b32_e32 v2, s4
	v_mov_b32_e32 v3, s5
	buffer_wbl2 sc0 sc1
	s_waitcnt vmcnt(0)
	global_atomic_cmpswap_x2 v[2:3], v8, v[2:5], s[2:3] offset:32 sc0 sc1
	s_waitcnt vmcnt(0)
	v_cmp_eq_u64_e32 vcc, v[2:3], v[4:5]
	s_or_b64 s[12:13], vcc, s[12:13]
	v_mov_b64_e32 v[4:5], v[2:3]
	s_andn2_b64 exec, exec, s[12:13]
	s_cbranch_execnz .LBB3_123
.LBB3_124:
	s_or_b64 exec, exec, s[10:11]
	v_mov_b32_e32 v5, 0
	global_load_dwordx2 v[2:3], v5, s[2:3] offset:16
	s_mov_b64 s[10:11], exec
	v_mbcnt_lo_u32_b32 v4, s10, 0
	v_mbcnt_hi_u32_b32 v4, s11, v4
	v_cmp_eq_u32_e32 vcc, 0, v4
	s_and_saveexec_b64 s[12:13], vcc
	s_cbranch_execz .LBB3_126
; %bb.125:
	s_bcnt1_i32_b64 s10, s[10:11]
	v_mov_b32_e32 v4, s10
	buffer_wbl2 sc0 sc1
	s_waitcnt vmcnt(0)
	global_atomic_add_x2 v[2:3], v[4:5], off offset:8 sc1
.LBB3_126:
	s_or_b64 exec, exec, s[12:13]
	s_waitcnt vmcnt(0)
	global_load_dwordx2 v[4:5], v[2:3], off offset:16
	s_waitcnt vmcnt(0)
	v_cmp_eq_u64_e32 vcc, 0, v[4:5]
	s_cbranch_vccnz .LBB3_128
; %bb.127:
	global_load_dword v2, v[2:3], off offset:24
	v_mov_b32_e32 v3, 0
	s_waitcnt vmcnt(0)
	v_readfirstlane_b32 s10, v2
	s_and_b32 m0, s10, 0xffffff
	buffer_wbl2 sc0 sc1
	global_store_dwordx2 v[4:5], v[2:3], off sc0 sc1
	s_sendmsg sendmsg(MSG_INTERRUPT)
.LBB3_128:
	s_or_b64 exec, exec, s[6:7]
	v_lshl_add_u64 v[2:3], v[12:13], 0, v[24:25]
	s_branch .LBB3_132
.LBB3_129:                              ;   in Loop: Header=BB3_132 Depth=1
	s_or_b64 exec, exec, s[6:7]
	v_readfirstlane_b32 s6, v4
	s_cmp_eq_u32 s6, 0
	s_cbranch_scc1 .LBB3_131
; %bb.130:                              ;   in Loop: Header=BB3_132 Depth=1
	s_sleep 1
	s_cbranch_execnz .LBB3_132
	s_branch .LBB3_134
.LBB3_131:
	s_branch .LBB3_134
.LBB3_132:                              ; =>This Inner Loop Header: Depth=1
	v_mov_b32_e32 v4, 1
	s_and_saveexec_b64 s[6:7], s[0:1]
	s_cbranch_execz .LBB3_129
; %bb.133:                              ;   in Loop: Header=BB3_132 Depth=1
	global_load_dword v4, v[10:11], off offset:20 sc0 sc1
	s_waitcnt vmcnt(0)
	buffer_inv sc0 sc1
	v_and_b32_e32 v4, 1, v4
	s_branch .LBB3_129
.LBB3_134:
	global_load_dwordx2 v[2:3], v[2:3], off
	s_and_saveexec_b64 s[6:7], s[0:1]
	s_cbranch_execz .LBB3_137
; %bb.135:
	v_mov_b32_e32 v10, 0
	global_load_dwordx2 v[4:5], v10, s[2:3] offset:40
	global_load_dwordx2 v[14:15], v10, s[2:3] offset:24 sc0 sc1
	global_load_dwordx2 v[6:7], v10, s[2:3]
	s_waitcnt vmcnt(2)
	v_readfirstlane_b32 s10, v4
	v_readfirstlane_b32 s11, v5
	s_add_u32 s12, s10, 1
	s_addc_u32 s13, s11, 0
	s_add_u32 s0, s12, s4
	s_addc_u32 s1, s13, s5
	s_cmp_eq_u64 s[0:1], 0
	s_cselect_b32 s1, s13, s1
	s_cselect_b32 s0, s12, s0
	s_and_b64 s[4:5], s[0:1], s[10:11]
	s_mul_i32 s5, s5, 24
	s_mul_hi_u32 s10, s4, 24
	s_mul_i32 s4, s4, 24
	s_add_i32 s5, s10, s5
	s_waitcnt vmcnt(0)
	v_lshl_add_u64 v[8:9], v[6:7], 0, s[4:5]
	v_mov_b32_e32 v12, s0
	global_store_dwordx2 v[8:9], v[14:15], off
	v_mov_b32_e32 v13, s1
	buffer_wbl2 sc0 sc1
	s_waitcnt vmcnt(0)
	global_atomic_cmpswap_x2 v[6:7], v10, v[12:15], s[2:3] offset:24 sc0 sc1
	s_mov_b64 s[4:5], 0
	s_waitcnt vmcnt(0)
	v_cmp_ne_u64_e32 vcc, v[6:7], v[14:15]
	s_and_b64 exec, exec, vcc
	s_cbranch_execz .LBB3_137
.LBB3_136:                              ; =>This Inner Loop Header: Depth=1
	s_sleep 1
	global_store_dwordx2 v[8:9], v[6:7], off
	v_mov_b32_e32 v4, s0
	v_mov_b32_e32 v5, s1
	buffer_wbl2 sc0 sc1
	s_waitcnt vmcnt(0)
	global_atomic_cmpswap_x2 v[4:5], v10, v[4:7], s[2:3] offset:24 sc0 sc1
	s_waitcnt vmcnt(0)
	v_cmp_eq_u64_e32 vcc, v[4:5], v[6:7]
	s_or_b64 s[4:5], vcc, s[4:5]
	v_mov_b64_e32 v[6:7], v[4:5]
	s_andn2_b64 exec, exec, s[4:5]
	s_cbranch_execnz .LBB3_136
.LBB3_137:
	s_or_b64 exec, exec, s[6:7]
.LBB3_138:
	s_getpc_b64 s[4:5]
	s_add_u32 s4, s4, .str.3@rel32@lo+4
	s_addc_u32 s5, s5, .str.3@rel32@hi+12
	s_cmp_lg_u64 s[4:5], 0
	s_cselect_b64 s[0:1], -1, 0
	s_cmp_eq_u64 s[4:5], 0
	s_mov_b64 s[4:5], 0
	s_cbranch_scc1 .LBB3_142
; %bb.139:
	v_mov_b32_e32 v4, 0
	s_getpc_b64 s[4:5]
	s_add_u32 s4, s4, .str.3@rel32@lo+3
	s_addc_u32 s5, s5, .str.3@rel32@hi+11
.LBB3_140:                              ; =>This Inner Loop Header: Depth=1
	global_load_ubyte v5, v4, s[4:5] offset:1
	s_add_u32 s6, s4, 1
	s_addc_u32 s7, s5, 0
	s_mov_b64 s[4:5], s[6:7]
	s_waitcnt vmcnt(0)
	v_cmp_ne_u32_e32 vcc, 0, v5
	s_cbranch_vccnz .LBB3_140
; %bb.141:
	s_getpc_b64 s[4:5]
	s_add_u32 s4, s4, .str.3@rel32@lo+4
	s_addc_u32 s5, s5, .str.3@rel32@hi+12
	s_sub_u32 s4, s6, s4
	s_subb_u32 s5, s7, s5
	s_add_u32 s4, s4, 1
	s_addc_u32 s5, s5, 0
.LBB3_142:
	s_and_b64 vcc, exec, s[0:1]
	s_cbranch_vccz .LBB3_227
; %bb.143:
	s_waitcnt vmcnt(0)
	v_and_b32_e32 v26, 2, v2
	v_mov_b32_e32 v29, 0
	v_and_b32_e32 v4, -3, v2
	v_mov_b32_e32 v5, v3
	v_mov_b32_e32 v34, 2
	;; [unrolled: 1-line block ×3, first 2 shown]
	s_getpc_b64 s[6:7]
	s_add_u32 s6, s6, .str.3@rel32@lo+4
	s_addc_u32 s7, s7, .str.3@rel32@hi+12
	s_branch .LBB3_145
.LBB3_144:                              ;   in Loop: Header=BB3_145 Depth=1
	s_or_b64 exec, exec, s[14:15]
	s_sub_u32 s4, s4, s10
	s_subb_u32 s5, s5, s11
	s_add_u32 s6, s6, s10
	s_addc_u32 s7, s7, s11
	s_cmp_lg_u64 s[4:5], 0
	s_cbranch_scc0 .LBB3_228
.LBB3_145:                              ; =>This Loop Header: Depth=1
                                        ;     Child Loop BB3_148 Depth 2
                                        ;     Child Loop BB3_156 Depth 2
                                        ;     Child Loop BB3_164 Depth 2
                                        ;     Child Loop BB3_172 Depth 2
                                        ;     Child Loop BB3_180 Depth 2
                                        ;     Child Loop BB3_188 Depth 2
                                        ;     Child Loop BB3_196 Depth 2
                                        ;     Child Loop BB3_204 Depth 2
                                        ;     Child Loop BB3_212 Depth 2
                                        ;     Child Loop BB3_221 Depth 2
                                        ;     Child Loop BB3_226 Depth 2
	v_cmp_lt_u64_e64 s[0:1], s[4:5], 56
	s_and_b64 s[0:1], s[0:1], exec
	s_cselect_b32 s11, s5, 0
	s_cselect_b32 s10, s4, 56
	v_cmp_gt_u64_e64 s[12:13], s[4:5], 7
	s_add_u32 s0, s6, 8
	s_addc_u32 s1, s7, 0
	s_and_b64 vcc, exec, s[12:13]
	s_cbranch_vccnz .LBB3_149
; %bb.146:                              ;   in Loop: Header=BB3_145 Depth=1
	s_cmp_eq_u64 s[4:5], 0
	s_cbranch_scc1 .LBB3_150
; %bb.147:                              ;   in Loop: Header=BB3_145 Depth=1
	s_lshl_b64 s[0:1], s[10:11], 3
	s_mov_b64 s[12:13], 0
	v_mov_b64_e32 v[6:7], 0
	s_mov_b64 s[14:15], s[6:7]
.LBB3_148:                              ;   Parent Loop BB3_145 Depth=1
                                        ; =>  This Inner Loop Header: Depth=2
	global_load_ubyte v8, v29, s[14:15]
	s_waitcnt vmcnt(0)
	v_and_b32_e32 v28, 0xffff, v8
	v_lshlrev_b64 v[8:9], s12, v[28:29]
	s_add_u32 s12, s12, 8
	s_addc_u32 s13, s13, 0
	s_add_u32 s14, s14, 1
	s_addc_u32 s15, s15, 0
	v_or_b32_e32 v6, v8, v6
	s_cmp_lg_u32 s0, s12
	v_or_b32_e32 v7, v9, v7
	s_cbranch_scc1 .LBB3_148
	s_branch .LBB3_151
.LBB3_149:                              ;   in Loop: Header=BB3_145 Depth=1
	s_mov_b32 s16, 0
	s_branch .LBB3_152
.LBB3_150:                              ;   in Loop: Header=BB3_145 Depth=1
	v_mov_b64_e32 v[6:7], 0
.LBB3_151:                              ;   in Loop: Header=BB3_145 Depth=1
	s_mov_b64 s[0:1], s[6:7]
	s_mov_b32 s16, 0
	s_cbranch_execnz .LBB3_153
.LBB3_152:                              ;   in Loop: Header=BB3_145 Depth=1
	global_load_dwordx2 v[6:7], v29, s[6:7]
	s_add_i32 s16, s10, -8
.LBB3_153:                              ;   in Loop: Header=BB3_145 Depth=1
	s_add_u32 s12, s0, 8
	s_addc_u32 s13, s1, 0
	s_cmp_gt_u32 s16, 7
	s_cbranch_scc1 .LBB3_157
; %bb.154:                              ;   in Loop: Header=BB3_145 Depth=1
	s_cmp_eq_u32 s16, 0
	s_cbranch_scc1 .LBB3_158
; %bb.155:                              ;   in Loop: Header=BB3_145 Depth=1
	s_mov_b64 s[12:13], 0
	v_mov_b64_e32 v[8:9], 0
	s_mov_b64 s[14:15], 0
.LBB3_156:                              ;   Parent Loop BB3_145 Depth=1
                                        ; =>  This Inner Loop Header: Depth=2
	s_add_u32 s18, s0, s14
	s_addc_u32 s19, s1, s15
	global_load_ubyte v10, v29, s[18:19]
	s_add_u32 s14, s14, 1
	s_addc_u32 s15, s15, 0
	s_waitcnt vmcnt(0)
	v_and_b32_e32 v28, 0xffff, v10
	v_lshlrev_b64 v[10:11], s12, v[28:29]
	s_add_u32 s12, s12, 8
	s_addc_u32 s13, s13, 0
	v_or_b32_e32 v8, v10, v8
	s_cmp_lg_u32 s16, s14
	v_or_b32_e32 v9, v11, v9
	s_cbranch_scc1 .LBB3_156
	s_branch .LBB3_159
.LBB3_157:                              ;   in Loop: Header=BB3_145 Depth=1
                                        ; implicit-def: $vgpr8_vgpr9
	s_mov_b32 s17, 0
	s_branch .LBB3_160
.LBB3_158:                              ;   in Loop: Header=BB3_145 Depth=1
	v_mov_b64_e32 v[8:9], 0
.LBB3_159:                              ;   in Loop: Header=BB3_145 Depth=1
	s_mov_b64 s[12:13], s[0:1]
	s_mov_b32 s17, 0
	s_cbranch_execnz .LBB3_161
.LBB3_160:                              ;   in Loop: Header=BB3_145 Depth=1
	global_load_dwordx2 v[8:9], v29, s[0:1]
	s_add_i32 s17, s16, -8
.LBB3_161:                              ;   in Loop: Header=BB3_145 Depth=1
	s_add_u32 s0, s12, 8
	s_addc_u32 s1, s13, 0
	s_cmp_gt_u32 s17, 7
	s_cbranch_scc1 .LBB3_165
; %bb.162:                              ;   in Loop: Header=BB3_145 Depth=1
	s_cmp_eq_u32 s17, 0
	s_cbranch_scc1 .LBB3_166
; %bb.163:                              ;   in Loop: Header=BB3_145 Depth=1
	s_mov_b64 s[0:1], 0
	v_mov_b64_e32 v[10:11], 0
	s_mov_b64 s[14:15], 0
.LBB3_164:                              ;   Parent Loop BB3_145 Depth=1
                                        ; =>  This Inner Loop Header: Depth=2
	s_add_u32 s18, s12, s14
	s_addc_u32 s19, s13, s15
	global_load_ubyte v12, v29, s[18:19]
	s_add_u32 s14, s14, 1
	s_addc_u32 s15, s15, 0
	s_waitcnt vmcnt(0)
	v_and_b32_e32 v28, 0xffff, v12
	v_lshlrev_b64 v[12:13], s0, v[28:29]
	s_add_u32 s0, s0, 8
	s_addc_u32 s1, s1, 0
	v_or_b32_e32 v10, v12, v10
	s_cmp_lg_u32 s17, s14
	v_or_b32_e32 v11, v13, v11
	s_cbranch_scc1 .LBB3_164
	s_branch .LBB3_167
.LBB3_165:                              ;   in Loop: Header=BB3_145 Depth=1
	s_mov_b32 s16, 0
	s_branch .LBB3_168
.LBB3_166:                              ;   in Loop: Header=BB3_145 Depth=1
	v_mov_b64_e32 v[10:11], 0
.LBB3_167:                              ;   in Loop: Header=BB3_145 Depth=1
	s_mov_b64 s[0:1], s[12:13]
	s_mov_b32 s16, 0
	s_cbranch_execnz .LBB3_169
.LBB3_168:                              ;   in Loop: Header=BB3_145 Depth=1
	global_load_dwordx2 v[10:11], v29, s[12:13]
	s_add_i32 s16, s17, -8
.LBB3_169:                              ;   in Loop: Header=BB3_145 Depth=1
	s_add_u32 s12, s0, 8
	s_addc_u32 s13, s1, 0
	s_cmp_gt_u32 s16, 7
	s_cbranch_scc1 .LBB3_173
; %bb.170:                              ;   in Loop: Header=BB3_145 Depth=1
	s_cmp_eq_u32 s16, 0
	s_cbranch_scc1 .LBB3_174
; %bb.171:                              ;   in Loop: Header=BB3_145 Depth=1
	s_mov_b64 s[12:13], 0
	v_mov_b64_e32 v[12:13], 0
	s_mov_b64 s[14:15], 0
.LBB3_172:                              ;   Parent Loop BB3_145 Depth=1
                                        ; =>  This Inner Loop Header: Depth=2
	s_add_u32 s18, s0, s14
	s_addc_u32 s19, s1, s15
	global_load_ubyte v14, v29, s[18:19]
	s_add_u32 s14, s14, 1
	s_addc_u32 s15, s15, 0
	s_waitcnt vmcnt(0)
	v_and_b32_e32 v28, 0xffff, v14
	v_lshlrev_b64 v[14:15], s12, v[28:29]
	s_add_u32 s12, s12, 8
	s_addc_u32 s13, s13, 0
	v_or_b32_e32 v12, v14, v12
	s_cmp_lg_u32 s16, s14
	v_or_b32_e32 v13, v15, v13
	s_cbranch_scc1 .LBB3_172
	s_branch .LBB3_175
.LBB3_173:                              ;   in Loop: Header=BB3_145 Depth=1
                                        ; implicit-def: $vgpr12_vgpr13
	s_mov_b32 s17, 0
	s_branch .LBB3_176
.LBB3_174:                              ;   in Loop: Header=BB3_145 Depth=1
	v_mov_b64_e32 v[12:13], 0
.LBB3_175:                              ;   in Loop: Header=BB3_145 Depth=1
	s_mov_b64 s[12:13], s[0:1]
	s_mov_b32 s17, 0
	s_cbranch_execnz .LBB3_177
.LBB3_176:                              ;   in Loop: Header=BB3_145 Depth=1
	global_load_dwordx2 v[12:13], v29, s[0:1]
	s_add_i32 s17, s16, -8
.LBB3_177:                              ;   in Loop: Header=BB3_145 Depth=1
	s_add_u32 s0, s12, 8
	s_addc_u32 s1, s13, 0
	s_cmp_gt_u32 s17, 7
	s_cbranch_scc1 .LBB3_181
; %bb.178:                              ;   in Loop: Header=BB3_145 Depth=1
	s_cmp_eq_u32 s17, 0
	s_cbranch_scc1 .LBB3_182
; %bb.179:                              ;   in Loop: Header=BB3_145 Depth=1
	s_mov_b64 s[0:1], 0
	v_mov_b64_e32 v[14:15], 0
	s_mov_b64 s[14:15], 0
.LBB3_180:                              ;   Parent Loop BB3_145 Depth=1
                                        ; =>  This Inner Loop Header: Depth=2
	s_add_u32 s18, s12, s14
	s_addc_u32 s19, s13, s15
	global_load_ubyte v16, v29, s[18:19]
	s_add_u32 s14, s14, 1
	s_addc_u32 s15, s15, 0
	s_waitcnt vmcnt(0)
	v_and_b32_e32 v28, 0xffff, v16
	v_lshlrev_b64 v[16:17], s0, v[28:29]
	s_add_u32 s0, s0, 8
	s_addc_u32 s1, s1, 0
	v_or_b32_e32 v14, v16, v14
	s_cmp_lg_u32 s17, s14
	v_or_b32_e32 v15, v17, v15
	s_cbranch_scc1 .LBB3_180
	s_branch .LBB3_183
.LBB3_181:                              ;   in Loop: Header=BB3_145 Depth=1
	s_mov_b32 s16, 0
	s_branch .LBB3_184
.LBB3_182:                              ;   in Loop: Header=BB3_145 Depth=1
	v_mov_b64_e32 v[14:15], 0
.LBB3_183:                              ;   in Loop: Header=BB3_145 Depth=1
	s_mov_b64 s[0:1], s[12:13]
	s_mov_b32 s16, 0
	s_cbranch_execnz .LBB3_185
.LBB3_184:                              ;   in Loop: Header=BB3_145 Depth=1
	global_load_dwordx2 v[14:15], v29, s[12:13]
	s_add_i32 s16, s17, -8
.LBB3_185:                              ;   in Loop: Header=BB3_145 Depth=1
	s_add_u32 s12, s0, 8
	s_addc_u32 s13, s1, 0
	s_cmp_gt_u32 s16, 7
	s_cbranch_scc1 .LBB3_189
; %bb.186:                              ;   in Loop: Header=BB3_145 Depth=1
	s_cmp_eq_u32 s16, 0
	s_cbranch_scc1 .LBB3_190
; %bb.187:                              ;   in Loop: Header=BB3_145 Depth=1
	s_mov_b64 s[12:13], 0
	v_mov_b64_e32 v[16:17], 0
	s_mov_b64 s[14:15], 0
.LBB3_188:                              ;   Parent Loop BB3_145 Depth=1
                                        ; =>  This Inner Loop Header: Depth=2
	s_add_u32 s18, s0, s14
	s_addc_u32 s19, s1, s15
	global_load_ubyte v18, v29, s[18:19]
	s_add_u32 s14, s14, 1
	s_addc_u32 s15, s15, 0
	s_waitcnt vmcnt(0)
	v_and_b32_e32 v28, 0xffff, v18
	v_lshlrev_b64 v[18:19], s12, v[28:29]
	s_add_u32 s12, s12, 8
	s_addc_u32 s13, s13, 0
	v_or_b32_e32 v16, v18, v16
	s_cmp_lg_u32 s16, s14
	v_or_b32_e32 v17, v19, v17
	s_cbranch_scc1 .LBB3_188
	s_branch .LBB3_191
.LBB3_189:                              ;   in Loop: Header=BB3_145 Depth=1
                                        ; implicit-def: $vgpr16_vgpr17
	s_mov_b32 s17, 0
	s_branch .LBB3_192
.LBB3_190:                              ;   in Loop: Header=BB3_145 Depth=1
	v_mov_b64_e32 v[16:17], 0
.LBB3_191:                              ;   in Loop: Header=BB3_145 Depth=1
	s_mov_b64 s[12:13], s[0:1]
	s_mov_b32 s17, 0
	s_cbranch_execnz .LBB3_193
.LBB3_192:                              ;   in Loop: Header=BB3_145 Depth=1
	global_load_dwordx2 v[16:17], v29, s[0:1]
	s_add_i32 s17, s16, -8
.LBB3_193:                              ;   in Loop: Header=BB3_145 Depth=1
	s_cmp_gt_u32 s17, 7
	s_cbranch_scc1 .LBB3_197
; %bb.194:                              ;   in Loop: Header=BB3_145 Depth=1
	s_cmp_eq_u32 s17, 0
	s_cbranch_scc1 .LBB3_198
; %bb.195:                              ;   in Loop: Header=BB3_145 Depth=1
	s_mov_b64 s[0:1], 0
	v_mov_b64_e32 v[18:19], 0
	s_mov_b64 s[14:15], s[12:13]
.LBB3_196:                              ;   Parent Loop BB3_145 Depth=1
                                        ; =>  This Inner Loop Header: Depth=2
	global_load_ubyte v20, v29, s[14:15]
	s_add_i32 s17, s17, -1
	s_waitcnt vmcnt(0)
	v_and_b32_e32 v28, 0xffff, v20
	v_lshlrev_b64 v[20:21], s0, v[28:29]
	s_add_u32 s0, s0, 8
	s_addc_u32 s1, s1, 0
	s_add_u32 s14, s14, 1
	s_addc_u32 s15, s15, 0
	v_or_b32_e32 v18, v20, v18
	s_cmp_lg_u32 s17, 0
	v_or_b32_e32 v19, v21, v19
	s_cbranch_scc1 .LBB3_196
	s_branch .LBB3_199
.LBB3_197:                              ;   in Loop: Header=BB3_145 Depth=1
	s_branch .LBB3_200
.LBB3_198:                              ;   in Loop: Header=BB3_145 Depth=1
	v_mov_b64_e32 v[18:19], 0
.LBB3_199:                              ;   in Loop: Header=BB3_145 Depth=1
	s_cbranch_execnz .LBB3_201
.LBB3_200:                              ;   in Loop: Header=BB3_145 Depth=1
	global_load_dwordx2 v[18:19], v29, s[12:13]
.LBB3_201:                              ;   in Loop: Header=BB3_145 Depth=1
	v_readfirstlane_b32 s0, v1
	v_mov_b64_e32 v[30:31], 0
	s_nop 0
	v_cmp_eq_u32_e64 s[0:1], s0, v1
	s_and_saveexec_b64 s[12:13], s[0:1]
	s_cbranch_execz .LBB3_207
; %bb.202:                              ;   in Loop: Header=BB3_145 Depth=1
	global_load_dwordx2 v[22:23], v29, s[2:3] offset:24 sc0 sc1
	s_waitcnt vmcnt(0)
	buffer_inv sc0 sc1
	global_load_dwordx2 v[20:21], v29, s[2:3] offset:40
	global_load_dwordx2 v[30:31], v29, s[2:3]
	s_waitcnt vmcnt(1)
	v_and_b32_e32 v20, v20, v22
	v_and_b32_e32 v21, v21, v23
	v_mul_lo_u32 v21, v21, 24
	v_mul_hi_u32 v25, v20, 24
	v_add_u32_e32 v21, v25, v21
	v_mul_lo_u32 v20, v20, 24
	s_waitcnt vmcnt(0)
	v_lshl_add_u64 v[20:21], v[30:31], 0, v[20:21]
	global_load_dwordx2 v[20:21], v[20:21], off sc0 sc1
	s_waitcnt vmcnt(0)
	global_atomic_cmpswap_x2 v[30:31], v29, v[20:23], s[2:3] offset:24 sc0 sc1
	s_waitcnt vmcnt(0)
	buffer_inv sc0 sc1
	v_cmp_ne_u64_e32 vcc, v[30:31], v[22:23]
	s_and_saveexec_b64 s[14:15], vcc
	s_cbranch_execz .LBB3_206
; %bb.203:                              ;   in Loop: Header=BB3_145 Depth=1
	s_mov_b64 s[16:17], 0
.LBB3_204:                              ;   Parent Loop BB3_145 Depth=1
                                        ; =>  This Inner Loop Header: Depth=2
	s_sleep 1
	global_load_dwordx2 v[20:21], v29, s[2:3] offset:40
	global_load_dwordx2 v[32:33], v29, s[2:3]
	v_mov_b64_e32 v[22:23], v[30:31]
	s_waitcnt vmcnt(1)
	v_and_b32_e32 v20, v20, v22
	v_and_b32_e32 v25, v21, v23
	s_waitcnt vmcnt(0)
	v_mad_u64_u32 v[20:21], s[18:19], v20, 24, v[32:33]
	v_mov_b32_e32 v28, v21
	v_mad_u64_u32 v[30:31], s[18:19], v25, 24, v[28:29]
	v_mov_b32_e32 v21, v30
	global_load_dwordx2 v[20:21], v[20:21], off sc0 sc1
	s_waitcnt vmcnt(0)
	global_atomic_cmpswap_x2 v[30:31], v29, v[20:23], s[2:3] offset:24 sc0 sc1
	s_waitcnt vmcnt(0)
	buffer_inv sc0 sc1
	v_cmp_eq_u64_e32 vcc, v[30:31], v[22:23]
	s_or_b64 s[16:17], vcc, s[16:17]
	s_andn2_b64 exec, exec, s[16:17]
	s_cbranch_execnz .LBB3_204
; %bb.205:                              ;   in Loop: Header=BB3_145 Depth=1
	s_or_b64 exec, exec, s[16:17]
.LBB3_206:                              ;   in Loop: Header=BB3_145 Depth=1
	s_or_b64 exec, exec, s[14:15]
.LBB3_207:                              ;   in Loop: Header=BB3_145 Depth=1
	s_or_b64 exec, exec, s[12:13]
	global_load_dwordx2 v[32:33], v29, s[2:3] offset:40
	global_load_dwordx4 v[20:23], v29, s[2:3]
	v_readfirstlane_b32 s13, v31
	v_readfirstlane_b32 s12, v30
	s_mov_b64 s[14:15], exec
	s_waitcnt vmcnt(1)
	v_readfirstlane_b32 s16, v32
	v_readfirstlane_b32 s17, v33
	s_and_b64 s[16:17], s[16:17], s[12:13]
	s_mul_i32 s18, s17, 24
	s_mul_hi_u32 s19, s16, 24
	s_add_i32 s19, s19, s18
	s_mul_i32 s18, s16, 24
	s_waitcnt vmcnt(0)
	v_lshl_add_u64 v[30:31], v[20:21], 0, s[18:19]
	s_and_saveexec_b64 s[18:19], s[0:1]
	s_cbranch_execz .LBB3_209
; %bb.208:                              ;   in Loop: Header=BB3_145 Depth=1
	v_mov_b64_e32 v[32:33], s[14:15]
	global_store_dwordx4 v[30:31], v[32:35], off offset:8
.LBB3_209:                              ;   in Loop: Header=BB3_145 Depth=1
	s_or_b64 exec, exec, s[18:19]
	s_lshl_b64 s[14:15], s[16:17], 12
	v_lshl_add_u64 v[22:23], v[22:23], 0, s[14:15]
	v_cmp_lt_u64_e64 vcc, s[4:5], 57
	s_lshl_b32 s14, s10, 2
	s_add_i32 s14, s14, 28
	v_cndmask_b32_e32 v25, 0, v26, vcc
	v_and_b32_e32 v4, 0xffffff1f, v4
	s_and_b32 s14, s14, 0x1e0
	v_or_b32_e32 v4, v4, v25
	v_or_b32_e32 v4, s14, v4
	v_readfirstlane_b32 s14, v22
	v_readfirstlane_b32 s15, v23
	s_nop 4
	global_store_dwordx4 v24, v[4:7], s[14:15]
	global_store_dwordx4 v24, v[8:11], s[14:15] offset:16
	global_store_dwordx4 v24, v[12:15], s[14:15] offset:32
	;; [unrolled: 1-line block ×3, first 2 shown]
	s_and_saveexec_b64 s[14:15], s[0:1]
	s_cbranch_execz .LBB3_217
; %bb.210:                              ;   in Loop: Header=BB3_145 Depth=1
	global_load_dwordx2 v[12:13], v29, s[2:3] offset:32 sc0 sc1
	global_load_dwordx2 v[4:5], v29, s[2:3] offset:40
	v_mov_b32_e32 v10, s12
	v_mov_b32_e32 v11, s13
	s_waitcnt vmcnt(0)
	v_readfirstlane_b32 s16, v4
	v_readfirstlane_b32 s17, v5
	s_and_b64 s[16:17], s[16:17], s[12:13]
	s_mul_i32 s17, s17, 24
	s_mul_hi_u32 s18, s16, 24
	s_mul_i32 s16, s16, 24
	s_add_i32 s17, s18, s17
	v_lshl_add_u64 v[8:9], v[20:21], 0, s[16:17]
	global_store_dwordx2 v[8:9], v[12:13], off
	buffer_wbl2 sc0 sc1
	s_waitcnt vmcnt(0)
	global_atomic_cmpswap_x2 v[6:7], v29, v[10:13], s[2:3] offset:32 sc0 sc1
	s_waitcnt vmcnt(0)
	v_cmp_ne_u64_e32 vcc, v[6:7], v[12:13]
	s_and_saveexec_b64 s[16:17], vcc
	s_cbranch_execz .LBB3_213
; %bb.211:                              ;   in Loop: Header=BB3_145 Depth=1
	s_mov_b64 s[18:19], 0
.LBB3_212:                              ;   Parent Loop BB3_145 Depth=1
                                        ; =>  This Inner Loop Header: Depth=2
	s_sleep 1
	global_store_dwordx2 v[8:9], v[6:7], off
	v_mov_b32_e32 v4, s12
	v_mov_b32_e32 v5, s13
	buffer_wbl2 sc0 sc1
	s_waitcnt vmcnt(0)
	global_atomic_cmpswap_x2 v[4:5], v29, v[4:7], s[2:3] offset:32 sc0 sc1
	s_waitcnt vmcnt(0)
	v_cmp_eq_u64_e32 vcc, v[4:5], v[6:7]
	s_or_b64 s[18:19], vcc, s[18:19]
	v_mov_b64_e32 v[6:7], v[4:5]
	s_andn2_b64 exec, exec, s[18:19]
	s_cbranch_execnz .LBB3_212
.LBB3_213:                              ;   in Loop: Header=BB3_145 Depth=1
	s_or_b64 exec, exec, s[16:17]
	global_load_dwordx2 v[4:5], v29, s[2:3] offset:16
	s_mov_b64 s[18:19], exec
	v_mbcnt_lo_u32_b32 v6, s18, 0
	v_mbcnt_hi_u32_b32 v6, s19, v6
	v_cmp_eq_u32_e32 vcc, 0, v6
	s_and_saveexec_b64 s[16:17], vcc
	s_cbranch_execz .LBB3_215
; %bb.214:                              ;   in Loop: Header=BB3_145 Depth=1
	s_bcnt1_i32_b64 s18, s[18:19]
	v_mov_b32_e32 v28, s18
	buffer_wbl2 sc0 sc1
	s_waitcnt vmcnt(0)
	global_atomic_add_x2 v[4:5], v[28:29], off offset:8 sc1
.LBB3_215:                              ;   in Loop: Header=BB3_145 Depth=1
	s_or_b64 exec, exec, s[16:17]
	s_waitcnt vmcnt(0)
	global_load_dwordx2 v[6:7], v[4:5], off offset:16
	s_waitcnt vmcnt(0)
	v_cmp_eq_u64_e32 vcc, 0, v[6:7]
	s_cbranch_vccnz .LBB3_217
; %bb.216:                              ;   in Loop: Header=BB3_145 Depth=1
	global_load_dword v28, v[4:5], off offset:24
	s_waitcnt vmcnt(0)
	v_readfirstlane_b32 s16, v28
	s_and_b32 m0, s16, 0xffffff
	buffer_wbl2 sc0 sc1
	global_store_dwordx2 v[6:7], v[28:29], off sc0 sc1
	s_sendmsg sendmsg(MSG_INTERRUPT)
.LBB3_217:                              ;   in Loop: Header=BB3_145 Depth=1
	s_or_b64 exec, exec, s[14:15]
	v_mov_b32_e32 v25, v29
	v_lshl_add_u64 v[4:5], v[22:23], 0, v[24:25]
	s_branch .LBB3_221
.LBB3_218:                              ;   in Loop: Header=BB3_221 Depth=2
	s_or_b64 exec, exec, s[14:15]
	v_readfirstlane_b32 s14, v6
	s_cmp_eq_u32 s14, 0
	s_cbranch_scc1 .LBB3_220
; %bb.219:                              ;   in Loop: Header=BB3_221 Depth=2
	s_sleep 1
	s_cbranch_execnz .LBB3_221
	s_branch .LBB3_223
.LBB3_220:                              ;   in Loop: Header=BB3_145 Depth=1
	s_branch .LBB3_223
.LBB3_221:                              ;   Parent Loop BB3_145 Depth=1
                                        ; =>  This Inner Loop Header: Depth=2
	v_mov_b32_e32 v6, 1
	s_and_saveexec_b64 s[14:15], s[0:1]
	s_cbranch_execz .LBB3_218
; %bb.222:                              ;   in Loop: Header=BB3_221 Depth=2
	global_load_dword v6, v[30:31], off offset:20 sc0 sc1
	s_waitcnt vmcnt(0)
	buffer_inv sc0 sc1
	v_and_b32_e32 v6, 1, v6
	s_branch .LBB3_218
.LBB3_223:                              ;   in Loop: Header=BB3_145 Depth=1
	global_load_dwordx2 v[4:5], v[4:5], off
	s_and_saveexec_b64 s[14:15], s[0:1]
	s_cbranch_execz .LBB3_144
; %bb.224:                              ;   in Loop: Header=BB3_145 Depth=1
	global_load_dwordx2 v[6:7], v29, s[2:3] offset:40
	global_load_dwordx2 v[14:15], v29, s[2:3] offset:24 sc0 sc1
	global_load_dwordx2 v[8:9], v29, s[2:3]
	s_waitcnt vmcnt(2)
	v_readfirstlane_b32 s16, v6
	v_readfirstlane_b32 s17, v7
	s_add_u32 s18, s16, 1
	s_addc_u32 s19, s17, 0
	s_add_u32 s0, s18, s12
	s_addc_u32 s1, s19, s13
	s_cmp_eq_u64 s[0:1], 0
	s_cselect_b32 s1, s19, s1
	s_cselect_b32 s0, s18, s0
	s_and_b64 s[12:13], s[0:1], s[16:17]
	s_mul_i32 s13, s13, 24
	s_mul_hi_u32 s16, s12, 24
	s_mul_i32 s12, s12, 24
	s_add_i32 s13, s16, s13
	s_waitcnt vmcnt(0)
	v_lshl_add_u64 v[10:11], v[8:9], 0, s[12:13]
	v_mov_b32_e32 v12, s0
	global_store_dwordx2 v[10:11], v[14:15], off
	v_mov_b32_e32 v13, s1
	buffer_wbl2 sc0 sc1
	s_waitcnt vmcnt(0)
	global_atomic_cmpswap_x2 v[8:9], v29, v[12:15], s[2:3] offset:24 sc0 sc1
	s_waitcnt vmcnt(0)
	v_cmp_ne_u64_e32 vcc, v[8:9], v[14:15]
	s_and_b64 exec, exec, vcc
	s_cbranch_execz .LBB3_144
; %bb.225:                              ;   in Loop: Header=BB3_145 Depth=1
	s_mov_b64 s[12:13], 0
.LBB3_226:                              ;   Parent Loop BB3_145 Depth=1
                                        ; =>  This Inner Loop Header: Depth=2
	s_sleep 1
	global_store_dwordx2 v[10:11], v[8:9], off
	v_mov_b32_e32 v6, s0
	v_mov_b32_e32 v7, s1
	buffer_wbl2 sc0 sc1
	s_waitcnt vmcnt(0)
	global_atomic_cmpswap_x2 v[6:7], v29, v[6:9], s[2:3] offset:24 sc0 sc1
	s_waitcnt vmcnt(0)
	v_cmp_eq_u64_e32 vcc, v[6:7], v[8:9]
	s_or_b64 s[12:13], vcc, s[12:13]
	v_mov_b64_e32 v[8:9], v[6:7]
	s_andn2_b64 exec, exec, s[12:13]
	s_cbranch_execnz .LBB3_226
	s_branch .LBB3_144
.LBB3_227:
                                        ; implicit-def: $vgpr4_vgpr5
	s_cbranch_execnz .LBB3_229
	s_branch .LBB3_255
.LBB3_228:
	s_branch .LBB3_255
.LBB3_229:
	v_readfirstlane_b32 s0, v1
	s_waitcnt vmcnt(0)
	v_mov_b64_e32 v[4:5], 0
	v_cmp_eq_u32_e64 s[0:1], s0, v1
	s_and_saveexec_b64 s[4:5], s[0:1]
	s_cbranch_execz .LBB3_235
; %bb.230:
	v_mov_b32_e32 v6, 0
	global_load_dwordx2 v[10:11], v6, s[2:3] offset:24 sc0 sc1
	s_waitcnt vmcnt(0)
	buffer_inv sc0 sc1
	global_load_dwordx2 v[4:5], v6, s[2:3] offset:40
	global_load_dwordx2 v[8:9], v6, s[2:3]
	s_waitcnt vmcnt(1)
	v_and_b32_e32 v4, v4, v10
	v_and_b32_e32 v5, v5, v11
	v_mul_lo_u32 v5, v5, 24
	v_mul_hi_u32 v7, v4, 24
	v_add_u32_e32 v5, v7, v5
	v_mul_lo_u32 v4, v4, 24
	s_waitcnt vmcnt(0)
	v_lshl_add_u64 v[4:5], v[8:9], 0, v[4:5]
	global_load_dwordx2 v[8:9], v[4:5], off sc0 sc1
	s_waitcnt vmcnt(0)
	global_atomic_cmpswap_x2 v[4:5], v6, v[8:11], s[2:3] offset:24 sc0 sc1
	s_waitcnt vmcnt(0)
	buffer_inv sc0 sc1
	v_cmp_ne_u64_e32 vcc, v[4:5], v[10:11]
	s_and_saveexec_b64 s[6:7], vcc
	s_cbranch_execz .LBB3_234
; %bb.231:
	s_mov_b64 s[10:11], 0
.LBB3_232:                              ; =>This Inner Loop Header: Depth=1
	s_sleep 1
	global_load_dwordx2 v[8:9], v6, s[2:3] offset:40
	global_load_dwordx2 v[12:13], v6, s[2:3]
	v_mov_b64_e32 v[10:11], v[4:5]
	s_waitcnt vmcnt(1)
	v_and_b32_e32 v4, v8, v10
	s_waitcnt vmcnt(0)
	v_mad_u64_u32 v[4:5], s[12:13], v4, 24, v[12:13]
	v_and_b32_e32 v7, v9, v11
	v_mov_b32_e32 v8, v5
	v_mad_u64_u32 v[8:9], s[12:13], v7, 24, v[8:9]
	v_mov_b32_e32 v5, v8
	global_load_dwordx2 v[8:9], v[4:5], off sc0 sc1
	s_waitcnt vmcnt(0)
	global_atomic_cmpswap_x2 v[4:5], v6, v[8:11], s[2:3] offset:24 sc0 sc1
	s_waitcnt vmcnt(0)
	buffer_inv sc0 sc1
	v_cmp_eq_u64_e32 vcc, v[4:5], v[10:11]
	s_or_b64 s[10:11], vcc, s[10:11]
	s_andn2_b64 exec, exec, s[10:11]
	s_cbranch_execnz .LBB3_232
; %bb.233:
	s_or_b64 exec, exec, s[10:11]
.LBB3_234:
	s_or_b64 exec, exec, s[6:7]
.LBB3_235:
	s_or_b64 exec, exec, s[4:5]
	v_mov_b32_e32 v25, 0
	global_load_dwordx2 v[10:11], v25, s[2:3] offset:40
	global_load_dwordx4 v[6:9], v25, s[2:3]
	v_readfirstlane_b32 s5, v5
	v_readfirstlane_b32 s4, v4
	s_mov_b64 s[6:7], exec
	s_waitcnt vmcnt(1)
	v_readfirstlane_b32 s10, v10
	v_readfirstlane_b32 s11, v11
	s_and_b64 s[10:11], s[10:11], s[4:5]
	s_mul_i32 s12, s11, 24
	s_mul_hi_u32 s13, s10, 24
	s_add_i32 s13, s13, s12
	s_mul_i32 s12, s10, 24
	s_waitcnt vmcnt(0)
	v_lshl_add_u64 v[10:11], v[6:7], 0, s[12:13]
	s_and_saveexec_b64 s[12:13], s[0:1]
	s_cbranch_execz .LBB3_237
; %bb.236:
	v_mov_b64_e32 v[12:13], s[6:7]
	v_mov_b32_e32 v14, 2
	v_mov_b32_e32 v15, 1
	global_store_dwordx4 v[10:11], v[12:15], off offset:8
.LBB3_237:
	s_or_b64 exec, exec, s[12:13]
	s_lshl_b64 s[6:7], s[10:11], 12
	v_lshl_add_u64 v[8:9], v[8:9], 0, s[6:7]
	s_movk_i32 s6, 0xff1f
	s_mov_b32 s12, 0
	v_and_or_b32 v2, v2, s6, 32
	v_mov_b32_e32 v4, v25
	v_mov_b32_e32 v5, v25
	v_readfirstlane_b32 s6, v8
	v_readfirstlane_b32 s7, v9
	s_mov_b32 s13, s12
	s_mov_b32 s14, s12
	;; [unrolled: 1-line block ×3, first 2 shown]
	s_nop 1
	global_store_dwordx4 v24, v[2:5], s[6:7]
	s_nop 1
	v_mov_b64_e32 v[2:3], s[12:13]
	v_mov_b64_e32 v[4:5], s[14:15]
	global_store_dwordx4 v24, v[2:5], s[6:7] offset:16
	global_store_dwordx4 v24, v[2:5], s[6:7] offset:32
	;; [unrolled: 1-line block ×3, first 2 shown]
	s_and_saveexec_b64 s[6:7], s[0:1]
	s_cbranch_execz .LBB3_245
; %bb.238:
	v_mov_b32_e32 v12, 0
	global_load_dwordx2 v[16:17], v12, s[2:3] offset:32 sc0 sc1
	global_load_dwordx2 v[2:3], v12, s[2:3] offset:40
	v_mov_b32_e32 v14, s4
	v_mov_b32_e32 v15, s5
	s_waitcnt vmcnt(0)
	v_readfirstlane_b32 s10, v2
	v_readfirstlane_b32 s11, v3
	s_and_b64 s[10:11], s[10:11], s[4:5]
	s_mul_i32 s11, s11, 24
	s_mul_hi_u32 s12, s10, 24
	s_mul_i32 s10, s10, 24
	s_add_i32 s11, s12, s11
	v_lshl_add_u64 v[6:7], v[6:7], 0, s[10:11]
	global_store_dwordx2 v[6:7], v[16:17], off
	buffer_wbl2 sc0 sc1
	s_waitcnt vmcnt(0)
	global_atomic_cmpswap_x2 v[4:5], v12, v[14:17], s[2:3] offset:32 sc0 sc1
	s_waitcnt vmcnt(0)
	v_cmp_ne_u64_e32 vcc, v[4:5], v[16:17]
	s_and_saveexec_b64 s[10:11], vcc
	s_cbranch_execz .LBB3_241
; %bb.239:
	s_mov_b64 s[12:13], 0
.LBB3_240:                              ; =>This Inner Loop Header: Depth=1
	s_sleep 1
	global_store_dwordx2 v[6:7], v[4:5], off
	v_mov_b32_e32 v2, s4
	v_mov_b32_e32 v3, s5
	buffer_wbl2 sc0 sc1
	s_waitcnt vmcnt(0)
	global_atomic_cmpswap_x2 v[2:3], v12, v[2:5], s[2:3] offset:32 sc0 sc1
	s_waitcnt vmcnt(0)
	v_cmp_eq_u64_e32 vcc, v[2:3], v[4:5]
	s_or_b64 s[12:13], vcc, s[12:13]
	v_mov_b64_e32 v[4:5], v[2:3]
	s_andn2_b64 exec, exec, s[12:13]
	s_cbranch_execnz .LBB3_240
.LBB3_241:
	s_or_b64 exec, exec, s[10:11]
	v_mov_b32_e32 v5, 0
	global_load_dwordx2 v[2:3], v5, s[2:3] offset:16
	s_mov_b64 s[10:11], exec
	v_mbcnt_lo_u32_b32 v4, s10, 0
	v_mbcnt_hi_u32_b32 v4, s11, v4
	v_cmp_eq_u32_e32 vcc, 0, v4
	s_and_saveexec_b64 s[12:13], vcc
	s_cbranch_execz .LBB3_243
; %bb.242:
	s_bcnt1_i32_b64 s10, s[10:11]
	v_mov_b32_e32 v4, s10
	buffer_wbl2 sc0 sc1
	s_waitcnt vmcnt(0)
	global_atomic_add_x2 v[2:3], v[4:5], off offset:8 sc1
.LBB3_243:
	s_or_b64 exec, exec, s[12:13]
	s_waitcnt vmcnt(0)
	global_load_dwordx2 v[4:5], v[2:3], off offset:16
	s_waitcnt vmcnt(0)
	v_cmp_eq_u64_e32 vcc, 0, v[4:5]
	s_cbranch_vccnz .LBB3_245
; %bb.244:
	global_load_dword v2, v[2:3], off offset:24
	v_mov_b32_e32 v3, 0
	s_waitcnt vmcnt(0)
	v_readfirstlane_b32 s10, v2
	s_and_b32 m0, s10, 0xffffff
	buffer_wbl2 sc0 sc1
	global_store_dwordx2 v[4:5], v[2:3], off sc0 sc1
	s_sendmsg sendmsg(MSG_INTERRUPT)
.LBB3_245:
	s_or_b64 exec, exec, s[6:7]
	v_lshl_add_u64 v[2:3], v[8:9], 0, v[24:25]
	s_branch .LBB3_249
.LBB3_246:                              ;   in Loop: Header=BB3_249 Depth=1
	s_or_b64 exec, exec, s[6:7]
	v_readfirstlane_b32 s6, v4
	s_cmp_eq_u32 s6, 0
	s_cbranch_scc1 .LBB3_248
; %bb.247:                              ;   in Loop: Header=BB3_249 Depth=1
	s_sleep 1
	s_cbranch_execnz .LBB3_249
	s_branch .LBB3_251
.LBB3_248:
	s_branch .LBB3_251
.LBB3_249:                              ; =>This Inner Loop Header: Depth=1
	v_mov_b32_e32 v4, 1
	s_and_saveexec_b64 s[6:7], s[0:1]
	s_cbranch_execz .LBB3_246
; %bb.250:                              ;   in Loop: Header=BB3_249 Depth=1
	global_load_dword v4, v[10:11], off offset:20 sc0 sc1
	s_waitcnt vmcnt(0)
	buffer_inv sc0 sc1
	v_and_b32_e32 v4, 1, v4
	s_branch .LBB3_246
.LBB3_251:
	global_load_dwordx2 v[4:5], v[2:3], off
	s_and_saveexec_b64 s[6:7], s[0:1]
	s_cbranch_execz .LBB3_254
; %bb.252:
	v_mov_b32_e32 v10, 0
	global_load_dwordx2 v[2:3], v10, s[2:3] offset:40
	global_load_dwordx2 v[14:15], v10, s[2:3] offset:24 sc0 sc1
	global_load_dwordx2 v[6:7], v10, s[2:3]
	s_waitcnt vmcnt(2)
	v_readfirstlane_b32 s10, v2
	v_readfirstlane_b32 s11, v3
	s_add_u32 s12, s10, 1
	s_addc_u32 s13, s11, 0
	s_add_u32 s0, s12, s4
	s_addc_u32 s1, s13, s5
	s_cmp_eq_u64 s[0:1], 0
	s_cselect_b32 s1, s13, s1
	s_cselect_b32 s0, s12, s0
	s_and_b64 s[4:5], s[0:1], s[10:11]
	s_mul_i32 s5, s5, 24
	s_mul_hi_u32 s10, s4, 24
	s_mul_i32 s4, s4, 24
	s_add_i32 s5, s10, s5
	s_waitcnt vmcnt(0)
	v_lshl_add_u64 v[2:3], v[6:7], 0, s[4:5]
	v_mov_b32_e32 v12, s0
	global_store_dwordx2 v[2:3], v[14:15], off
	v_mov_b32_e32 v13, s1
	buffer_wbl2 sc0 sc1
	s_waitcnt vmcnt(0)
	global_atomic_cmpswap_x2 v[8:9], v10, v[12:15], s[2:3] offset:24 sc0 sc1
	s_mov_b64 s[4:5], 0
	s_waitcnt vmcnt(0)
	v_cmp_ne_u64_e32 vcc, v[8:9], v[14:15]
	s_and_b64 exec, exec, vcc
	s_cbranch_execz .LBB3_254
.LBB3_253:                              ; =>This Inner Loop Header: Depth=1
	s_sleep 1
	global_store_dwordx2 v[2:3], v[8:9], off
	v_mov_b32_e32 v6, s0
	v_mov_b32_e32 v7, s1
	buffer_wbl2 sc0 sc1
	s_waitcnt vmcnt(0)
	global_atomic_cmpswap_x2 v[6:7], v10, v[6:9], s[2:3] offset:24 sc0 sc1
	s_waitcnt vmcnt(0)
	v_cmp_eq_u64_e32 vcc, v[6:7], v[8:9]
	s_or_b64 s[4:5], vcc, s[4:5]
	v_mov_b64_e32 v[8:9], v[6:7]
	s_andn2_b64 exec, exec, s[4:5]
	s_cbranch_execnz .LBB3_253
.LBB3_254:
	s_or_b64 exec, exec, s[6:7]
.LBB3_255:
	v_readfirstlane_b32 s0, v1
	s_waitcnt vmcnt(0)
	v_mov_b64_e32 v[2:3], 0
	v_cmp_eq_u32_e64 s[0:1], s0, v1
	s_and_saveexec_b64 s[4:5], s[0:1]
	s_cbranch_execz .LBB3_261
; %bb.256:
	v_mov_b32_e32 v1, 0
	global_load_dwordx2 v[8:9], v1, s[2:3] offset:24 sc0 sc1
	s_waitcnt vmcnt(0)
	buffer_inv sc0 sc1
	global_load_dwordx2 v[2:3], v1, s[2:3] offset:40
	global_load_dwordx2 v[6:7], v1, s[2:3]
	s_waitcnt vmcnt(1)
	v_and_b32_e32 v2, v2, v8
	v_and_b32_e32 v3, v3, v9
	v_mul_lo_u32 v3, v3, 24
	v_mul_hi_u32 v10, v2, 24
	v_add_u32_e32 v3, v10, v3
	v_mul_lo_u32 v2, v2, 24
	s_waitcnt vmcnt(0)
	v_lshl_add_u64 v[2:3], v[6:7], 0, v[2:3]
	global_load_dwordx2 v[6:7], v[2:3], off sc0 sc1
	s_waitcnt vmcnt(0)
	global_atomic_cmpswap_x2 v[2:3], v1, v[6:9], s[2:3] offset:24 sc0 sc1
	s_waitcnt vmcnt(0)
	buffer_inv sc0 sc1
	v_cmp_ne_u64_e32 vcc, v[2:3], v[8:9]
	s_and_saveexec_b64 s[6:7], vcc
	s_cbranch_execz .LBB3_260
; %bb.257:
	s_mov_b64 s[10:11], 0
.LBB3_258:                              ; =>This Inner Loop Header: Depth=1
	s_sleep 1
	global_load_dwordx2 v[6:7], v1, s[2:3] offset:40
	global_load_dwordx2 v[10:11], v1, s[2:3]
	v_mov_b64_e32 v[8:9], v[2:3]
	s_waitcnt vmcnt(1)
	v_and_b32_e32 v2, v6, v8
	s_waitcnt vmcnt(0)
	v_mad_u64_u32 v[2:3], s[12:13], v2, 24, v[10:11]
	v_and_b32_e32 v7, v7, v9
	v_mov_b32_e32 v6, v3
	v_mad_u64_u32 v[6:7], s[12:13], v7, 24, v[6:7]
	v_mov_b32_e32 v3, v6
	global_load_dwordx2 v[6:7], v[2:3], off sc0 sc1
	s_waitcnt vmcnt(0)
	global_atomic_cmpswap_x2 v[2:3], v1, v[6:9], s[2:3] offset:24 sc0 sc1
	s_waitcnt vmcnt(0)
	buffer_inv sc0 sc1
	v_cmp_eq_u64_e32 vcc, v[2:3], v[8:9]
	s_or_b64 s[10:11], vcc, s[10:11]
	s_andn2_b64 exec, exec, s[10:11]
	s_cbranch_execnz .LBB3_258
; %bb.259:
	s_or_b64 exec, exec, s[10:11]
.LBB3_260:
	s_or_b64 exec, exec, s[6:7]
.LBB3_261:
	s_or_b64 exec, exec, s[4:5]
	v_mov_b32_e32 v25, 0
	global_load_dwordx2 v[6:7], v25, s[2:3] offset:40
	global_load_dwordx4 v[8:11], v25, s[2:3]
	v_readfirstlane_b32 s5, v3
	v_readfirstlane_b32 s4, v2
	s_mov_b64 s[6:7], exec
	s_waitcnt vmcnt(1)
	v_readfirstlane_b32 s10, v6
	v_readfirstlane_b32 s11, v7
	s_and_b64 s[10:11], s[10:11], s[4:5]
	s_mul_i32 s12, s11, 24
	s_mul_hi_u32 s13, s10, 24
	s_add_i32 s13, s13, s12
	s_mul_i32 s12, s10, 24
	s_waitcnt vmcnt(0)
	v_lshl_add_u64 v[12:13], v[8:9], 0, s[12:13]
	s_and_saveexec_b64 s[12:13], s[0:1]
	s_cbranch_execz .LBB3_263
; %bb.262:
	v_mov_b64_e32 v[14:15], s[6:7]
	v_mov_b32_e32 v16, 2
	v_mov_b32_e32 v17, 1
	global_store_dwordx4 v[12:13], v[14:17], off offset:8
.LBB3_263:
	s_or_b64 exec, exec, s[12:13]
	s_mov_b32 s12, 0
	s_lshl_b64 s[6:7], s[10:11], 12
	s_mov_b32 s13, s12
	v_lshl_add_u64 v[10:11], v[10:11], 0, s[6:7]
	s_movk_i32 s6, 0xff1f
	v_mov_b32_e32 v6, v0
	s_mov_b32 s14, s12
	s_mov_b32 s15, s12
	v_mov_b64_e32 v[0:1], s[12:13]
	v_and_or_b32 v4, v4, s6, 32
	v_mov_b32_e32 v7, v25
	v_readfirstlane_b32 s6, v10
	v_readfirstlane_b32 s7, v11
	v_mov_b64_e32 v[2:3], s[14:15]
	s_nop 3
	global_store_dwordx4 v24, v[4:7], s[6:7]
	global_store_dwordx4 v24, v[0:3], s[6:7] offset:16
	global_store_dwordx4 v24, v[0:3], s[6:7] offset:32
	;; [unrolled: 1-line block ×3, first 2 shown]
	s_and_saveexec_b64 s[6:7], s[0:1]
	s_cbranch_execz .LBB3_271
; %bb.264:
	v_mov_b32_e32 v6, 0
	global_load_dwordx2 v[16:17], v6, s[2:3] offset:32 sc0 sc1
	global_load_dwordx2 v[0:1], v6, s[2:3] offset:40
	v_mov_b32_e32 v14, s4
	v_mov_b32_e32 v15, s5
	s_waitcnt vmcnt(0)
	v_readfirstlane_b32 s10, v0
	v_readfirstlane_b32 s11, v1
	s_and_b64 s[10:11], s[10:11], s[4:5]
	s_mul_i32 s11, s11, 24
	s_mul_hi_u32 s12, s10, 24
	s_mul_i32 s10, s10, 24
	s_add_i32 s11, s12, s11
	v_lshl_add_u64 v[4:5], v[8:9], 0, s[10:11]
	global_store_dwordx2 v[4:5], v[16:17], off
	buffer_wbl2 sc0 sc1
	s_waitcnt vmcnt(0)
	global_atomic_cmpswap_x2 v[2:3], v6, v[14:17], s[2:3] offset:32 sc0 sc1
	s_waitcnt vmcnt(0)
	v_cmp_ne_u64_e32 vcc, v[2:3], v[16:17]
	s_and_saveexec_b64 s[10:11], vcc
	s_cbranch_execz .LBB3_267
; %bb.265:
	s_mov_b64 s[12:13], 0
.LBB3_266:                              ; =>This Inner Loop Header: Depth=1
	s_sleep 1
	global_store_dwordx2 v[4:5], v[2:3], off
	v_mov_b32_e32 v0, s4
	v_mov_b32_e32 v1, s5
	buffer_wbl2 sc0 sc1
	s_waitcnt vmcnt(0)
	global_atomic_cmpswap_x2 v[0:1], v6, v[0:3], s[2:3] offset:32 sc0 sc1
	s_waitcnt vmcnt(0)
	v_cmp_eq_u64_e32 vcc, v[0:1], v[2:3]
	s_or_b64 s[12:13], vcc, s[12:13]
	v_mov_b64_e32 v[2:3], v[0:1]
	s_andn2_b64 exec, exec, s[12:13]
	s_cbranch_execnz .LBB3_266
.LBB3_267:
	s_or_b64 exec, exec, s[10:11]
	v_mov_b32_e32 v3, 0
	global_load_dwordx2 v[0:1], v3, s[2:3] offset:16
	s_mov_b64 s[10:11], exec
	v_mbcnt_lo_u32_b32 v2, s10, 0
	v_mbcnt_hi_u32_b32 v2, s11, v2
	v_cmp_eq_u32_e32 vcc, 0, v2
	s_and_saveexec_b64 s[12:13], vcc
	s_cbranch_execz .LBB3_269
; %bb.268:
	s_bcnt1_i32_b64 s10, s[10:11]
	v_mov_b32_e32 v2, s10
	buffer_wbl2 sc0 sc1
	s_waitcnt vmcnt(0)
	global_atomic_add_x2 v[0:1], v[2:3], off offset:8 sc1
.LBB3_269:
	s_or_b64 exec, exec, s[12:13]
	s_waitcnt vmcnt(0)
	global_load_dwordx2 v[2:3], v[0:1], off offset:16
	s_waitcnt vmcnt(0)
	v_cmp_eq_u64_e32 vcc, 0, v[2:3]
	s_cbranch_vccnz .LBB3_271
; %bb.270:
	global_load_dword v0, v[0:1], off offset:24
	v_mov_b32_e32 v1, 0
	s_waitcnt vmcnt(0)
	v_readfirstlane_b32 s10, v0
	s_and_b32 m0, s10, 0xffffff
	buffer_wbl2 sc0 sc1
	global_store_dwordx2 v[2:3], v[0:1], off sc0 sc1
	s_sendmsg sendmsg(MSG_INTERRUPT)
.LBB3_271:
	s_or_b64 exec, exec, s[6:7]
	v_lshl_add_u64 v[0:1], v[10:11], 0, v[24:25]
	s_branch .LBB3_275
.LBB3_272:                              ;   in Loop: Header=BB3_275 Depth=1
	s_or_b64 exec, exec, s[6:7]
	v_readfirstlane_b32 s6, v2
	s_cmp_eq_u32 s6, 0
	s_cbranch_scc1 .LBB3_274
; %bb.273:                              ;   in Loop: Header=BB3_275 Depth=1
	s_sleep 1
	s_cbranch_execnz .LBB3_275
	s_branch .LBB3_277
.LBB3_274:
	s_branch .LBB3_277
.LBB3_275:                              ; =>This Inner Loop Header: Depth=1
	v_mov_b32_e32 v2, 1
	s_and_saveexec_b64 s[6:7], s[0:1]
	s_cbranch_execz .LBB3_272
; %bb.276:                              ;   in Loop: Header=BB3_275 Depth=1
	global_load_dword v2, v[12:13], off offset:20 sc0 sc1
	s_waitcnt vmcnt(0)
	buffer_inv sc0 sc1
	v_and_b32_e32 v2, 1, v2
	s_branch .LBB3_272
.LBB3_277:
	global_load_dwordx2 v[0:1], v[0:1], off
	s_and_saveexec_b64 s[6:7], s[0:1]
	s_cbranch_execz .LBB3_280
; %bb.278:
	v_mov_b32_e32 v8, 0
	global_load_dwordx2 v[2:3], v8, s[2:3] offset:40
	global_load_dwordx2 v[12:13], v8, s[2:3] offset:24 sc0 sc1
	global_load_dwordx2 v[4:5], v8, s[2:3]
	s_waitcnt vmcnt(2)
	v_readfirstlane_b32 s10, v2
	v_readfirstlane_b32 s11, v3
	s_add_u32 s12, s10, 1
	s_addc_u32 s13, s11, 0
	s_add_u32 s0, s12, s4
	s_addc_u32 s1, s13, s5
	s_cmp_eq_u64 s[0:1], 0
	s_cselect_b32 s1, s13, s1
	s_cselect_b32 s0, s12, s0
	s_and_b64 s[4:5], s[0:1], s[10:11]
	s_mul_i32 s5, s5, 24
	s_mul_hi_u32 s10, s4, 24
	s_mul_i32 s4, s4, 24
	s_add_i32 s5, s10, s5
	s_waitcnt vmcnt(0)
	v_lshl_add_u64 v[6:7], v[4:5], 0, s[4:5]
	v_mov_b32_e32 v10, s0
	global_store_dwordx2 v[6:7], v[12:13], off
	v_mov_b32_e32 v11, s1
	buffer_wbl2 sc0 sc1
	s_waitcnt vmcnt(0)
	global_atomic_cmpswap_x2 v[4:5], v8, v[10:13], s[2:3] offset:24 sc0 sc1
	s_mov_b64 s[4:5], 0
	s_waitcnt vmcnt(0)
	v_cmp_ne_u64_e32 vcc, v[4:5], v[12:13]
	s_and_b64 exec, exec, vcc
	s_cbranch_execz .LBB3_280
.LBB3_279:                              ; =>This Inner Loop Header: Depth=1
	s_sleep 1
	global_store_dwordx2 v[6:7], v[4:5], off
	v_mov_b32_e32 v2, s0
	v_mov_b32_e32 v3, s1
	buffer_wbl2 sc0 sc1
	s_waitcnt vmcnt(0)
	global_atomic_cmpswap_x2 v[2:3], v8, v[2:5], s[2:3] offset:24 sc0 sc1
	s_waitcnt vmcnt(0)
	v_cmp_eq_u64_e32 vcc, v[2:3], v[4:5]
	s_or_b64 s[4:5], vcc, s[4:5]
	v_mov_b64_e32 v[4:5], v[2:3]
	s_andn2_b64 exec, exec, s[4:5]
	s_cbranch_execnz .LBB3_279
.LBB3_280:
	s_or_b64 exec, exec, s[6:7]
	s_getpc_b64 s[0:1]
	s_add_u32 s0, s0, __FUNCTION__._ZL18flash_attn_ext_f16ILi64ELi64ELi8ELi4ELb1ELb0EEvPKcS1_S1_S1_S1_PKiPfP15HIP_vector_typeIfLj2EEffffjfiS5_IjLj3EEiiiiiiiiiiiliiliiiiil@rel32@lo+4
	s_addc_u32 s1, s1, __FUNCTION__._ZL18flash_attn_ext_f16ILi64ELi64ELi8ELi4ELb1ELb0EEvPKcS1_S1_S1_S1_PKiPfP15HIP_vector_typeIfLj2EEffffjfiS5_IjLj3EEiiiiiiiiiiiliiliiiiil@rel32@hi+12
	s_cmp_lg_u64 s[0:1], 0
	s_cselect_b32 s4, 19, 0
	s_getpc_b64 s[2:3]
	s_add_u32 s2, s2, __ockl_printf_append_string_n@rel32@lo+4
	s_addc_u32 s3, s3, __ockl_printf_append_string_n@rel32@hi+12
	v_mov_b32_e32 v2, s0
	v_mov_b32_e32 v3, s1
	;; [unrolled: 1-line block ×4, first 2 shown]
	s_mov_b64 s[18:19], s[8:9]
	s_swappc_b64 s[30:31], s[2:3]
	s_getpc_b64 s[0:1]
	s_add_u32 s0, s0, __ockl_printf_append_args@rel32@lo+4
	s_addc_u32 s1, s1, __ockl_printf_append_args@rel32@hi+12
	s_mov_b64 s[8:9], s[18:19]
	v_mov_b32_e32 v2, 0x514
	v_mov_b32_e32 v3, 0
	;; [unrolled: 1-line block ×3, first 2 shown]
	s_swappc_b64 s[30:31], s[0:1]
	s_trap 2
.Lfunc_end3:
	.size	_ZL14no_device_codePKciS0_iS0_, .Lfunc_end3-_ZL14no_device_codePKciS0_iS0_
                                        ; -- End function
	.set .L_ZL14no_device_codePKciS0_iS0_.num_vgpr, max(41, .L__ockl_printf_append_string_n.num_vgpr, .L__ockl_printf_append_args.num_vgpr)
	.set .L_ZL14no_device_codePKciS0_iS0_.num_agpr, max(0, .L__ockl_printf_append_string_n.num_agpr, .L__ockl_printf_append_args.num_agpr)
	.set .L_ZL14no_device_codePKciS0_iS0_.numbered_sgpr, max(34, .L__ockl_printf_append_string_n.numbered_sgpr, .L__ockl_printf_append_args.numbered_sgpr)
	.set .L_ZL14no_device_codePKciS0_iS0_.num_named_barrier, max(0, .L__ockl_printf_append_string_n.num_named_barrier, .L__ockl_printf_append_args.num_named_barrier)
	.set .L_ZL14no_device_codePKciS0_iS0_.private_seg_size, 16+max(.L__ockl_printf_append_string_n.private_seg_size, .L__ockl_printf_append_args.private_seg_size)
	.set .L_ZL14no_device_codePKciS0_iS0_.uses_vcc, or(1, .L__ockl_printf_append_string_n.uses_vcc, .L__ockl_printf_append_args.uses_vcc)
	.set .L_ZL14no_device_codePKciS0_iS0_.uses_flat_scratch, or(0, .L__ockl_printf_append_string_n.uses_flat_scratch, .L__ockl_printf_append_args.uses_flat_scratch)
	.set .L_ZL14no_device_codePKciS0_iS0_.has_dyn_sized_stack, or(0, .L__ockl_printf_append_string_n.has_dyn_sized_stack, .L__ockl_printf_append_args.has_dyn_sized_stack)
	.set .L_ZL14no_device_codePKciS0_iS0_.has_recursion, or(0, .L__ockl_printf_append_string_n.has_recursion, .L__ockl_printf_append_args.has_recursion)
	.set .L_ZL14no_device_codePKciS0_iS0_.has_indirect_call, or(0, .L__ockl_printf_append_string_n.has_indirect_call, .L__ockl_printf_append_args.has_indirect_call)
	.section	.AMDGPU.csdata,"",@progbits
; Function info:
; codeLenInByte = 9528
; TotalNumSgprs: 40
; NumVgprs: 52
; NumAgprs: 0
; TotalNumVgprs: 52
; ScratchSize: 16
; MemoryBound: 0
	.section	.text._ZL18flash_attn_ext_f16ILi64ELi64ELi8ELi4ELb1ELb0EEvPKcS1_S1_S1_S1_PKiPfP15HIP_vector_typeIfLj2EEffffjfiS5_IjLj3EEiiiiiiiiiiiliiliiiiil,"axG",@progbits,_ZL18flash_attn_ext_f16ILi64ELi64ELi8ELi4ELb1ELb0EEvPKcS1_S1_S1_S1_PKiPfP15HIP_vector_typeIfLj2EEffffjfiS5_IjLj3EEiiiiiiiiiiiliiliiiiil,comdat
	.globl	_ZL18flash_attn_ext_f16ILi64ELi64ELi8ELi4ELb1ELb0EEvPKcS1_S1_S1_S1_PKiPfP15HIP_vector_typeIfLj2EEffffjfiS5_IjLj3EEiiiiiiiiiiiliiliiiiil ; -- Begin function _ZL18flash_attn_ext_f16ILi64ELi64ELi8ELi4ELb1ELb0EEvPKcS1_S1_S1_S1_PKiPfP15HIP_vector_typeIfLj2EEffffjfiS5_IjLj3EEiiiiiiiiiiiliiliiiiil
	.p2align	8
	.type	_ZL18flash_attn_ext_f16ILi64ELi64ELi8ELi4ELb1ELb0EEvPKcS1_S1_S1_S1_PKiPfP15HIP_vector_typeIfLj2EEffffjfiS5_IjLj3EEiiiiiiiiiiiliiliiiiil,@function
_ZL18flash_attn_ext_f16ILi64ELi64ELi8ELi4ELb1ELb0EEvPKcS1_S1_S1_S1_PKiPfP15HIP_vector_typeIfLj2EEffffjfiS5_IjLj3EEiiiiiiiiiiiliiliiiiil: ; @_ZL18flash_attn_ext_f16ILi64ELi64ELi8ELi4ELb1ELb0EEvPKcS1_S1_S1_S1_PKiPfP15HIP_vector_typeIfLj2EEffffjfiS5_IjLj3EEiiiiiiiiiiiliiliiiiil
; %bb.0:
	s_add_u32 s8, s0, 0xd0
	s_addc_u32 s9, s1, 0
	s_getpc_b64 s[0:1]
	s_add_u32 s0, s0, _ZL14no_device_codePKciS0_iS0_@rel32@lo+4
	s_addc_u32 s1, s1, _ZL14no_device_codePKciS0_iS0_@rel32@hi+12
	v_mov_b32_e32 v0, 0x6cc
	s_mov_b32 s32, 0
	s_swappc_b64 s[30:31], s[0:1]
	.section	.rodata,"a",@progbits
	.p2align	6, 0x0
	.amdhsa_kernel _ZL18flash_attn_ext_f16ILi64ELi64ELi8ELi4ELb1ELb0EEvPKcS1_S1_S1_S1_PKiPfP15HIP_vector_typeIfLj2EEffffjfiS5_IjLj3EEiiiiiiiiiiiliiliiiiil
		.amdhsa_group_segment_fixed_size 0
		.amdhsa_private_segment_fixed_size 16
		.amdhsa_kernarg_size 464
		.amdhsa_user_sgpr_count 2
		.amdhsa_user_sgpr_dispatch_ptr 0
		.amdhsa_user_sgpr_queue_ptr 0
		.amdhsa_user_sgpr_kernarg_segment_ptr 1
		.amdhsa_user_sgpr_dispatch_id 0
		.amdhsa_user_sgpr_kernarg_preload_length 0
		.amdhsa_user_sgpr_kernarg_preload_offset 0
		.amdhsa_user_sgpr_private_segment_size 0
		.amdhsa_uses_dynamic_stack 0
		.amdhsa_enable_private_segment 1
		.amdhsa_system_sgpr_workgroup_id_x 1
		.amdhsa_system_sgpr_workgroup_id_y 0
		.amdhsa_system_sgpr_workgroup_id_z 0
		.amdhsa_system_sgpr_workgroup_info 0
		.amdhsa_system_vgpr_workitem_id 0
		.amdhsa_next_free_vgpr 52
		.amdhsa_next_free_sgpr 34
		.amdhsa_accum_offset 52
		.amdhsa_reserve_vcc 1
		.amdhsa_float_round_mode_32 0
		.amdhsa_float_round_mode_16_64 0
		.amdhsa_float_denorm_mode_32 3
		.amdhsa_float_denorm_mode_16_64 3
		.amdhsa_dx10_clamp 1
		.amdhsa_ieee_mode 1
		.amdhsa_fp16_overflow 0
		.amdhsa_tg_split 0
		.amdhsa_exception_fp_ieee_invalid_op 0
		.amdhsa_exception_fp_denorm_src 0
		.amdhsa_exception_fp_ieee_div_zero 0
		.amdhsa_exception_fp_ieee_overflow 0
		.amdhsa_exception_fp_ieee_underflow 0
		.amdhsa_exception_fp_ieee_inexact 0
		.amdhsa_exception_int_div_zero 0
	.end_amdhsa_kernel
	.section	.text._ZL18flash_attn_ext_f16ILi64ELi64ELi8ELi4ELb1ELb0EEvPKcS1_S1_S1_S1_PKiPfP15HIP_vector_typeIfLj2EEffffjfiS5_IjLj3EEiiiiiiiiiiiliiliiiiil,"axG",@progbits,_ZL18flash_attn_ext_f16ILi64ELi64ELi8ELi4ELb1ELb0EEvPKcS1_S1_S1_S1_PKiPfP15HIP_vector_typeIfLj2EEffffjfiS5_IjLj3EEiiiiiiiiiiiliiliiiiil,comdat
.Lfunc_end4:
	.size	_ZL18flash_attn_ext_f16ILi64ELi64ELi8ELi4ELb1ELb0EEvPKcS1_S1_S1_S1_PKiPfP15HIP_vector_typeIfLj2EEffffjfiS5_IjLj3EEiiiiiiiiiiiliiliiiiil, .Lfunc_end4-_ZL18flash_attn_ext_f16ILi64ELi64ELi8ELi4ELb1ELb0EEvPKcS1_S1_S1_S1_PKiPfP15HIP_vector_typeIfLj2EEffffjfiS5_IjLj3EEiiiiiiiiiiiliiliiiiil
                                        ; -- End function
	.set _ZL18flash_attn_ext_f16ILi64ELi64ELi8ELi4ELb1ELb0EEvPKcS1_S1_S1_S1_PKiPfP15HIP_vector_typeIfLj2EEffffjfiS5_IjLj3EEiiiiiiiiiiiliiliiiiil.num_vgpr, max(1, .L_ZL14no_device_codePKciS0_iS0_.num_vgpr)
	.set _ZL18flash_attn_ext_f16ILi64ELi64ELi8ELi4ELb1ELb0EEvPKcS1_S1_S1_S1_PKiPfP15HIP_vector_typeIfLj2EEffffjfiS5_IjLj3EEiiiiiiiiiiiliiliiiiil.num_agpr, max(0, .L_ZL14no_device_codePKciS0_iS0_.num_agpr)
	.set _ZL18flash_attn_ext_f16ILi64ELi64ELi8ELi4ELb1ELb0EEvPKcS1_S1_S1_S1_PKiPfP15HIP_vector_typeIfLj2EEffffjfiS5_IjLj3EEiiiiiiiiiiiliiliiiiil.numbered_sgpr, max(33, .L_ZL14no_device_codePKciS0_iS0_.numbered_sgpr)
	.set _ZL18flash_attn_ext_f16ILi64ELi64ELi8ELi4ELb1ELb0EEvPKcS1_S1_S1_S1_PKiPfP15HIP_vector_typeIfLj2EEffffjfiS5_IjLj3EEiiiiiiiiiiiliiliiiiil.num_named_barrier, max(0, .L_ZL14no_device_codePKciS0_iS0_.num_named_barrier)
	.set _ZL18flash_attn_ext_f16ILi64ELi64ELi8ELi4ELb1ELb0EEvPKcS1_S1_S1_S1_PKiPfP15HIP_vector_typeIfLj2EEffffjfiS5_IjLj3EEiiiiiiiiiiiliiliiiiil.private_seg_size, 0+max(.L_ZL14no_device_codePKciS0_iS0_.private_seg_size)
	.set _ZL18flash_attn_ext_f16ILi64ELi64ELi8ELi4ELb1ELb0EEvPKcS1_S1_S1_S1_PKiPfP15HIP_vector_typeIfLj2EEffffjfiS5_IjLj3EEiiiiiiiiiiiliiliiiiil.uses_vcc, or(1, .L_ZL14no_device_codePKciS0_iS0_.uses_vcc)
	.set _ZL18flash_attn_ext_f16ILi64ELi64ELi8ELi4ELb1ELb0EEvPKcS1_S1_S1_S1_PKiPfP15HIP_vector_typeIfLj2EEffffjfiS5_IjLj3EEiiiiiiiiiiiliiliiiiil.uses_flat_scratch, or(0, .L_ZL14no_device_codePKciS0_iS0_.uses_flat_scratch)
	.set _ZL18flash_attn_ext_f16ILi64ELi64ELi8ELi4ELb1ELb0EEvPKcS1_S1_S1_S1_PKiPfP15HIP_vector_typeIfLj2EEffffjfiS5_IjLj3EEiiiiiiiiiiiliiliiiiil.has_dyn_sized_stack, or(0, .L_ZL14no_device_codePKciS0_iS0_.has_dyn_sized_stack)
	.set _ZL18flash_attn_ext_f16ILi64ELi64ELi8ELi4ELb1ELb0EEvPKcS1_S1_S1_S1_PKiPfP15HIP_vector_typeIfLj2EEffffjfiS5_IjLj3EEiiiiiiiiiiiliiliiiiil.has_recursion, or(0, .L_ZL14no_device_codePKciS0_iS0_.has_recursion)
	.set _ZL18flash_attn_ext_f16ILi64ELi64ELi8ELi4ELb1ELb0EEvPKcS1_S1_S1_S1_PKiPfP15HIP_vector_typeIfLj2EEffffjfiS5_IjLj3EEiiiiiiiiiiiliiliiiiil.has_indirect_call, or(0, .L_ZL14no_device_codePKciS0_iS0_.has_indirect_call)
	.section	.AMDGPU.csdata,"",@progbits
; Kernel info:
; codeLenInByte = 48
; TotalNumSgprs: 40
; NumVgprs: 52
; NumAgprs: 0
; TotalNumVgprs: 52
; ScratchSize: 16
; MemoryBound: 0
; FloatMode: 240
; IeeeMode: 1
; LDSByteSize: 0 bytes/workgroup (compile time only)
; SGPRBlocks: 4
; VGPRBlocks: 6
; NumSGPRsForWavesPerEU: 40
; NumVGPRsForWavesPerEU: 52
; AccumOffset: 52
; Occupancy: 8
; WaveLimiterHint : 1
; COMPUTE_PGM_RSRC2:SCRATCH_EN: 1
; COMPUTE_PGM_RSRC2:USER_SGPR: 2
; COMPUTE_PGM_RSRC2:TRAP_HANDLER: 0
; COMPUTE_PGM_RSRC2:TGID_X_EN: 1
; COMPUTE_PGM_RSRC2:TGID_Y_EN: 0
; COMPUTE_PGM_RSRC2:TGID_Z_EN: 0
; COMPUTE_PGM_RSRC2:TIDIG_COMP_CNT: 0
; COMPUTE_PGM_RSRC3_GFX90A:ACCUM_OFFSET: 12
; COMPUTE_PGM_RSRC3_GFX90A:TG_SPLIT: 0
	.section	.text._ZL25flash_attn_mask_to_KV_maxILi8EEvPK7__half2Piiii,"axG",@progbits,_ZL25flash_attn_mask_to_KV_maxILi8EEvPK7__half2Piiii,comdat
	.globl	_ZL25flash_attn_mask_to_KV_maxILi8EEvPK7__half2Piiii ; -- Begin function _ZL25flash_attn_mask_to_KV_maxILi8EEvPK7__half2Piiii
	.p2align	8
	.type	_ZL25flash_attn_mask_to_KV_maxILi8EEvPK7__half2Piiii,@function
_ZL25flash_attn_mask_to_KV_maxILi8EEvPK7__half2Piiii: ; @_ZL25flash_attn_mask_to_KV_maxILi8EEvPK7__half2Piiii
; %bb.0:
	s_load_dwordx4 s[4:7], s[0:1], 0x0
	v_cmp_gt_u32_e32 vcc, 32, v0
	s_and_saveexec_b64 s[8:9], vcc
; %bb.1:
	v_lshlrev_b32_e32 v1, 2, v0
	v_mov_b32_e32 v2, 1
	ds_write_b32 v1, v2
; %bb.2:
	s_or_b64 exec, exec, s[8:9]
	s_load_dwordx4 s[8:11], s[0:1], 0x10
	s_load_dword s33, s[0:1], 0x20
	v_and_b32_e32 v2, 31, v0
	v_lshlrev_b32_e32 v6, 2, v2
	v_lshrrev_b32_e32 v1, 3, v0
	s_waitcnt lgkmcnt(0)
	s_mul_i32 s1, s2, s9
	s_mul_i32 s0, s10, s3
	s_lshl_b32 s1, s1, 3
	s_add_i32 s0, s0, s1
	s_ashr_i32 s1, s0, 31
	s_lshl_b64 s[0:1], s[0:1], 2
	s_add_u32 s10, s4, s0
	s_addc_u32 s11, s5, s1
	v_cmp_eq_u32_e64 s[0:1], 0, v2
	v_mbcnt_lo_u32_b32 v2, -1, 0
	s_lshl_b32 s8, s8, 8
	s_mov_b64 s[12:13], 0
	v_mov_b32_e32 v3, 0
	s_movk_i32 s42, 0x204
	v_mbcnt_hi_u32_b32 v7, -1, v2
	s_barrier
                                        ; implicit-def: $sgpr4_sgpr5
	s_branch .LBB5_5
.LBB5_3:                                ;   in Loop: Header=BB5_5 Depth=1
	s_or_b64 exec, exec, s[14:15]
	s_waitcnt lgkmcnt(0)
	s_barrier
	ds_read_b32 v10, v6
	s_waitcnt lgkmcnt(0)
	s_barrier
	ds_bpermute_b32 v2, v2, v10
	v_cmp_ne_u32_e32 vcc, 0, v10
	s_waitcnt lgkmcnt(0)
	v_cmp_ne_u32_e64 s[4:5], 0, v2
	s_and_b64 s[4:5], vcc, s[4:5]
	s_nop 0
	v_cndmask_b32_e64 v2, 0, 1, s[4:5]
	ds_bpermute_b32 v2, v4, v2
	s_waitcnt lgkmcnt(0)
	v_cmp_ne_u32_e32 vcc, 0, v2
	s_and_b64 s[4:5], vcc, s[4:5]
	v_cndmask_b32_e64 v2, 0, 1, s[4:5]
	ds_bpermute_b32 v2, v5, v2
	s_waitcnt lgkmcnt(0)
	v_cmp_ne_u32_e32 vcc, 0, v2
	s_and_b64 s[4:5], vcc, s[4:5]
	;; [unrolled: 5-line block ×3, first 2 shown]
	v_cndmask_b32_e64 v2, 0, 1, s[4:5]
	ds_bpermute_b32 v2, v9, v2
	s_xor_b64 s[4:5], s[4:5], -1
	s_waitcnt lgkmcnt(0)
	v_cmp_eq_u32_e32 vcc, 0, v2
	s_or_b64 s[4:5], vcc, s[4:5]
.LBB5_4:                                ;   in Loop: Header=BB5_5 Depth=1
	s_and_b64 s[14:15], exec, s[4:5]
	s_or_b64 s[12:13], s[14:15], s[12:13]
	v_mov_b32_e32 v2, s8
	s_mov_b32 s8, s43
	s_andn2_b64 exec, exec, s[12:13]
	s_cbranch_execz .LBB5_36
.LBB5_5:                                ; =>This Inner Loop Header: Depth=1
	s_add_i32 s43, s8, 0xffffff00
	s_or_b64 s[4:5], s[4:5], exec
	s_cmp_lt_i32 s43, 0
	s_cbranch_scc1 .LBB5_4
; %bb.6:                                ;   in Loop: Header=BB5_5 Depth=1
	s_lshr_b32 s4, s43, 1
	v_add_u32_e32 v2, s4, v0
	v_lshl_add_u64 v[4:5], v[2:3], 2, s[10:11]
	global_load_dword v4, v[4:5], off
	v_mov_b32_e32 v5, 0
	s_waitcnt vmcnt(0)
	v_cmp_class_f16_e64 s[4:5], v4, s42
	v_cmp_class_f16_sdwa s[14:15], v4, s42 src0_sel:WORD_1 src1_sel:DWORD
	s_and_b64 s[14:15], s[4:5], s[14:15]
	s_and_saveexec_b64 s[4:5], s[14:15]
	s_cbranch_execz .LBB5_34
; %bb.7:                                ;   in Loop: Header=BB5_5 Depth=1
	v_add_u32_e32 v4, s9, v2
	v_ashrrev_i32_e32 v5, 31, v4
	v_lshl_add_u64 v[8:9], v[4:5], 2, s[10:11]
	global_load_dword v2, v[8:9], off
	v_mov_b32_e32 v5, 0
	s_waitcnt vmcnt(0)
	v_cmp_class_f16_e64 s[16:17], v2, s42
	s_and_saveexec_b64 s[14:15], s[16:17]
	s_cbranch_execz .LBB5_33
; %bb.8:                                ;   in Loop: Header=BB5_5 Depth=1
	v_cmp_class_f16_sdwa s[18:19], v2, s42 src0_sel:WORD_1 src1_sel:DWORD
	v_mov_b32_e32 v5, 0
	s_and_saveexec_b64 s[16:17], s[18:19]
	s_cbranch_execz .LBB5_32
; %bb.9:                                ;   in Loop: Header=BB5_5 Depth=1
	v_add_u32_e32 v4, s9, v4
	v_ashrrev_i32_e32 v5, 31, v4
	v_lshl_add_u64 v[8:9], v[4:5], 2, s[10:11]
	global_load_dword v2, v[8:9], off
	v_mov_b32_e32 v5, 0
	s_waitcnt vmcnt(0)
	v_cmp_class_f16_e64 s[20:21], v2, s42
	s_and_saveexec_b64 s[18:19], s[20:21]
	s_cbranch_execz .LBB5_31
; %bb.10:                               ;   in Loop: Header=BB5_5 Depth=1
	v_cmp_class_f16_sdwa s[22:23], v2, s42 src0_sel:WORD_1 src1_sel:DWORD
	v_mov_b32_e32 v5, 0
	s_and_saveexec_b64 s[20:21], s[22:23]
	s_cbranch_execz .LBB5_30
; %bb.11:                               ;   in Loop: Header=BB5_5 Depth=1
	v_add_u32_e32 v4, s9, v4
	v_ashrrev_i32_e32 v5, 31, v4
	v_lshl_add_u64 v[8:9], v[4:5], 2, s[10:11]
	global_load_dword v2, v[8:9], off
	v_mov_b32_e32 v5, 0
	s_waitcnt vmcnt(0)
	v_cmp_class_f16_e64 s[24:25], v2, s42
	s_and_saveexec_b64 s[22:23], s[24:25]
	s_cbranch_execz .LBB5_29
; %bb.12:                               ;   in Loop: Header=BB5_5 Depth=1
	v_cmp_class_f16_sdwa s[26:27], v2, s42 src0_sel:WORD_1 src1_sel:DWORD
	v_mov_b32_e32 v5, 0
	s_and_saveexec_b64 s[24:25], s[26:27]
	s_cbranch_execz .LBB5_28
; %bb.13:                               ;   in Loop: Header=BB5_5 Depth=1
	;; [unrolled: 15-line block ×5, first 2 shown]
	v_add_u32_e32 v4, s9, v4
	v_ashrrev_i32_e32 v5, 31, v4
	v_lshl_add_u64 v[4:5], v[4:5], 2, s[10:11]
	global_load_dword v2, v[4:5], off
	v_mov_b32_e32 v5, 0
	s_waitcnt vmcnt(0)
	v_cmp_class_f16_e64 s[44:45], v2, s42
	s_and_saveexec_b64 s[40:41], s[44:45]
; %bb.20:                               ;   in Loop: Header=BB5_5 Depth=1
	v_cmp_class_f16_sdwa s[44:45], v2, s42 src0_sel:WORD_1 src1_sel:DWORD
	s_nop 1
	v_cndmask_b32_e64 v5, 0, 1, s[44:45]
; %bb.21:                               ;   in Loop: Header=BB5_5 Depth=1
	s_or_b64 exec, exec, s[40:41]
.LBB5_22:                               ;   in Loop: Header=BB5_5 Depth=1
	s_or_b64 exec, exec, s[38:39]
.LBB5_23:                               ;   in Loop: Header=BB5_5 Depth=1
	s_or_b64 exec, exec, s[36:37]
.LBB5_24:                               ;   in Loop: Header=BB5_5 Depth=1
	s_or_b64 exec, exec, s[34:35]
.LBB5_25:                               ;   in Loop: Header=BB5_5 Depth=1
	s_or_b64 exec, exec, s[30:31]
.LBB5_26:                               ;   in Loop: Header=BB5_5 Depth=1
	s_or_b64 exec, exec, s[28:29]
.LBB5_27:                               ;   in Loop: Header=BB5_5 Depth=1
	s_or_b64 exec, exec, s[26:27]
.LBB5_28:                               ;   in Loop: Header=BB5_5 Depth=1
	s_or_b64 exec, exec, s[24:25]
.LBB5_29:                               ;   in Loop: Header=BB5_5 Depth=1
	s_or_b64 exec, exec, s[22:23]
.LBB5_30:                               ;   in Loop: Header=BB5_5 Depth=1
	s_or_b64 exec, exec, s[20:21]
.LBB5_31:                               ;   in Loop: Header=BB5_5 Depth=1
	s_or_b64 exec, exec, s[18:19]
.LBB5_32:                               ;   in Loop: Header=BB5_5 Depth=1
	s_or_b64 exec, exec, s[16:17]
.LBB5_33:                               ;   in Loop: Header=BB5_5 Depth=1
	s_or_b64 exec, exec, s[14:15]
.LBB5_34:                               ;   in Loop: Header=BB5_5 Depth=1
	s_or_b64 exec, exec, s[4:5]
	v_and_b32_e32 v2, 0x60, v7
	v_add_u32_e32 v9, 32, v2
	v_xor_b32_e32 v2, 16, v7
	v_cmp_lt_i32_e32 vcc, v2, v9
	v_xor_b32_e32 v11, 1, v7
	s_nop 0
	v_cndmask_b32_e32 v2, v7, v2, vcc
	v_lshlrev_b32_e32 v2, 2, v2
	ds_bpermute_b32 v4, v2, v5
	v_cmp_ne_u32_e32 vcc, 0, v5
	s_waitcnt lgkmcnt(0)
	v_cmp_ne_u32_e64 s[4:5], 0, v4
	v_xor_b32_e32 v4, 8, v7
	s_and_b64 s[4:5], vcc, s[4:5]
	v_cmp_lt_i32_e32 vcc, v4, v9
	v_cndmask_b32_e64 v5, 0, 1, s[4:5]
	s_nop 0
	v_cndmask_b32_e32 v4, v7, v4, vcc
	v_lshlrev_b32_e32 v4, 2, v4
	ds_bpermute_b32 v5, v4, v5
	s_waitcnt lgkmcnt(0)
	v_cmp_ne_u32_e32 vcc, 0, v5
	v_xor_b32_e32 v5, 4, v7
	s_and_b64 s[4:5], vcc, s[4:5]
	v_cmp_lt_i32_e32 vcc, v5, v9
	v_cndmask_b32_e64 v8, 0, 1, s[4:5]
	s_nop 0
	v_cndmask_b32_e32 v5, v7, v5, vcc
	v_lshlrev_b32_e32 v5, 2, v5
	ds_bpermute_b32 v8, v5, v8
	s_waitcnt lgkmcnt(0)
	v_cmp_ne_u32_e32 vcc, 0, v8
	;; [unrolled: 10-line block ×3, first 2 shown]
	s_and_b64 s[4:5], vcc, s[4:5]
	v_cmp_lt_i32_e32 vcc, v11, v9
	v_cndmask_b32_e64 v10, 0, 1, s[4:5]
	s_nop 0
	v_cndmask_b32_e32 v9, v7, v11, vcc
	v_lshlrev_b32_e32 v9, 2, v9
	ds_bpermute_b32 v10, v9, v10
	s_and_saveexec_b64 s[14:15], s[0:1]
	s_cbranch_execz .LBB5_3
; %bb.35:                               ;   in Loop: Header=BB5_5 Depth=1
	s_waitcnt lgkmcnt(0)
	v_cmp_ne_u32_e32 vcc, 0, v10
	s_and_b64 s[4:5], vcc, s[4:5]
	v_cndmask_b32_e64 v10, 0, 1, s[4:5]
	ds_write_b32 v1, v10
	s_branch .LBB5_3
.LBB5_36:
	s_or_b64 exec, exec, s[12:13]
	v_cmp_eq_u32_e32 vcc, 0, v0
	s_and_saveexec_b64 s[0:1], vcc
	s_cbranch_execz .LBB5_38
; %bb.37:
	s_mul_i32 s0, s33, s3
	s_add_i32 s0, s0, s2
	s_ashr_i32 s1, s0, 31
	s_lshl_b64 s[0:1], s[0:1], 2
	s_add_u32 s0, s6, s0
	s_addc_u32 s1, s7, s1
	v_mov_b32_e32 v0, 0
	global_store_dword v0, v2, s[0:1]
.LBB5_38:
	s_endpgm
	.section	.rodata,"a",@progbits
	.p2align	6, 0x0
	.amdhsa_kernel _ZL25flash_attn_mask_to_KV_maxILi8EEvPK7__half2Piiii
		.amdhsa_group_segment_fixed_size 128
		.amdhsa_private_segment_fixed_size 0
		.amdhsa_kernarg_size 288
		.amdhsa_user_sgpr_count 2
		.amdhsa_user_sgpr_dispatch_ptr 0
		.amdhsa_user_sgpr_queue_ptr 0
		.amdhsa_user_sgpr_kernarg_segment_ptr 1
		.amdhsa_user_sgpr_dispatch_id 0
		.amdhsa_user_sgpr_kernarg_preload_length 0
		.amdhsa_user_sgpr_kernarg_preload_offset 0
		.amdhsa_user_sgpr_private_segment_size 0
		.amdhsa_uses_dynamic_stack 0
		.amdhsa_enable_private_segment 0
		.amdhsa_system_sgpr_workgroup_id_x 1
		.amdhsa_system_sgpr_workgroup_id_y 1
		.amdhsa_system_sgpr_workgroup_id_z 0
		.amdhsa_system_sgpr_workgroup_info 0
		.amdhsa_system_vgpr_workitem_id 0
		.amdhsa_next_free_vgpr 12
		.amdhsa_next_free_sgpr 46
		.amdhsa_accum_offset 12
		.amdhsa_reserve_vcc 1
		.amdhsa_float_round_mode_32 0
		.amdhsa_float_round_mode_16_64 0
		.amdhsa_float_denorm_mode_32 3
		.amdhsa_float_denorm_mode_16_64 3
		.amdhsa_dx10_clamp 1
		.amdhsa_ieee_mode 1
		.amdhsa_fp16_overflow 0
		.amdhsa_tg_split 0
		.amdhsa_exception_fp_ieee_invalid_op 0
		.amdhsa_exception_fp_denorm_src 0
		.amdhsa_exception_fp_ieee_div_zero 0
		.amdhsa_exception_fp_ieee_overflow 0
		.amdhsa_exception_fp_ieee_underflow 0
		.amdhsa_exception_fp_ieee_inexact 0
		.amdhsa_exception_int_div_zero 0
	.end_amdhsa_kernel
	.section	.text._ZL25flash_attn_mask_to_KV_maxILi8EEvPK7__half2Piiii,"axG",@progbits,_ZL25flash_attn_mask_to_KV_maxILi8EEvPK7__half2Piiii,comdat
.Lfunc_end5:
	.size	_ZL25flash_attn_mask_to_KV_maxILi8EEvPK7__half2Piiii, .Lfunc_end5-_ZL25flash_attn_mask_to_KV_maxILi8EEvPK7__half2Piiii
                                        ; -- End function
	.set _ZL25flash_attn_mask_to_KV_maxILi8EEvPK7__half2Piiii.num_vgpr, 12
	.set _ZL25flash_attn_mask_to_KV_maxILi8EEvPK7__half2Piiii.num_agpr, 0
	.set _ZL25flash_attn_mask_to_KV_maxILi8EEvPK7__half2Piiii.numbered_sgpr, 46
	.set _ZL25flash_attn_mask_to_KV_maxILi8EEvPK7__half2Piiii.num_named_barrier, 0
	.set _ZL25flash_attn_mask_to_KV_maxILi8EEvPK7__half2Piiii.private_seg_size, 0
	.set _ZL25flash_attn_mask_to_KV_maxILi8EEvPK7__half2Piiii.uses_vcc, 1
	.set _ZL25flash_attn_mask_to_KV_maxILi8EEvPK7__half2Piiii.uses_flat_scratch, 0
	.set _ZL25flash_attn_mask_to_KV_maxILi8EEvPK7__half2Piiii.has_dyn_sized_stack, 0
	.set _ZL25flash_attn_mask_to_KV_maxILi8EEvPK7__half2Piiii.has_recursion, 0
	.set _ZL25flash_attn_mask_to_KV_maxILi8EEvPK7__half2Piiii.has_indirect_call, 0
	.section	.AMDGPU.csdata,"",@progbits
; Kernel info:
; codeLenInByte = 1292
; TotalNumSgprs: 52
; NumVgprs: 12
; NumAgprs: 0
; TotalNumVgprs: 12
; ScratchSize: 0
; MemoryBound: 0
; FloatMode: 240
; IeeeMode: 1
; LDSByteSize: 128 bytes/workgroup (compile time only)
; SGPRBlocks: 6
; VGPRBlocks: 1
; NumSGPRsForWavesPerEU: 52
; NumVGPRsForWavesPerEU: 12
; AccumOffset: 12
; Occupancy: 8
; WaveLimiterHint : 0
; COMPUTE_PGM_RSRC2:SCRATCH_EN: 0
; COMPUTE_PGM_RSRC2:USER_SGPR: 2
; COMPUTE_PGM_RSRC2:TRAP_HANDLER: 0
; COMPUTE_PGM_RSRC2:TGID_X_EN: 1
; COMPUTE_PGM_RSRC2:TGID_Y_EN: 1
; COMPUTE_PGM_RSRC2:TGID_Z_EN: 0
; COMPUTE_PGM_RSRC2:TIDIG_COMP_CNT: 0
; COMPUTE_PGM_RSRC3_GFX90A:ACCUM_OFFSET: 2
; COMPUTE_PGM_RSRC3_GFX90A:TG_SPLIT: 0
	.section	.text._ZL33flash_attn_stream_k_fixup_uniformILi64ELi8ELi4EEvPfPK15HIP_vector_typeIfLj2EEiiiiiiS1_IjLj3EES5_S5_,"axG",@progbits,_ZL33flash_attn_stream_k_fixup_uniformILi64ELi8ELi4EEvPfPK15HIP_vector_typeIfLj2EEiiiiiiS1_IjLj3EES5_S5_,comdat
	.globl	_ZL33flash_attn_stream_k_fixup_uniformILi64ELi8ELi4EEvPfPK15HIP_vector_typeIfLj2EEiiiiiiS1_IjLj3EES5_S5_ ; -- Begin function _ZL33flash_attn_stream_k_fixup_uniformILi64ELi8ELi4EEvPfPK15HIP_vector_typeIfLj2EEiiiiiiS1_IjLj3EES5_S5_
	.p2align	8
	.type	_ZL33flash_attn_stream_k_fixup_uniformILi64ELi8ELi4EEvPfPK15HIP_vector_typeIfLj2EEiiiiiiS1_IjLj3EES5_S5_,@function
_ZL33flash_attn_stream_k_fixup_uniformILi64ELi8ELi4EEvPfPK15HIP_vector_typeIfLj2EEiiiiiiS1_IjLj3EES5_S5_: ; @_ZL33flash_attn_stream_k_fixup_uniformILi64ELi8ELi4EEvPfPK15HIP_vector_typeIfLj2EEiiiiiiS1_IjLj3EES5_S5_
; %bb.0:
	s_load_dwordx8 s[8:15], s[0:1], 0x1c
	s_load_dwordx2 s[6:7], s[0:1], 0x10
	s_load_dwordx4 s[20:23], s[0:1], 0x3c
	s_waitcnt lgkmcnt(0)
	s_mul_hi_u32 s5, s11, s2
	s_add_i32 s5, s2, s5
	s_lshr_b32 s5, s5, s12
	s_mul_i32 s11, s5, s13
	s_sub_i32 s11, s2, s11
	s_mul_hi_u32 s12, s11, s14
	s_add_i32 s12, s11, s12
	s_lshr_b32 s16, s12, s15
	s_mul_i32 s12, s16, s20
	s_sub_i32 s11, s11, s12
	;; [unrolled: 5-line block ×3, first 2 shown]
	s_lshl_b32 s11, s12, 2
	s_lshl_b32 s12, s17, 3
	s_add_i32 s12, s12, s3
	s_cmp_lt_i32 s12, s6
	s_cselect_b64 s[12:13], -1, 0
	s_add_i32 s14, s11, s4
	s_cmp_lt_i32 s14, s9
	s_cselect_b64 s[14:15], -1, 0
	s_and_b64 s[12:13], s[12:13], s[14:15]
	s_andn2_b64 vcc, exec, s[12:13]
	s_cbranch_vccnz .LBB6_6
; %bb.1:
	s_load_dwordx4 s[12:15], s[0:1], 0x0
	s_mul_i32 s0, s5, s6
	s_add_i32 s0, s0, s3
	s_mul_i32 s0, s0, s7
	s_mul_i32 s16, s16, s9
	s_add_i32 s0, s0, s4
	s_add_i32 s0, s0, s16
	s_mul_i32 s1, s7, s17
	s_add_i32 s0, s0, s11
	s_lshl_b32 s1, s1, 9
	s_lshl_b32 s0, s0, 6
	s_add_i32 s1, s1, s0
	v_or_b32_e32 v4, s1, v0
	s_waitcnt lgkmcnt(0)
	v_mov_b32_e32 v2, s12
	v_mov_b32_e32 v3, s13
	v_ashrrev_i32_e32 v5, 31, v4
	v_lshl_add_u64 v[2:3], v[4:5], 2, v[2:3]
	global_load_dword v5, v[2:3], off
	s_mul_i32 s5, s10, s2
	s_lshl_b32 s11, s3, 2
	s_add_i32 s9, s5, s10
	s_add_i32 s0, s11, s4
	s_lshl_b32 s1, s9, 5
	s_add_i32 s0, s0, s1
	s_sub_i32 s0, s0, 32
	s_ashr_i32 s1, s0, 31
	s_lshl_b64 s[0:1], s[0:1], 3
	s_add_u32 s0, s14, s0
	s_addc_u32 s1, s15, s1
	s_load_dword s12, s[0:1], 0x4
	s_add_i32 s6, s9, -2
	s_cmp_lt_i32 s6, s5
	s_cbranch_scc1 .LBB6_4
; %bb.2:
	s_lshl_b32 s6, s8, 7
	s_ashr_i32 s7, s6, 31
	s_lshl_b64 s[6:7], s[6:7], 2
	s_add_u32 s6, s14, s6
	s_addc_u32 s7, s15, s7
	s_add_i32 s2, s2, 1
	s_load_dword s0, s[0:1], 0x0
	s_mul_i32 s1, s10, s2
	s_lshl_b32 s3, s3, 8
	s_lshl_b32 s10, s4, 6
	;; [unrolled: 1-line block ×3, first 2 shown]
	s_add_i32 s3, s10, s3
	s_lshl_b32 s1, s1, 5
	s_add_i32 s3, s3, s2
	s_add_i32 s1, s4, s1
	s_lshl_b32 s2, s8, 5
	s_add_i32 s1, s1, s2
	v_or_b32_e32 v0, s3, v0
	s_add_i32 s1, s1, s11
	s_add_i32 s9, s9, -1
	v_add_u32_e32 v0, 0xfffff000, v0
	s_sub_i32 s2, s1, 64
	s_waitcnt lgkmcnt(0)
	v_mov_b32_e32 v7, s0
	v_mov_b32_e32 v4, s12
	s_mov_b32 s4, 0x3fb8aa3b
	s_mov_b32 s8, 0xc2ce8ed0
	;; [unrolled: 1-line block ×3, first 2 shown]
	v_mov_b32_e32 v6, 0x7f800000
	s_mov_b32 s11, 0xc1a00000
.LBB6_3:                                ; =>This Inner Loop Header: Depth=1
	v_ashrrev_i32_e32 v1, 31, v0
	v_lshl_add_u64 v[8:9], v[0:1], 2, s[6:7]
	global_load_dword v9, v[8:9], off
	s_ashr_i32 s3, s2, 31
	s_lshl_b64 s[0:1], s[2:3], 3
	s_add_u32 s0, s14, s0
	s_addc_u32 s1, s15, s1
	s_load_dwordx2 s[0:1], s[0:1], 0x0
	v_max_f32_e32 v1, v7, v7
	s_add_i32 s9, s9, -1
	s_sub_i32 s2, s2, 32
	v_add_u32_e32 v0, 0xfffff800, v0
	s_waitcnt lgkmcnt(0)
	v_max_f32_e64 v10, s0, s0
	v_max_f32_e32 v1, v1, v10
	v_sub_f32_e32 v11, s0, v1
	v_sub_f32_e32 v10, v7, v1
	v_mul_f32_e32 v12, 0x3fb8aa3b, v11
	v_mov_b32_e32 v7, v1
	v_mul_f32_e32 v1, 0x3fb8aa3b, v10
	v_fma_f32 v15, v11, s4, -v12
	v_rndne_f32_e32 v16, v12
	v_fma_f32 v13, v10, s4, -v1
	v_rndne_f32_e32 v14, v1
	v_fmac_f32_e32 v15, 0x32a5705f, v11
	v_sub_f32_e32 v12, v12, v16
	v_fmac_f32_e32 v13, 0x32a5705f, v10
	v_sub_f32_e32 v1, v1, v14
	v_add_f32_e32 v12, v12, v15
	v_cvt_i32_f32_e32 v16, v16
	v_add_f32_e32 v1, v1, v13
	v_exp_f32_e32 v12, v12
	v_cvt_i32_f32_e32 v14, v14
	v_exp_f32_e32 v1, v1
	v_cmp_ngt_f32_e32 vcc, s8, v11
	v_ldexp_f32 v12, v12, v16
	v_mov_b32_e32 v8, s1
	v_ldexp_f32 v1, v1, v14
	v_cmp_ngt_f32_e64 s[0:1], s8, v10
	v_cndmask_b32_e32 v12, 0, v12, vcc
	v_cmp_nlt_f32_e32 vcc, s10, v11
	v_cndmask_b32_e64 v1, 0, v1, s[0:1]
	v_cmp_nlt_f32_e64 s[0:1], s10, v10
	v_cndmask_b32_e32 v12, v6, v12, vcc
	v_cmp_le_f32_e32 vcc, s11, v11
	v_cndmask_b32_e64 v1, v6, v1, s[0:1]
	v_cmp_le_f32_e64 s[0:1], s11, v10
	v_cndmask_b32_e32 v12, 0, v12, vcc
	s_cmp_le_i32 s9, s5
	v_cndmask_b32_e64 v10, 0, v1, s[0:1]
	s_waitcnt vmcnt(0)
	v_pk_mul_f32 v[8:9], v[8:9], v[12:13] op_sel_hi:[1,0]
	s_nop 0
	v_pk_fma_f32 v[4:5], v[4:5], v[10:11], v[8:9] op_sel_hi:[1,0,1]
	s_cbranch_scc0 .LBB6_3
	s_branch .LBB6_5
.LBB6_4:
	s_waitcnt lgkmcnt(0)
	v_mov_b32_e32 v4, s12
.LBB6_5:
	s_waitcnt vmcnt(0)
	v_div_scale_f32 v0, s[0:1], v4, v4, v5
	v_rcp_f32_e32 v1, v0
	v_div_scale_f32 v6, vcc, v5, v4, v5
	v_fma_f32 v7, -v0, v1, 1.0
	v_fmac_f32_e32 v1, v7, v1
	v_mul_f32_e32 v7, v6, v1
	v_fma_f32 v8, -v0, v7, v6
	v_fmac_f32_e32 v7, v8, v1
	v_fma_f32 v0, -v0, v7, v6
	v_div_fmas_f32 v0, v0, v1, v7
	v_div_fixup_f32 v0, v0, v4, v5
	global_store_dword v[2:3], v0, off
.LBB6_6:
	s_endpgm
	.section	.rodata,"a",@progbits
	.p2align	6, 0x0
	.amdhsa_kernel _ZL33flash_attn_stream_k_fixup_uniformILi64ELi8ELi4EEvPfPK15HIP_vector_typeIfLj2EEiiiiiiS1_IjLj3EES5_S5_
		.amdhsa_group_segment_fixed_size 0
		.amdhsa_private_segment_fixed_size 0
		.amdhsa_kernarg_size 76
		.amdhsa_user_sgpr_count 2
		.amdhsa_user_sgpr_dispatch_ptr 0
		.amdhsa_user_sgpr_queue_ptr 0
		.amdhsa_user_sgpr_kernarg_segment_ptr 1
		.amdhsa_user_sgpr_dispatch_id 0
		.amdhsa_user_sgpr_kernarg_preload_length 0
		.amdhsa_user_sgpr_kernarg_preload_offset 0
		.amdhsa_user_sgpr_private_segment_size 0
		.amdhsa_uses_dynamic_stack 0
		.amdhsa_enable_private_segment 0
		.amdhsa_system_sgpr_workgroup_id_x 1
		.amdhsa_system_sgpr_workgroup_id_y 1
		.amdhsa_system_sgpr_workgroup_id_z 1
		.amdhsa_system_sgpr_workgroup_info 0
		.amdhsa_system_vgpr_workitem_id 0
		.amdhsa_next_free_vgpr 17
		.amdhsa_next_free_sgpr 24
		.amdhsa_accum_offset 20
		.amdhsa_reserve_vcc 1
		.amdhsa_float_round_mode_32 0
		.amdhsa_float_round_mode_16_64 0
		.amdhsa_float_denorm_mode_32 3
		.amdhsa_float_denorm_mode_16_64 3
		.amdhsa_dx10_clamp 1
		.amdhsa_ieee_mode 1
		.amdhsa_fp16_overflow 0
		.amdhsa_tg_split 0
		.amdhsa_exception_fp_ieee_invalid_op 0
		.amdhsa_exception_fp_denorm_src 0
		.amdhsa_exception_fp_ieee_div_zero 0
		.amdhsa_exception_fp_ieee_overflow 0
		.amdhsa_exception_fp_ieee_underflow 0
		.amdhsa_exception_fp_ieee_inexact 0
		.amdhsa_exception_int_div_zero 0
	.end_amdhsa_kernel
	.section	.text._ZL33flash_attn_stream_k_fixup_uniformILi64ELi8ELi4EEvPfPK15HIP_vector_typeIfLj2EEiiiiiiS1_IjLj3EES5_S5_,"axG",@progbits,_ZL33flash_attn_stream_k_fixup_uniformILi64ELi8ELi4EEvPfPK15HIP_vector_typeIfLj2EEiiiiiiS1_IjLj3EES5_S5_,comdat
.Lfunc_end6:
	.size	_ZL33flash_attn_stream_k_fixup_uniformILi64ELi8ELi4EEvPfPK15HIP_vector_typeIfLj2EEiiiiiiS1_IjLj3EES5_S5_, .Lfunc_end6-_ZL33flash_attn_stream_k_fixup_uniformILi64ELi8ELi4EEvPfPK15HIP_vector_typeIfLj2EEiiiiiiS1_IjLj3EES5_S5_
                                        ; -- End function
	.set _ZL33flash_attn_stream_k_fixup_uniformILi64ELi8ELi4EEvPfPK15HIP_vector_typeIfLj2EEiiiiiiS1_IjLj3EES5_S5_.num_vgpr, 17
	.set _ZL33flash_attn_stream_k_fixup_uniformILi64ELi8ELi4EEvPfPK15HIP_vector_typeIfLj2EEiiiiiiS1_IjLj3EES5_S5_.num_agpr, 0
	.set _ZL33flash_attn_stream_k_fixup_uniformILi64ELi8ELi4EEvPfPK15HIP_vector_typeIfLj2EEiiiiiiS1_IjLj3EES5_S5_.numbered_sgpr, 24
	.set _ZL33flash_attn_stream_k_fixup_uniformILi64ELi8ELi4EEvPfPK15HIP_vector_typeIfLj2EEiiiiiiS1_IjLj3EES5_S5_.num_named_barrier, 0
	.set _ZL33flash_attn_stream_k_fixup_uniformILi64ELi8ELi4EEvPfPK15HIP_vector_typeIfLj2EEiiiiiiS1_IjLj3EES5_S5_.private_seg_size, 0
	.set _ZL33flash_attn_stream_k_fixup_uniformILi64ELi8ELi4EEvPfPK15HIP_vector_typeIfLj2EEiiiiiiS1_IjLj3EES5_S5_.uses_vcc, 1
	.set _ZL33flash_attn_stream_k_fixup_uniformILi64ELi8ELi4EEvPfPK15HIP_vector_typeIfLj2EEiiiiiiS1_IjLj3EES5_S5_.uses_flat_scratch, 0
	.set _ZL33flash_attn_stream_k_fixup_uniformILi64ELi8ELi4EEvPfPK15HIP_vector_typeIfLj2EEiiiiiiS1_IjLj3EES5_S5_.has_dyn_sized_stack, 0
	.set _ZL33flash_attn_stream_k_fixup_uniformILi64ELi8ELi4EEvPfPK15HIP_vector_typeIfLj2EEiiiiiiS1_IjLj3EES5_S5_.has_recursion, 0
	.set _ZL33flash_attn_stream_k_fixup_uniformILi64ELi8ELi4EEvPfPK15HIP_vector_typeIfLj2EEiiiiiiS1_IjLj3EES5_S5_.has_indirect_call, 0
	.section	.AMDGPU.csdata,"",@progbits
; Kernel info:
; codeLenInByte = 836
; TotalNumSgprs: 30
; NumVgprs: 17
; NumAgprs: 0
; TotalNumVgprs: 17
; ScratchSize: 0
; MemoryBound: 0
; FloatMode: 240
; IeeeMode: 1
; LDSByteSize: 0 bytes/workgroup (compile time only)
; SGPRBlocks: 3
; VGPRBlocks: 2
; NumSGPRsForWavesPerEU: 30
; NumVGPRsForWavesPerEU: 17
; AccumOffset: 20
; Occupancy: 8
; WaveLimiterHint : 0
; COMPUTE_PGM_RSRC2:SCRATCH_EN: 0
; COMPUTE_PGM_RSRC2:USER_SGPR: 2
; COMPUTE_PGM_RSRC2:TRAP_HANDLER: 0
; COMPUTE_PGM_RSRC2:TGID_X_EN: 1
; COMPUTE_PGM_RSRC2:TGID_Y_EN: 1
; COMPUTE_PGM_RSRC2:TGID_Z_EN: 1
; COMPUTE_PGM_RSRC2:TIDIG_COMP_CNT: 0
; COMPUTE_PGM_RSRC3_GFX90A:ACCUM_OFFSET: 4
; COMPUTE_PGM_RSRC3_GFX90A:TG_SPLIT: 0
	.section	.text._ZL33flash_attn_stream_k_fixup_generalILi64ELi8ELi4EEvPfPK15HIP_vector_typeIfLj2EEiiiiS1_IjLj3EES5_S5_S5_,"axG",@progbits,_ZL33flash_attn_stream_k_fixup_generalILi64ELi8ELi4EEvPfPK15HIP_vector_typeIfLj2EEiiiiS1_IjLj3EES5_S5_S5_,comdat
	.globl	_ZL33flash_attn_stream_k_fixup_generalILi64ELi8ELi4EEvPfPK15HIP_vector_typeIfLj2EEiiiiS1_IjLj3EES5_S5_S5_ ; -- Begin function _ZL33flash_attn_stream_k_fixup_generalILi64ELi8ELi4EEvPfPK15HIP_vector_typeIfLj2EEiiiiS1_IjLj3EES5_S5_S5_
	.p2align	8
	.type	_ZL33flash_attn_stream_k_fixup_generalILi64ELi8ELi4EEvPfPK15HIP_vector_typeIfLj2EEiiiiS1_IjLj3EES5_S5_S5_,@function
_ZL33flash_attn_stream_k_fixup_generalILi64ELi8ELi4EEvPfPK15HIP_vector_typeIfLj2EEiiiiS1_IjLj3EES5_S5_S5_: ; @_ZL33flash_attn_stream_k_fixup_generalILi64ELi8ELi4EEvPfPK15HIP_vector_typeIfLj2EEiiiiS1_IjLj3EES5_S5_S5_
; %bb.0:
	s_load_dwordx4 s[8:11], s[0:1], 0x10
	s_load_dword s22, s[0:1], 0x50
	s_mov_b32 s12, 0
	s_waitcnt lgkmcnt(0)
	s_mul_hi_i32 s13, s11, s2
	s_cmp_lg_u64 s[12:13], 0
	s_mul_i32 s5, s11, s2
	s_cbranch_scc0 .LBB7_20
; %bb.1:
	s_add_u32 s6, s22, 0
	s_addc_u32 s7, 0, 0
	s_xor_b64 s[6:7], s[6:7], 0
	v_cvt_f32_u32_e32 v1, s6
	v_cvt_f32_u32_e32 v2, s7
	s_sub_u32 s12, 0, s6
	s_subb_u32 s18, 0, s7
	v_fmamk_f32 v1, v2, 0x4f800000, v1
	v_rcp_f32_e32 v1, v1
	s_nop 0
	v_mul_f32_e32 v1, 0x5f7ffffc, v1
	v_mul_f32_e32 v2, 0x2f800000, v1
	v_trunc_f32_e32 v2, v2
	v_fmamk_f32 v1, v2, 0xcf800000, v1
	v_cvt_u32_f32_e32 v2, v2
	v_cvt_u32_f32_e32 v1, v1
	v_readfirstlane_b32 s19, v2
	v_readfirstlane_b32 s14, v1
	s_mul_i32 s15, s12, s19
	s_mul_hi_u32 s21, s12, s14
	s_mul_i32 s20, s18, s14
	s_add_i32 s15, s21, s15
	s_add_i32 s15, s15, s20
	s_mul_i32 s23, s12, s14
	s_mul_i32 s21, s14, s15
	s_mul_hi_u32 s24, s14, s23
	s_mul_hi_u32 s20, s14, s15
	s_add_u32 s21, s24, s21
	s_addc_u32 s20, 0, s20
	s_mul_hi_u32 s25, s19, s23
	s_mul_i32 s23, s19, s23
	s_add_u32 s21, s21, s23
	s_mul_hi_u32 s24, s19, s15
	s_addc_u32 s20, s20, s25
	s_addc_u32 s21, s24, 0
	s_mul_i32 s15, s19, s15
	s_add_u32 s15, s20, s15
	s_addc_u32 s20, 0, s21
	s_add_u32 s21, s14, s15
	s_cselect_b64 s[14:15], -1, 0
	s_cmp_lg_u64 s[14:15], 0
	s_addc_u32 s19, s19, s20
	s_mul_i32 s14, s12, s19
	s_mul_hi_u32 s15, s12, s21
	s_add_i32 s14, s15, s14
	s_mul_i32 s18, s18, s21
	s_add_i32 s14, s14, s18
	s_mul_i32 s12, s12, s21
	s_mul_hi_u32 s18, s19, s12
	s_mul_i32 s20, s19, s12
	s_mul_i32 s24, s21, s14
	s_mul_hi_u32 s12, s21, s12
	s_mul_hi_u32 s23, s21, s14
	s_add_u32 s12, s12, s24
	s_addc_u32 s23, 0, s23
	s_add_u32 s12, s12, s20
	s_mul_hi_u32 s15, s19, s14
	s_addc_u32 s12, s23, s18
	s_addc_u32 s15, s15, 0
	s_mul_i32 s14, s19, s14
	s_add_u32 s12, s12, s14
	s_addc_u32 s18, 0, s15
	s_add_u32 s20, s21, s12
	s_cselect_b64 s[14:15], -1, 0
	s_cmp_lg_u64 s[14:15], 0
	s_addc_u32 s18, s19, s18
	s_ashr_i32 s14, s13, 31
	s_add_u32 s12, s5, s14
	s_mov_b32 s15, s14
	s_addc_u32 s13, s13, s14
	s_xor_b64 s[12:13], s[12:13], s[14:15]
	s_mul_i32 s21, s12, s18
	s_mul_hi_u32 s23, s12, s20
	s_mul_hi_u32 s19, s12, s18
	s_add_u32 s21, s23, s21
	s_addc_u32 s19, 0, s19
	s_mul_hi_u32 s24, s13, s20
	s_mul_i32 s20, s13, s20
	s_add_u32 s20, s21, s20
	s_mul_hi_u32 s23, s13, s18
	s_addc_u32 s19, s19, s24
	s_addc_u32 s20, s23, 0
	s_mul_i32 s18, s13, s18
	s_add_u32 s23, s19, s18
	s_addc_u32 s24, 0, s20
	s_mul_i32 s18, s6, s24
	s_mul_hi_u32 s19, s6, s23
	s_add_i32 s18, s19, s18
	s_mul_i32 s19, s7, s23
	s_add_i32 s25, s18, s19
	s_sub_i32 s20, s13, s25
	s_mul_i32 s18, s6, s23
	s_sub_u32 s12, s12, s18
	s_cselect_b64 s[18:19], -1, 0
	s_cmp_lg_u64 s[18:19], 0
	s_subb_u32 s26, s20, s7
	s_sub_u32 s27, s12, s6
	s_cselect_b64 s[20:21], -1, 0
	s_cmp_lg_u64 s[20:21], 0
	s_subb_u32 s20, s26, 0
	s_cmp_ge_u32 s20, s7
	s_cselect_b32 s21, -1, 0
	s_cmp_ge_u32 s27, s6
	s_cselect_b32 s26, -1, 0
	s_cmp_eq_u32 s20, s7
	s_cselect_b32 s20, s26, s21
	s_add_u32 s21, s23, 1
	s_addc_u32 s26, s24, 0
	s_add_u32 s27, s23, 2
	s_addc_u32 s28, s24, 0
	s_cmp_lg_u32 s20, 0
	s_cselect_b32 s20, s27, s21
	s_cselect_b32 s21, s28, s26
	s_cmp_lg_u64 s[18:19], 0
	s_subb_u32 s13, s13, s25
	s_cmp_ge_u32 s13, s7
	s_cselect_b32 s18, -1, 0
	s_cmp_ge_u32 s12, s6
	s_cselect_b32 s6, -1, 0
	s_cmp_eq_u32 s13, s7
	s_cselect_b32 s6, s6, s18
	s_cmp_lg_u32 s6, 0
	s_cselect_b32 s7, s21, s24
	s_cselect_b32 s6, s20, s23
	s_xor_b64 s[12:13], s[14:15], 0
	s_xor_b64 s[6:7], s[6:7], s[12:13]
	s_sub_u32 s6, s6, s12
	s_load_dwordx4 s[12:15], s[0:1], 0x44
	s_cbranch_execnz .LBB7_3
.LBB7_2:
	v_cvt_f32_u32_e32 v1, s22
	s_sub_i32 s6, 0, s22
	v_rcp_iflag_f32_e32 v1, v1
	s_nop 0
	v_mul_f32_e32 v1, 0x4f7ffffe, v1
	v_cvt_u32_f32_e32 v1, v1
	s_nop 0
	v_readfirstlane_b32 s7, v1
	s_mul_i32 s6, s6, s7
	s_mul_hi_u32 s6, s7, s6
	s_add_i32 s7, s7, s6
	s_mul_hi_u32 s6, s5, s7
	s_waitcnt lgkmcnt(0)
	s_mul_i32 s15, s6, s22
	s_sub_i32 s5, s5, s15
	s_add_i32 s7, s6, 1
	s_sub_i32 s15, s5, s22
	s_cmp_ge_u32 s5, s22
	s_cselect_b32 s6, s7, s6
	s_cselect_b32 s5, s15, s5
	s_add_i32 s7, s6, 1
	s_cmp_ge_u32 s5, s22
	s_cselect_b32 s6, s7, s6
.LBB7_3:
	s_add_i32 s5, s2, 1
	s_mul_hi_i32 s21, s11, s5
	s_mov_b32 s20, 0
	s_cmp_lg_u64 s[20:21], 0
	s_mul_i32 s5, s11, s5
	s_cbranch_scc0 .LBB7_21
; %bb.4:
	s_add_u32 s16, s22, 0
	s_addc_u32 s17, 0, 0
	s_xor_b64 s[18:19], s[16:17], 0
	v_cvt_f32_u32_e32 v1, s18
	v_cvt_f32_u32_e32 v2, s19
	s_sub_u32 s7, 0, s18
	s_waitcnt lgkmcnt(0)
	s_subb_u32 s15, 0, s19
	v_fmamk_f32 v1, v2, 0x4f800000, v1
	v_rcp_f32_e32 v1, v1
	s_nop 0
	v_mul_f32_e32 v1, 0x5f7ffffc, v1
	v_mul_f32_e32 v2, 0x2f800000, v1
	v_trunc_f32_e32 v2, v2
	v_fmamk_f32 v1, v2, 0xcf800000, v1
	v_cvt_u32_f32_e32 v2, v2
	v_cvt_u32_f32_e32 v1, v1
	v_readfirstlane_b32 s20, v2
	v_readfirstlane_b32 s23, v1
	s_mul_i32 s24, s7, s20
	s_mul_hi_u32 s26, s7, s23
	s_mul_i32 s25, s15, s23
	s_add_i32 s24, s26, s24
	s_add_i32 s24, s24, s25
	s_mul_i32 s27, s7, s23
	s_mul_i32 s26, s23, s24
	s_mul_hi_u32 s28, s23, s27
	s_mul_hi_u32 s25, s23, s24
	s_add_u32 s26, s28, s26
	s_addc_u32 s25, 0, s25
	s_mul_hi_u32 s29, s20, s27
	s_mul_i32 s27, s20, s27
	s_add_u32 s26, s26, s27
	s_mul_hi_u32 s28, s20, s24
	s_addc_u32 s25, s25, s29
	s_addc_u32 s26, s28, 0
	s_mul_i32 s24, s20, s24
	s_add_u32 s24, s25, s24
	s_addc_u32 s26, 0, s26
	s_add_u32 s23, s23, s24
	s_cselect_b64 s[24:25], -1, 0
	s_cmp_lg_u64 s[24:25], 0
	s_addc_u32 s20, s20, s26
	s_mul_i32 s24, s7, s20
	s_mul_hi_u32 s25, s7, s23
	s_add_i32 s24, s25, s24
	s_mul_i32 s15, s15, s23
	s_add_i32 s24, s24, s15
	s_mul_i32 s7, s7, s23
	s_mul_hi_u32 s25, s20, s7
	s_mul_i32 s26, s20, s7
	s_mul_i32 s28, s23, s24
	s_mul_hi_u32 s7, s23, s7
	s_mul_hi_u32 s27, s23, s24
	s_add_u32 s7, s7, s28
	s_addc_u32 s27, 0, s27
	s_add_u32 s7, s7, s26
	s_mul_hi_u32 s15, s20, s24
	s_addc_u32 s7, s27, s25
	s_addc_u32 s15, s15, 0
	s_mul_i32 s24, s20, s24
	s_add_u32 s7, s7, s24
	s_addc_u32 s15, 0, s15
	s_add_u32 s7, s23, s7
	s_cselect_b64 s[24:25], -1, 0
	s_cmp_lg_u64 s[24:25], 0
	s_addc_u32 s15, s20, s15
	s_ashr_i32 s24, s21, 31
	s_add_u32 s20, s5, s24
	s_mov_b32 s25, s24
	s_addc_u32 s21, s21, s24
	s_xor_b64 s[20:21], s[20:21], s[24:25]
	s_mul_i32 s26, s20, s15
	s_mul_hi_u32 s27, s20, s7
	s_mul_hi_u32 s23, s20, s15
	s_add_u32 s26, s27, s26
	s_addc_u32 s23, 0, s23
	s_mul_hi_u32 s28, s21, s7
	s_mul_i32 s7, s21, s7
	s_add_u32 s7, s26, s7
	s_mul_hi_u32 s27, s21, s15
	s_addc_u32 s7, s23, s28
	s_addc_u32 s23, s27, 0
	s_mul_i32 s15, s21, s15
	s_add_u32 s7, s7, s15
	s_addc_u32 s15, 0, s23
	s_mul_i32 s23, s18, s15
	s_mul_hi_u32 s26, s18, s7
	s_add_i32 s23, s26, s23
	s_mul_i32 s26, s19, s7
	s_add_i32 s23, s23, s26
	s_sub_i32 s28, s21, s23
	s_mul_i32 s26, s18, s7
	s_sub_u32 s20, s20, s26
	s_cselect_b64 s[26:27], -1, 0
	s_cmp_lg_u64 s[26:27], 0
	s_subb_u32 s30, s28, s19
	s_sub_u32 s31, s20, s18
	s_cselect_b64 s[28:29], -1, 0
	s_cmp_lg_u64 s[28:29], 0
	s_subb_u32 s28, s30, 0
	s_cmp_ge_u32 s28, s19
	s_cselect_b32 s29, -1, 0
	s_cmp_ge_u32 s31, s18
	s_cselect_b32 s30, -1, 0
	s_cmp_eq_u32 s28, s19
	s_cselect_b32 s28, s30, s29
	s_add_u32 s29, s7, 1
	s_addc_u32 s30, s15, 0
	s_add_u32 s31, s7, 2
	s_addc_u32 s33, s15, 0
	s_cmp_lg_u32 s28, 0
	s_cselect_b32 s28, s31, s29
	s_cselect_b32 s29, s33, s30
	s_cmp_lg_u64 s[26:27], 0
	s_subb_u32 s21, s21, s23
	s_cmp_ge_u32 s21, s19
	s_cselect_b32 s23, -1, 0
	s_cmp_ge_u32 s20, s18
	s_cselect_b32 s18, -1, 0
	s_cmp_eq_u32 s21, s19
	s_cselect_b32 s18, s18, s23
	s_cmp_lg_u32 s18, 0
	s_cselect_b32 s19, s29, s15
	s_cselect_b32 s18, s28, s7
	s_xor_b64 s[20:21], s[24:25], 0
	s_xor_b64 s[18:19], s[18:19], s[20:21]
	s_sub_u32 s18, s18, s20
	s_cbranch_execnz .LBB7_6
.LBB7_5:
	v_cvt_f32_u32_e32 v1, s22
	s_sub_i32 s7, 0, s22
	v_rcp_iflag_f32_e32 v1, v1
	s_nop 0
	v_mul_f32_e32 v1, 0x4f7ffffe, v1
	v_cvt_u32_f32_e32 v1, v1
	s_waitcnt lgkmcnt(0)
	v_readfirstlane_b32 s15, v1
	s_mul_i32 s7, s7, s15
	s_mul_hi_u32 s7, s15, s7
	s_add_i32 s15, s15, s7
	s_mul_hi_u32 s7, s5, s15
	s_mul_i32 s16, s7, s22
	s_sub_i32 s5, s5, s16
	s_add_i32 s15, s7, 1
	s_sub_i32 s16, s5, s22
	s_cmp_ge_u32 s5, s22
	s_cselect_b32 s7, s15, s7
	s_cselect_b32 s5, s16, s5
	s_add_i32 s15, s7, 1
	s_cmp_ge_u32 s5, s22
	s_cselect_b32 s18, s15, s7
.LBB7_6:
	s_cmp_eq_u32 s6, s18
	s_waitcnt lgkmcnt(0)
	s_mul_hi_u32 s5, s6, s12
	s_cselect_b64 s[16:17], -1, 0
	s_add_i32 s5, s5, s6
	s_lshr_b32 s7, s5, s13
	s_mul_i32 s5, s7, s14
	s_cmp_eq_u32 s5, s6
	s_mul_hi_u32 s5, s18, s12
	s_cselect_b64 s[20:21], -1, 0
	s_add_i32 s5, s5, s18
	s_lshr_b32 s5, s5, s13
	s_cmp_eq_u32 s7, s5
	s_mul_i32 s5, s5, s14
	s_cselect_b64 s[24:25], -1, 0
	s_cmp_lg_u32 s5, s18
	s_cselect_b64 s[18:19], -1, 0
	s_and_b64 s[18:19], s[24:25], s[18:19]
	s_or_b64 s[16:17], s[16:17], s[20:21]
	s_or_b64 s[16:17], s[16:17], s[18:19]
	s_and_b64 vcc, exec, s[16:17]
	s_cbranch_vccnz .LBB7_23
; %bb.7:
	s_load_dwordx8 s[24:31], s[0:1], 0x20
	s_load_dword s15, s[0:1], 0x40
	s_waitcnt lgkmcnt(0)
	s_mul_hi_u32 s5, s6, s24
	s_add_i32 s5, s5, s6
	s_lshr_b32 s5, s5, s25
	s_mul_i32 s16, s5, s26
	s_sub_i32 s16, s6, s16
	s_mul_hi_u32 s17, s16, s27
	s_add_i32 s17, s16, s17
	s_lshr_b32 s20, s17, s28
	s_mul_i32 s17, s20, s29
	s_sub_i32 s16, s16, s17
	;; [unrolled: 5-line block ×3, first 2 shown]
	s_mul_hi_u32 s16, s15, s12
	s_add_i32 s15, s15, s16
	s_lshr_b32 s23, s15, s13
	s_lshl_b32 s15, s23, 3
	s_lshl_b32 s21, s17, 2
	s_add_i32 s15, s15, s3
	s_cmp_lt_i32 s15, s8
	s_cselect_b64 s[16:17], -1, 0
	s_add_i32 s15, s21, s4
	s_cmp_lt_i32 s15, s10
	s_cselect_b64 s[18:19], -1, 0
	s_and_b64 s[16:17], s[16:17], s[18:19]
	s_andn2_b64 vcc, exec, s[16:17]
	s_cbranch_vccnz .LBB7_23
; %bb.8:
	s_load_dwordx4 s[16:19], s[0:1], 0x0
	s_mov_b32 s0, 0
	s_lshl_b32 s15, s3, 2
	s_lshl_b32 s24, s22, 7
	s_mov_b32 s25, s0
	s_add_i32 s15, s15, s4
	s_waitcnt lgkmcnt(0)
	v_mov_b32_e32 v2, s16
	v_mov_b32_e32 v3, s17
	s_lshl_b64 s[16:17], s[24:25], 2
	s_add_u32 s16, s18, s16
	s_mul_i32 s1, s5, s8
	s_addc_u32 s17, s19, s17
	s_add_i32 s1, s1, s3
	s_mul_i32 s1, s1, s9
	s_mul_i32 s20, s20, s10
	s_add_i32 s1, s1, s4
	s_add_i32 s1, s1, s20
	s_mul_i32 s5, s9, s23
	s_add_i32 s1, s1, s21
	s_lshl_b32 s5, s5, 9
	s_lshl_b32 s1, s1, 6
	s_add_i32 s5, s5, s1
	v_or_b32_e32 v4, s5, v0
	v_ashrrev_i32_e32 v5, 31, v4
	v_lshl_add_u64 v[2:3], v[4:5], 2, v[2:3]
	global_load_dword v1, v[2:3], off
	v_cvt_f32_u32_e32 v4, s22
	s_lshl_b32 s1, s2, 5
	s_add_i32 s4, s15, s1
	s_ashr_i32 s5, s4, 31
	s_lshl_b64 s[4:5], s[4:5], 3
	v_rcp_iflag_f32_e32 v4, v4
	s_add_u32 s4, s18, s4
	s_addc_u32 s5, s19, s5
	s_load_dwordx2 s[4:5], s[4:5], 0x0
	v_mul_f32_e32 v4, 0x4f7ffffe, v4
	v_cvt_u32_f32_e32 v7, v4
	s_add_i32 s24, s2, -1
	v_lshl_or_b32 v6, s15, 6, v0
	s_waitcnt lgkmcnt(0)
	v_mov_b32_e32 v0, s5
	v_mov_b32_e32 v9, s4
	s_mov_b32 s10, 0x3fb8aa3b
	s_mov_b32 s20, 0xc2ce8ed0
	;; [unrolled: 1-line block ×4, first 2 shown]
	v_mov_b32_e32 v8, 0x7f800000
	s_mul_hi_i32 s1, s24, s11
	s_cmp_lg_u64 s[0:1], 0
	s_mul_i32 s8, s24, s11
	s_cbranch_scc0 .LBB7_19
.LBB7_9:
	s_add_u32 s2, s22, 0
	s_addc_u32 s3, 0, 0
	s_xor_b64 s[2:3], s[2:3], 0
	v_cvt_f32_u32_e32 v4, s2
	v_cvt_f32_u32_e32 v5, s3
	s_sub_u32 s9, 0, s2
	s_subb_u32 s25, 0, s3
	v_fmac_f32_e32 v4, 0x4f800000, v5
	v_rcp_f32_e32 v4, v4
	s_nop 0
	v_mul_f32_e32 v4, 0x5f7ffffc, v4
	v_mul_f32_e32 v5, 0x2f800000, v4
	v_trunc_f32_e32 v5, v5
	v_fmac_f32_e32 v4, 0xcf800000, v5
	v_cvt_u32_f32_e32 v5, v5
	v_cvt_u32_f32_e32 v4, v4
	v_readfirstlane_b32 s26, v5
	v_readfirstlane_b32 s4, v4
	s_mul_i32 s5, s9, s26
	s_mul_hi_u32 s28, s9, s4
	s_mul_i32 s27, s25, s4
	s_add_i32 s5, s28, s5
	s_mul_i32 s29, s9, s4
	s_add_i32 s5, s5, s27
	s_mul_i32 s28, s4, s5
	s_mul_hi_u32 s30, s4, s29
	s_mul_hi_u32 s27, s4, s5
	s_add_u32 s28, s30, s28
	s_addc_u32 s27, 0, s27
	s_mul_hi_u32 s31, s26, s29
	s_mul_i32 s29, s26, s29
	s_add_u32 s28, s28, s29
	s_mul_hi_u32 s30, s26, s5
	s_addc_u32 s27, s27, s31
	s_addc_u32 s28, s30, 0
	s_mul_i32 s5, s26, s5
	s_add_u32 s5, s27, s5
	s_addc_u32 s27, 0, s28
	s_add_u32 s28, s4, s5
	s_cselect_b64 s[4:5], -1, 0
	s_cmp_lg_u64 s[4:5], 0
	s_addc_u32 s26, s26, s27
	s_mul_i32 s4, s9, s26
	s_mul_hi_u32 s5, s9, s28
	s_add_i32 s4, s5, s4
	s_mul_i32 s25, s25, s28
	s_add_i32 s4, s4, s25
	s_mul_i32 s9, s9, s28
	s_mul_hi_u32 s25, s26, s9
	s_mul_i32 s27, s26, s9
	s_mul_i32 s30, s28, s4
	s_mul_hi_u32 s9, s28, s9
	s_mul_hi_u32 s29, s28, s4
	s_add_u32 s9, s9, s30
	s_addc_u32 s29, 0, s29
	s_add_u32 s9, s9, s27
	s_mul_hi_u32 s5, s26, s4
	s_addc_u32 s9, s29, s25
	s_addc_u32 s5, s5, 0
	s_mul_i32 s4, s26, s4
	s_add_u32 s4, s9, s4
	s_addc_u32 s9, 0, s5
	s_add_u32 s25, s28, s4
	s_cselect_b64 s[4:5], -1, 0
	s_cmp_lg_u64 s[4:5], 0
	s_addc_u32 s9, s26, s9
	s_ashr_i32 s4, s1, 31
	s_add_u32 s26, s8, s4
	s_mov_b32 s5, s4
	s_addc_u32 s27, s1, s4
	s_xor_b64 s[26:27], s[26:27], s[4:5]
	s_mul_i32 s28, s26, s9
	s_mul_hi_u32 s29, s26, s25
	s_mul_hi_u32 s1, s26, s9
	s_add_u32 s28, s29, s28
	s_addc_u32 s1, 0, s1
	s_mul_hi_u32 s30, s27, s25
	s_mul_i32 s25, s27, s25
	s_add_u32 s25, s28, s25
	s_mul_hi_u32 s29, s27, s9
	s_addc_u32 s1, s1, s30
	s_addc_u32 s25, s29, 0
	s_mul_i32 s9, s27, s9
	s_add_u32 s1, s1, s9
	s_addc_u32 s9, 0, s25
	s_mul_i32 s25, s2, s9
	s_mul_hi_u32 s28, s2, s1
	s_add_i32 s25, s28, s25
	s_mul_i32 s28, s3, s1
	s_add_i32 s25, s25, s28
	s_sub_i32 s30, s27, s25
	s_mul_i32 s28, s2, s1
	s_sub_u32 s26, s26, s28
	s_cselect_b64 s[28:29], -1, 0
	s_cmp_lg_u64 s[28:29], 0
	s_subb_u32 s33, s30, s3
	s_sub_u32 s34, s26, s2
	s_cselect_b64 s[30:31], -1, 0
	s_cmp_lg_u64 s[30:31], 0
	s_subb_u32 s30, s33, 0
	s_cmp_ge_u32 s30, s3
	s_cselect_b32 s31, -1, 0
	s_cmp_ge_u32 s34, s2
	s_cselect_b32 s33, -1, 0
	s_cmp_eq_u32 s30, s3
	s_cselect_b32 s30, s33, s31
	s_add_u32 s31, s1, 1
	s_addc_u32 s33, s9, 0
	s_add_u32 s34, s1, 2
	s_addc_u32 s35, s9, 0
	s_cmp_lg_u32 s30, 0
	s_cselect_b32 s30, s34, s31
	s_cselect_b32 s31, s35, s33
	s_cmp_lg_u64 s[28:29], 0
	s_subb_u32 s25, s27, s25
	s_cmp_ge_u32 s25, s3
	s_cselect_b32 s27, -1, 0
	s_cmp_ge_u32 s26, s2
	s_cselect_b32 s2, -1, 0
	s_cmp_eq_u32 s25, s3
	s_cselect_b32 s2, s2, s27
	s_cmp_lg_u32 s2, 0
	s_cselect_b32 s3, s31, s9
	s_cselect_b32 s2, s30, s1
	s_xor_b64 s[4:5], s[4:5], 0
	s_xor_b64 s[2:3], s[2:3], s[4:5]
	s_sub_u32 s4, s2, s4
	s_cbranch_execnz .LBB7_11
.LBB7_10:
	s_sub_i32 s1, 0, s22
	v_readfirstlane_b32 s2, v7
	s_mul_i32 s1, s1, s2
	s_mul_hi_u32 s1, s2, s1
	s_add_i32 s2, s2, s1
	s_mul_hi_u32 s1, s8, s2
	s_mul_i32 s3, s1, s22
	s_sub_i32 s3, s8, s3
	s_add_i32 s2, s1, 1
	s_sub_i32 s4, s3, s22
	s_cmp_ge_u32 s3, s22
	s_cselect_b32 s1, s2, s1
	s_cselect_b32 s3, s4, s3
	s_add_i32 s2, s1, 1
	s_cmp_ge_u32 s3, s22
	s_cselect_b32 s4, s2, s1
.LBB7_11:
	s_cmp_lg_u32 s6, s4
	s_cbranch_scc0 .LBB7_15
; %bb.12:
	s_add_i32 s1, s24, s22
	s_lshl_b32 s1, s1, 5
	s_add_i32 s2, s1, s15
	s_mov_b32 s3, s0
	s_lshl_b64 s[2:3], s[2:3], 3
	s_add_u32 s8, s18, s2
	s_mul_hi_u32 s1, s4, s12
	s_addc_u32 s9, s19, s3
	s_add_i32 s1, s1, s4
	s_lshr_b32 s1, s1, s13
	s_mul_i32 s2, s1, s14
	s_cmp_eq_u32 s2, s4
	s_cselect_b64 s[2:3], -1, 0
	s_cmp_lt_u32 s1, s7
	s_cselect_b64 s[26:27], -1, 0
	s_or_b64 s[26:27], s[26:27], s[2:3]
	s_mov_b64 s[2:3], -1
	s_and_b64 vcc, exec, s[26:27]
	s_mov_b32 s1, s24
	s_mov_b32 s25, s6
	s_cbranch_vccnz .LBB7_14
; %bb.13:
	s_add_i32 s1, s24, -1
	s_mov_b64 s[2:3], 0
	s_mov_b32 s25, s4
.LBB7_14:
	v_lshl_add_u32 v4, s24, 11, v6
	v_ashrrev_i32_e32 v5, 31, v4
	v_lshl_add_u64 v[4:5], v[4:5], 2, s[16:17]
	global_load_dword v5, v[4:5], off
	s_load_dwordx2 s[4:5], s[8:9], 0x0
	v_max_f32_e32 v4, v9, v9
	s_waitcnt lgkmcnt(0)
	v_max_f32_e64 v10, s4, s4
	v_max_f32_e32 v10, v4, v10
	v_sub_f32_e32 v11, v9, v10
	v_sub_f32_e32 v13, s4, v10
	v_mul_f32_e32 v4, 0x3fb8aa3b, v11
	v_mul_f32_e32 v12, 0x3fb8aa3b, v13
	v_fma_f32 v14, v11, s10, -v4
	v_rndne_f32_e32 v15, v4
	v_fma_f32 v16, v13, s10, -v12
	v_rndne_f32_e32 v17, v12
	v_fmac_f32_e32 v14, 0x32a5705f, v11
	v_sub_f32_e32 v4, v4, v15
	v_fmac_f32_e32 v16, 0x32a5705f, v13
	v_sub_f32_e32 v12, v12, v17
	v_add_f32_e32 v4, v4, v14
	v_cvt_i32_f32_e32 v15, v15
	v_add_f32_e32 v12, v12, v16
	v_exp_f32_e32 v14, v4
	v_cvt_i32_f32_e32 v17, v17
	v_exp_f32_e32 v12, v12
	v_cmp_ngt_f32_e32 vcc, s20, v11
	v_ldexp_f32 v14, v14, v15
	v_mov_b32_e32 v4, s5
	v_ldexp_f32 v12, v12, v17
	v_cndmask_b32_e32 v14, 0, v14, vcc
	v_cmp_ngt_f32_e32 vcc, s20, v13
	s_nop 1
	v_cndmask_b32_e32 v12, 0, v12, vcc
	v_cmp_nlt_f32_e32 vcc, s21, v11
	s_nop 1
	v_cndmask_b32_e32 v14, v8, v14, vcc
	v_cmp_nlt_f32_e32 vcc, s21, v13
	s_nop 1
	v_cndmask_b32_e32 v15, v8, v12, vcc
	v_cmp_le_f32_e32 vcc, s23, v11
	s_nop 1
	v_cndmask_b32_e32 v12, 0, v14, vcc
	v_cmp_le_f32_e32 vcc, s23, v13
	s_nop 1
	v_cndmask_b32_e32 v14, 0, v15, vcc
	s_waitcnt vmcnt(0)
	v_pk_mul_f32 v[4:5], v[4:5], v[14:15] op_sel_hi:[1,0]
	s_nop 0
	v_pk_fma_f32 v[4:5], v[0:1], v[12:13], v[4:5] op_sel_hi:[1,0,1]
	s_cbranch_execz .LBB7_16
	s_branch .LBB7_17
.LBB7_15:
                                        ; implicit-def: $vgpr4_vgpr5
                                        ; implicit-def: $sgpr2_sgpr3
                                        ; implicit-def: $vgpr10
                                        ; implicit-def: $sgpr1
                                        ; implicit-def: $sgpr25
.LBB7_16:
	s_add_i32 s1, s24, -1
	s_mov_b64 s[2:3], 0
	s_mov_b32 s25, s6
	v_mov_b32_e32 v10, v9
	s_waitcnt vmcnt(0)
	v_mov_b64_e32 v[4:5], v[0:1]
.LBB7_17:
	s_andn2_b64 vcc, exec, s[2:3]
	s_cbranch_vccz .LBB7_22
; %bb.18:
	s_mov_b32 s6, s25
	s_mov_b32 s24, s1
	v_mov_b32_e32 v9, v10
	s_waitcnt vmcnt(0)
	v_mov_b64_e32 v[0:1], v[4:5]
	s_mul_hi_i32 s1, s24, s11
	s_cmp_lg_u64 s[0:1], 0
	s_mul_i32 s8, s24, s11
	s_cbranch_scc1 .LBB7_9
.LBB7_19:
                                        ; implicit-def: $sgpr4_sgpr5
	s_branch .LBB7_10
.LBB7_20:
                                        ; implicit-def: $sgpr6_sgpr7
	s_load_dwordx4 s[12:15], s[0:1], 0x44
	s_branch .LBB7_2
.LBB7_21:
                                        ; implicit-def: $sgpr18_sgpr19
	s_branch .LBB7_5
.LBB7_22:
	v_div_scale_f32 v0, s[0:1], v4, v4, v5
	s_waitcnt vmcnt(0)
	v_rcp_f32_e32 v1, v0
	v_div_scale_f32 v6, vcc, v5, v4, v5
	v_fma_f32 v7, -v0, v1, 1.0
	v_fmac_f32_e32 v1, v7, v1
	v_mul_f32_e32 v7, v6, v1
	v_fma_f32 v8, -v0, v7, v6
	v_fmac_f32_e32 v7, v8, v1
	v_fma_f32 v0, -v0, v7, v6
	v_div_fmas_f32 v0, v0, v1, v7
	v_div_fixup_f32 v0, v0, v4, v5
	global_store_dword v[2:3], v0, off
.LBB7_23:
	s_endpgm
	.section	.rodata,"a",@progbits
	.p2align	6, 0x0
	.amdhsa_kernel _ZL33flash_attn_stream_k_fixup_generalILi64ELi8ELi4EEvPfPK15HIP_vector_typeIfLj2EEiiiiS1_IjLj3EES5_S5_S5_
		.amdhsa_group_segment_fixed_size 0
		.amdhsa_private_segment_fixed_size 0
		.amdhsa_kernarg_size 336
		.amdhsa_user_sgpr_count 2
		.amdhsa_user_sgpr_dispatch_ptr 0
		.amdhsa_user_sgpr_queue_ptr 0
		.amdhsa_user_sgpr_kernarg_segment_ptr 1
		.amdhsa_user_sgpr_dispatch_id 0
		.amdhsa_user_sgpr_kernarg_preload_length 0
		.amdhsa_user_sgpr_kernarg_preload_offset 0
		.amdhsa_user_sgpr_private_segment_size 0
		.amdhsa_uses_dynamic_stack 0
		.amdhsa_enable_private_segment 0
		.amdhsa_system_sgpr_workgroup_id_x 1
		.amdhsa_system_sgpr_workgroup_id_y 1
		.amdhsa_system_sgpr_workgroup_id_z 1
		.amdhsa_system_sgpr_workgroup_info 0
		.amdhsa_system_vgpr_workitem_id 0
		.amdhsa_next_free_vgpr 18
		.amdhsa_next_free_sgpr 36
		.amdhsa_accum_offset 20
		.amdhsa_reserve_vcc 1
		.amdhsa_float_round_mode_32 0
		.amdhsa_float_round_mode_16_64 0
		.amdhsa_float_denorm_mode_32 3
		.amdhsa_float_denorm_mode_16_64 3
		.amdhsa_dx10_clamp 1
		.amdhsa_ieee_mode 1
		.amdhsa_fp16_overflow 0
		.amdhsa_tg_split 0
		.amdhsa_exception_fp_ieee_invalid_op 0
		.amdhsa_exception_fp_denorm_src 0
		.amdhsa_exception_fp_ieee_div_zero 0
		.amdhsa_exception_fp_ieee_overflow 0
		.amdhsa_exception_fp_ieee_underflow 0
		.amdhsa_exception_fp_ieee_inexact 0
		.amdhsa_exception_int_div_zero 0
	.end_amdhsa_kernel
	.section	.text._ZL33flash_attn_stream_k_fixup_generalILi64ELi8ELi4EEvPfPK15HIP_vector_typeIfLj2EEiiiiS1_IjLj3EES5_S5_S5_,"axG",@progbits,_ZL33flash_attn_stream_k_fixup_generalILi64ELi8ELi4EEvPfPK15HIP_vector_typeIfLj2EEiiiiS1_IjLj3EES5_S5_S5_,comdat
.Lfunc_end7:
	.size	_ZL33flash_attn_stream_k_fixup_generalILi64ELi8ELi4EEvPfPK15HIP_vector_typeIfLj2EEiiiiS1_IjLj3EES5_S5_S5_, .Lfunc_end7-_ZL33flash_attn_stream_k_fixup_generalILi64ELi8ELi4EEvPfPK15HIP_vector_typeIfLj2EEiiiiS1_IjLj3EES5_S5_S5_
                                        ; -- End function
	.set _ZL33flash_attn_stream_k_fixup_generalILi64ELi8ELi4EEvPfPK15HIP_vector_typeIfLj2EEiiiiS1_IjLj3EES5_S5_S5_.num_vgpr, 18
	.set _ZL33flash_attn_stream_k_fixup_generalILi64ELi8ELi4EEvPfPK15HIP_vector_typeIfLj2EEiiiiS1_IjLj3EES5_S5_S5_.num_agpr, 0
	.set _ZL33flash_attn_stream_k_fixup_generalILi64ELi8ELi4EEvPfPK15HIP_vector_typeIfLj2EEiiiiS1_IjLj3EES5_S5_S5_.numbered_sgpr, 36
	.set _ZL33flash_attn_stream_k_fixup_generalILi64ELi8ELi4EEvPfPK15HIP_vector_typeIfLj2EEiiiiS1_IjLj3EES5_S5_S5_.num_named_barrier, 0
	.set _ZL33flash_attn_stream_k_fixup_generalILi64ELi8ELi4EEvPfPK15HIP_vector_typeIfLj2EEiiiiS1_IjLj3EES5_S5_S5_.private_seg_size, 0
	.set _ZL33flash_attn_stream_k_fixup_generalILi64ELi8ELi4EEvPfPK15HIP_vector_typeIfLj2EEiiiiS1_IjLj3EES5_S5_S5_.uses_vcc, 1
	.set _ZL33flash_attn_stream_k_fixup_generalILi64ELi8ELi4EEvPfPK15HIP_vector_typeIfLj2EEiiiiS1_IjLj3EES5_S5_S5_.uses_flat_scratch, 0
	.set _ZL33flash_attn_stream_k_fixup_generalILi64ELi8ELi4EEvPfPK15HIP_vector_typeIfLj2EEiiiiS1_IjLj3EES5_S5_S5_.has_dyn_sized_stack, 0
	.set _ZL33flash_attn_stream_k_fixup_generalILi64ELi8ELi4EEvPfPK15HIP_vector_typeIfLj2EEiiiiS1_IjLj3EES5_S5_S5_.has_recursion, 0
	.set _ZL33flash_attn_stream_k_fixup_generalILi64ELi8ELi4EEvPfPK15HIP_vector_typeIfLj2EEiiiiS1_IjLj3EES5_S5_S5_.has_indirect_call, 0
	.section	.AMDGPU.csdata,"",@progbits
; Kernel info:
; codeLenInByte = 2940
; TotalNumSgprs: 42
; NumVgprs: 18
; NumAgprs: 0
; TotalNumVgprs: 18
; ScratchSize: 0
; MemoryBound: 0
; FloatMode: 240
; IeeeMode: 1
; LDSByteSize: 0 bytes/workgroup (compile time only)
; SGPRBlocks: 5
; VGPRBlocks: 2
; NumSGPRsForWavesPerEU: 42
; NumVGPRsForWavesPerEU: 18
; AccumOffset: 20
; Occupancy: 8
; WaveLimiterHint : 0
; COMPUTE_PGM_RSRC2:SCRATCH_EN: 0
; COMPUTE_PGM_RSRC2:USER_SGPR: 2
; COMPUTE_PGM_RSRC2:TRAP_HANDLER: 0
; COMPUTE_PGM_RSRC2:TGID_X_EN: 1
; COMPUTE_PGM_RSRC2:TGID_Y_EN: 1
; COMPUTE_PGM_RSRC2:TGID_Z_EN: 1
; COMPUTE_PGM_RSRC2:TIDIG_COMP_CNT: 0
; COMPUTE_PGM_RSRC3_GFX90A:ACCUM_OFFSET: 4
; COMPUTE_PGM_RSRC3_GFX90A:TG_SPLIT: 0
	.section	.text._ZL26flash_attn_combine_resultsILi64EEvPKfPK15HIP_vector_typeIfLj2EEPfi,"axG",@progbits,_ZL26flash_attn_combine_resultsILi64EEvPKfPK15HIP_vector_typeIfLj2EEPfi,comdat
	.globl	_ZL26flash_attn_combine_resultsILi64EEvPKfPK15HIP_vector_typeIfLj2EEPfi ; -- Begin function _ZL26flash_attn_combine_resultsILi64EEvPKfPK15HIP_vector_typeIfLj2EEPfi
	.p2align	8
	.type	_ZL26flash_attn_combine_resultsILi64EEvPKfPK15HIP_vector_typeIfLj2EEPfi,@function
_ZL26flash_attn_combine_resultsILi64EEvPKfPK15HIP_vector_typeIfLj2EEPfi: ; @_ZL26flash_attn_combine_resultsILi64EEvPKfPK15HIP_vector_typeIfLj2EEPfi
; %bb.0:
	s_load_dwordx2 s[6:7], s[0:1], 0x20
	s_load_dword s19, s[0:1], 0x18
	s_load_dwordx4 s[8:11], s[0:1], 0x0
	s_load_dwordx2 s[14:15], s[0:1], 0x10
	s_waitcnt lgkmcnt(0)
	s_mul_i32 s0, s6, s4
	s_add_i32 s0, s0, s2
	s_mul_i32 s18, s0, s7
	s_add_i32 s18, s18, s3
	s_lshl_b32 s20, s19, 1
	s_mul_i32 s2, s18, s19
	v_cmp_gt_i32_e32 vcc, s20, v0
	s_and_saveexec_b64 s[0:1], vcc
	s_cbranch_execz .LBB8_13
; %bb.1:
	v_xad_u32 v1, v0, -1, s20
	s_ashr_i32 s3, s2, 31
	v_cmp_lt_u32_e32 vcc, 63, v1
	s_mov_b64 s[6:7], -1
	v_mov_b32_e32 v2, v0
	s_and_saveexec_b64 s[4:5], vcc
	s_cbranch_execz .LBB8_10
; %bb.2:
	v_lshrrev_b32_e32 v6, 6, v1
	s_lshl_b64 s[6:7], s[2:3], 3
	v_add_u32_e32 v2, -1, v6
	s_add_u32 s6, s10, s6
	v_or_b32_e32 v1, 64, v0
	v_lshrrev_b32_e32 v3, 1, v2
	s_addc_u32 s7, s11, s7
	s_mov_b32 s21, 0
	v_add_u32_e32 v7, 1, v3
	v_cmp_lt_u32_e32 vcc, 13, v2
	v_mov_b32_e32 v4, 0
	v_mov_b64_e32 v[2:3], v[0:1]
	s_and_saveexec_b64 s[12:13], vcc
	s_cbranch_execz .LBB8_6
; %bb.3:
	v_and_b32_e32 v8, -8, v7
	v_lshl_add_u32 v9, v0, 2, 0
	s_mov_b64 s[16:17], 0
	v_mov_b32_e32 v5, 0
	v_mov_b64_e32 v[2:3], v[0:1]
.LBB8_4:                                ; =>This Inner Loop Header: Depth=1
	v_mov_b32_e32 v4, v2
	v_lshl_add_u64 v[24:25], v[4:5], 2, s[6:7]
	v_mov_b32_e32 v4, v3
	v_add_u32_e32 v10, 0x80, v3
	v_mov_b32_e32 v11, v5
	v_lshl_add_u64 v[26:27], v[4:5], 2, s[6:7]
	v_add_u32_e32 v4, 0x80, v2
	v_lshl_add_u64 v[10:11], v[10:11], 2, s[6:7]
	global_load_dword v1, v[24:25], off
	v_lshl_add_u64 v[24:25], v[4:5], 2, s[6:7]
	v_add_u32_e32 v4, 0x100, v2
	global_load_dword v28, v[26:27], off
	global_load_dword v29, v[24:25], off
	;; [unrolled: 1-line block ×3, first 2 shown]
	v_lshl_add_u64 v[10:11], v[4:5], 2, s[6:7]
	v_add_u32_e32 v4, 0x180, v2
	v_add_u32_e32 v12, 0x100, v3
	v_mov_b32_e32 v13, v5
	v_add_u32_e32 v14, 0x180, v3
	v_mov_b32_e32 v15, v5
	v_lshl_add_u64 v[24:25], v[4:5], 2, s[6:7]
	v_add_u32_e32 v4, 0x200, v2
	v_lshl_add_u64 v[12:13], v[12:13], 2, s[6:7]
	v_lshl_add_u64 v[14:15], v[14:15], 2, s[6:7]
	global_load_dword v26, v[10:11], off
	global_load_dword v27, v[12:13], off
	;; [unrolled: 1-line block ×4, first 2 shown]
	v_lshl_add_u64 v[10:11], v[4:5], 2, s[6:7]
	v_add_u32_e32 v4, 0x280, v2
	v_add_u32_e32 v16, 0x200, v3
	v_mov_b32_e32 v17, v5
	v_add_u32_e32 v18, 0x280, v3
	v_mov_b32_e32 v19, v5
	v_lshl_add_u64 v[12:13], v[4:5], 2, s[6:7]
	v_add_u32_e32 v4, 0x300, v2
	v_add_u32_e32 v20, 0x300, v3
	v_mov_b32_e32 v21, v5
	v_add_u32_e32 v22, 0x380, v3
	v_mov_b32_e32 v23, v5
	v_lshl_add_u64 v[16:17], v[16:17], 2, s[6:7]
	v_lshl_add_u64 v[18:19], v[18:19], 2, s[6:7]
	global_load_dword v14, v[10:11], off
	global_load_dword v15, v[16:17], off
	;; [unrolled: 1-line block ×4, first 2 shown]
	v_lshl_add_u64 v[10:11], v[4:5], 2, s[6:7]
	v_add_u32_e32 v4, 0x380, v2
	v_lshl_add_u64 v[20:21], v[20:21], 2, s[6:7]
	v_lshl_add_u64 v[22:23], v[22:23], 2, s[6:7]
	;; [unrolled: 1-line block ×3, first 2 shown]
	global_load_dword v16, v[10:11], off
	global_load_dword v17, v[20:21], off
	;; [unrolled: 1-line block ×4, first 2 shown]
	v_add_u32_e32 v8, -8, v8
	s_add_i32 s21, s21, 16
	v_cmp_eq_u32_e32 vcc, 0, v8
	v_add_u32_e32 v3, 0x400, v3
	v_mov_b32_e32 v4, s21
	s_or_b64 s[16:17], vcc, s[16:17]
	v_add_u32_e32 v2, 0x400, v2
	s_waitcnt vmcnt(14)
	ds_write2st64_b32 v9, v1, v28 offset1:1
	s_waitcnt vmcnt(12)
	ds_write2st64_b32 v9, v29, v30 offset0:2 offset1:3
	s_waitcnt vmcnt(10)
	ds_write2st64_b32 v9, v26, v27 offset0:4 offset1:5
	;; [unrolled: 2-line block ×7, first 2 shown]
	v_add_u32_e32 v9, 0x1000, v9
	s_andn2_b64 exec, exec, s[16:17]
	s_cbranch_execnz .LBB8_4
; %bb.5:
	s_or_b64 exec, exec, s[16:17]
.LBB8_6:
	s_or_b64 exec, exec, s[12:13]
	v_and_b32_e32 v1, 7, v7
	v_cmp_ne_u32_e32 vcc, 0, v1
	s_and_saveexec_b64 s[12:13], vcc
	s_cbranch_execz .LBB8_9
; %bb.7:
	v_lshlrev_b32_e32 v5, 2, v0
	v_lshl_or_b32 v4, v4, 8, v5
	v_add_u32_e32 v7, 0, v4
	s_mov_b64 s[16:17], 0
	v_mov_b32_e32 v5, 0
.LBB8_8:                                ; =>This Inner Loop Header: Depth=1
	v_mov_b32_e32 v4, v2
	v_lshl_add_u64 v[8:9], v[4:5], 2, s[6:7]
	v_mov_b32_e32 v4, v3
	v_lshl_add_u64 v[10:11], v[4:5], 2, s[6:7]
	global_load_dword v4, v[8:9], off
	global_load_dword v12, v[10:11], off
	v_add_u32_e32 v1, -1, v1
	v_cmp_eq_u32_e32 vcc, 0, v1
	v_add_u32_e32 v2, 0x80, v2
	v_add_u32_e32 v3, 0x80, v3
	s_or_b64 s[16:17], vcc, s[16:17]
	s_waitcnt vmcnt(0)
	ds_write2st64_b32 v7, v4, v12 offset1:1
	v_add_u32_e32 v7, 0x200, v7
	s_andn2_b64 exec, exec, s[16:17]
	s_cbranch_execnz .LBB8_8
.LBB8_9:
	s_or_b64 exec, exec, s[12:13]
	v_add_u32_e32 v1, 1, v6
	v_and_b32_e32 v3, 0x7fffffe, v1
	v_cmp_ne_u32_e32 vcc, v1, v3
	v_lshl_or_b32 v2, v3, 6, v0
	s_orn2_b64 s[6:7], vcc, exec
.LBB8_10:
	s_or_b64 exec, exec, s[4:5]
	s_and_b64 exec, exec, s[6:7]
	s_cbranch_execz .LBB8_13
; %bb.11:
	s_lshl_b64 s[4:5], s[2:3], 3
	s_add_u32 s4, s10, s4
	v_mov_b32_e32 v3, 0
	s_addc_u32 s5, s11, s5
	v_lshl_add_u64 v[4:5], v[2:3], 2, s[4:5]
	v_lshl_add_u32 v1, v2, 2, 0
	s_mov_b64 s[4:5], 0
	s_mov_b64 s[6:7], 0x100
.LBB8_12:                               ; =>This Inner Loop Header: Depth=1
	global_load_dword v3, v[4:5], off
	v_add_u32_e32 v2, 64, v2
	v_cmp_le_i32_e32 vcc, s20, v2
	v_lshl_add_u64 v[4:5], v[4:5], 0, s[6:7]
	s_or_b64 s[4:5], vcc, s[4:5]
	s_waitcnt vmcnt(0)
	ds_write_b32 v1, v3
	v_add_u32_e32 v1, 0x100, v1
	s_andn2_b64 exec, exec, s[4:5]
	s_cbranch_execnz .LBB8_12
.LBB8_13:
	s_or_b64 exec, exec, s[0:1]
	v_mov_b32_e32 v1, 0
	s_waitcnt lgkmcnt(0)
	; wave barrier
	ds_read_b32 v1, v1
	s_cmp_lt_i32 s19, 2
	s_cbranch_scc1 .LBB8_21
; %bb.14:
	s_cmp_eq_u32 s19, 2
	s_cbranch_scc1 .LBB8_18
; %bb.15:
	s_add_i32 s3, s19, -1
	s_and_b32 s4, s3, -2
	s_add_i32 s6, 0, 8
	s_mov_b32 s5, 2
	s_waitcnt lgkmcnt(0)
	v_mov_b32_e32 v4, v1
.LBB8_16:                               ; =>This Inner Loop Header: Depth=1
	v_mov_b32_e32 v2, v1
	v_mov_b32_e32 v1, s6
	;; [unrolled: 1-line block ×3, first 2 shown]
	ds_read2_b32 v[4:5], v1 offset1:2
	s_cmp_lg_u32 s4, s5
	s_cselect_b64 s[10:11], -1, 0
	v_max_f32_e32 v1, v3, v3
	v_max_f32_e32 v6, v2, v2
	s_waitcnt lgkmcnt(0)
	v_cmp_u_f32_e32 vcc, v5, v5
	v_max_f32_e32 v7, v5, v5
	v_max_f32_e32 v8, v4, v4
	v_cndmask_b32_e64 v5, 0, 1, vcc
	v_cmp_u_f32_e32 vcc, v4, v4
	v_readfirstlane_b32 s0, v5
	s_lshl_b32 s0, s0, 1
	v_cndmask_b32_e64 v9, 0, 1, vcc
	v_max_f32_e32 v4, v1, v7
	v_readfirstlane_b32 s1, v9
	s_or_b32 s0, s1, s0
	s_and_b32 s7, s0, 3
	s_cmp_lg_u32 s7, 0
	s_cselect_b64 s[0:1], -1, 0
	s_cmp_eq_u32 s7, 0
	s_cselect_b64 s[12:13], -1, 0
	s_and_b64 s[10:11], s[12:13], s[10:11]
	v_max_f32_e32 v1, v6, v8
	s_add_i32 s5, s5, 2
	s_add_i32 s6, s6, 16
	s_and_b64 vcc, exec, s[10:11]
	s_cbranch_vccnz .LBB8_16
; %bb.17:
	s_add_i32 s5, s5, -4
	s_and_b64 s[6:7], s[0:1], exec
	s_cselect_b32 s5, s5, s3
	s_or_b32 s5, s5, 1
	v_cndmask_b32_e64 v1, v1, v2, s[0:1]
	v_cndmask_b32_e64 v2, v4, v3, s[0:1]
	s_cmp_lg_u32 s3, s4
	v_max_f32_e32 v2, v2, v2
	v_max_f32_e32 v1, v1, v1
	s_cselect_b64 s[6:7], -1, 0
	v_max_f32_e32 v1, v1, v2
	s_or_b64 s[0:1], s[6:7], s[0:1]
	s_and_b64 vcc, exec, s[0:1]
	s_cbranch_vccnz .LBB8_19
	s_branch .LBB8_21
.LBB8_18:
	s_mov_b32 s5, 1
	s_cbranch_execz .LBB8_21
.LBB8_19:
	s_lshl_b32 s1, s5, 3
	s_sub_i32 s0, s19, s5
	s_add_i32 s1, s1, 0
.LBB8_20:                               ; =>This Inner Loop Header: Depth=1
	v_mov_b32_e32 v2, s1
	ds_read_b32 v2, v2
	s_waitcnt lgkmcnt(1)
	v_max_f32_e32 v1, v1, v1
	s_add_i32 s0, s0, -1
	s_add_i32 s1, s1, 8
	s_cmp_eq_u32 s0, 0
	s_waitcnt lgkmcnt(0)
	v_max_f32_e32 v2, v2, v2
	v_max_f32_e32 v1, v1, v2
	s_cbranch_scc0 .LBB8_20
.LBB8_21:
	s_cmp_lt_i32 s19, 1
	s_cbranch_scc1 .LBB8_26
; %bb.22:
	s_lshl_b32 s0, s2, 6
	s_ashr_i32 s1, s0, 31
	s_lshl_b64 s[0:1], s[0:1], 2
	s_add_u32 s16, s8, s0
	s_addc_u32 s17, s9, s1
	s_cmp_lt_u32 s19, 8
	s_cbranch_scc1 .LBB8_27
; %bb.23:
	v_mov_b32_e32 v7, 0
	s_and_b32 s20, s19, 0x7ffffff8
	v_or_b32_e32 v4, 0x1c0, v0
	s_mov_b32 s21, 0
	s_mov_b32 s22, 0x3fb8aa3b
	;; [unrolled: 1-line block ×4, first 2 shown]
	v_mov_b32_e32 v8, 0x7f800000
	s_mov_b32 s25, 0
	v_mov_b32_e32 v2, v7
	v_mov_b32_e32 v3, v7
.LBB8_24:                               ; =>This Inner Loop Header: Depth=1
	v_add_u32_e32 v6, 0xfffffe40, v4
	v_lshl_add_u64 v[26:27], v[6:7], 2, s[16:17]
	v_add_u32_e32 v6, 0xfffffe80, v4
	v_mov_b32_e32 v9, s21
	v_lshl_add_u64 v[30:31], v[6:7], 2, s[16:17]
	v_add_u32_e32 v6, 0xfffffec0, v4
	ds_read2_b64 v[10:13], v9 offset1:1
	ds_read2_b64 v[14:17], v9 offset0:2 offset1:3
	ds_read2_b64 v[18:21], v9 offset0:4 offset1:5
	;; [unrolled: 1-line block ×3, first 2 shown]
	global_load_dword v33, v[26:27], off
	global_load_dword v35, v[30:31], off
	v_lshl_add_u64 v[26:27], v[6:7], 2, s[16:17]
	v_add_u32_e32 v6, 0xffffff00, v4
	v_lshl_add_u64 v[30:31], v[6:7], 2, s[16:17]
	v_add_u32_e32 v6, 0xffffff40, v4
	global_load_dword v37, v[26:27], off
	global_load_dword v39, v[30:31], off
	v_lshl_add_u64 v[26:27], v[6:7], 2, s[16:17]
	v_add_u32_e32 v6, 0xffffff80, v4
	s_waitcnt lgkmcnt(3)
	v_mov_b32_e32 v32, v11
	v_sub_f32_e32 v9, v12, v1
	v_mov_b32_e32 v34, v13
	global_load_dword v11, v[26:27], off
	v_lshl_add_u64 v[12:13], v[6:7], 2, s[16:17]
	s_waitcnt lgkmcnt(2)
	v_mov_b32_e32 v36, v15
	v_subrev_u32_e32 v6, 64, v4
	global_load_dword v15, v[12:13], off
	v_mov_b32_e32 v5, v7
	v_lshl_add_u64 v[12:13], v[6:7], 2, s[16:17]
	v_lshl_add_u64 v[28:29], v[4:5], 2, s[16:17]
	v_sub_f32_e32 v5, v10, v1
	v_mov_b32_e32 v38, v17
	s_waitcnt lgkmcnt(1)
	v_mov_b32_e32 v10, v19
	global_load_dword v17, v[12:13], off
	global_load_dword v19, v[28:29], off
	v_sub_f32_e32 v30, v14, v1
	v_sub_f32_e32 v31, v16, v1
	v_sub_f32_e32 v40, v18, v1
	v_mov_b32_e32 v14, v21
	s_waitcnt lgkmcnt(0)
	v_sub_f32_e32 v21, v22, v1
	v_mov_b32_e32 v16, v23
	v_sub_f32_e32 v22, v24, v1
	v_mul_f32_e32 v23, 0x3fb8aa3b, v5
	v_mov_b32_e32 v18, v25
	v_mul_f32_e32 v24, 0x3fb8aa3b, v9
	v_mul_f32_e32 v25, 0x3fb8aa3b, v30
	;; [unrolled: 1-line block ×5, first 2 shown]
	v_fma_f32 v43, v5, s22, -v23
	v_rndne_f32_e32 v44, v23
	v_sub_f32_e32 v20, v20, v1
	v_fma_f32 v45, v9, s22, -v24
	v_rndne_f32_e32 v46, v24
	v_fma_f32 v47, v30, s22, -v25
	v_rndne_f32_e32 v48, v25
	;; [unrolled: 2-line block ×5, first 2 shown]
	v_fmac_f32_e32 v43, 0x32a5705f, v5
	v_sub_f32_e32 v12, v23, v44
	v_mul_f32_e32 v26, 0x3fb8aa3b, v31
	v_mul_f32_e32 v41, 0x3fb8aa3b, v20
	v_fmac_f32_e32 v45, 0x32a5705f, v9
	v_sub_f32_e32 v23, v24, v46
	v_fmac_f32_e32 v47, 0x32a5705f, v30
	v_sub_f32_e32 v25, v25, v48
	;; [unrolled: 2-line block ×5, first 2 shown]
	v_add_f32_e32 v12, v12, v43
	v_fma_f32 v49, v31, s22, -v26
	v_rndne_f32_e32 v50, v26
	v_fma_f32 v53, v20, s22, -v41
	v_rndne_f32_e32 v54, v41
	v_cvt_i32_f32_e32 v13, v44
	v_add_f32_e32 v23, v23, v45
	v_add_f32_e32 v25, v25, v47
	;; [unrolled: 1-line block ×5, first 2 shown]
	v_exp_f32_e32 v12, v12
	v_cvt_i32_f32_e32 v24, v46
	v_cvt_i32_f32_e32 v28, v48
	v_fmac_f32_e32 v49, 0x32a5705f, v31
	v_sub_f32_e32 v26, v26, v50
	v_cvt_i32_f32_e32 v29, v50
	v_cvt_i32_f32_e32 v44, v52
	v_fmac_f32_e32 v53, 0x32a5705f, v20
	v_sub_f32_e32 v41, v41, v54
	v_cvt_i32_f32_e32 v48, v56
	v_cvt_i32_f32_e32 v50, v58
	v_exp_f32_e32 v23, v23
	v_exp_f32_e32 v25, v25
	;; [unrolled: 1-line block ×5, first 2 shown]
	v_add_f32_e32 v26, v26, v49
	v_add_f32_e32 v41, v41, v53
	v_cvt_i32_f32_e32 v46, v54
	v_exp_f32_e32 v26, v26
	v_exp_f32_e32 v41, v41
	v_ldexp_f32 v12, v12, v13
	v_cmp_ngt_f32_e64 s[12:13], s23, v5
	v_ldexp_f32 v13, v23, v24
	v_cmp_ngt_f32_e32 vcc, s23, v9
	v_ldexp_f32 v23, v25, v28
	v_ldexp_f32 v25, v27, v44
	;; [unrolled: 1-line block ×3, first 2 shown]
	v_cmp_ngt_f32_e64 s[8:9], s23, v21
	v_ldexp_f32 v6, v6, v50
	v_cmp_ngt_f32_e64 s[10:11], s23, v22
	v_cndmask_b32_e64 v12, 0, v12, s[12:13]
	v_cmp_nlt_f32_e64 s[12:13], s24, v5
	v_cmp_ngt_f32_e64 s[0:1], s23, v30
	v_cndmask_b32_e32 v13, 0, v13, vcc
	v_cmp_nlt_f32_e32 vcc, s24, v9
	v_cndmask_b32_e64 v27, 0, v27, s[8:9]
	v_cmp_nlt_f32_e64 s[8:9], s24, v21
	v_cndmask_b32_e64 v21, 0, v6, s[10:11]
	v_cndmask_b32_e64 v6, v8, v12, s[12:13]
	v_ldexp_f32 v24, v26, v29
	v_cmp_ngt_f32_e64 s[2:3], s23, v31
	v_cmp_ngt_f32_e64 s[4:5], s23, v40
	v_ldexp_f32 v26, v41, v46
	v_cmp_ngt_f32_e64 s[6:7], s23, v20
	v_cndmask_b32_e64 v9, 0, v23, s[0:1]
	v_cmp_nlt_f32_e64 s[0:1], s24, v30
	v_cndmask_b32_e32 v12, v8, v13, vcc
	s_waitcnt vmcnt(7)
	v_pk_fma_f32 v[2:3], v[6:7], v[32:33], v[2:3] op_sel_hi:[0,1,1]
	v_cndmask_b32_e64 v23, 0, v24, s[2:3]
	v_cmp_nlt_f32_e64 s[2:3], s24, v31
	v_cndmask_b32_e64 v24, 0, v25, s[4:5]
	v_cndmask_b32_e64 v25, 0, v26, s[6:7]
	v_cmp_nlt_f32_e64 s[6:7], s24, v20
	v_cndmask_b32_e64 v20, v8, v9, s[0:1]
	s_waitcnt vmcnt(6)
	v_pk_fma_f32 v[2:3], v[12:13], v[34:35], v[2:3] op_sel_hi:[0,1,1]
	v_cmp_nlt_f32_e64 s[4:5], s24, v40
	v_cmp_nlt_f32_e64 s[10:11], s24, v22
	v_cndmask_b32_e64 v22, v8, v23, s[2:3]
	s_waitcnt vmcnt(5)
	v_pk_fma_f32 v[2:3], v[20:21], v[36:37], v[2:3] op_sel_hi:[0,1,1]
	v_cndmask_b32_e64 v24, v8, v24, s[4:5]
	s_waitcnt vmcnt(4)
	v_pk_fma_f32 v[2:3], v[22:23], v[38:39], v[2:3] op_sel_hi:[0,1,1]
	;; [unrolled: 3-line block ×4, first 2 shown]
	s_add_i32 s25, s25, 8
	s_add_i32 s21, s21, 64
	v_cndmask_b32_e64 v30, v8, v21, s[10:11]
	s_waitcnt vmcnt(1)
	v_pk_fma_f32 v[2:3], v[28:29], v[16:17], v[2:3] op_sel_hi:[0,1,1]
	s_cmp_eq_u32 s20, s25
	v_add_u32_e32 v4, 0x200, v4
	s_waitcnt vmcnt(0)
	v_pk_fma_f32 v[2:3], v[30:31], v[18:19], v[2:3] op_sel_hi:[0,1,1]
	s_cbranch_scc0 .LBB8_24
; %bb.25:
	s_and_b32 s0, s19, 7
	s_cmp_eq_u32 s0, 0
	s_cbranch_scc0 .LBB8_28
	s_branch .LBB8_30
.LBB8_26:
	s_waitcnt lgkmcnt(0)
	v_mov_b32_e32 v1, 0x7fc00000
	s_branch .LBB8_31
.LBB8_27:
	v_mov_b32_e32 v2, 0
	s_mov_b32 s20, 0
	v_mov_b32_e32 v3, v2
	s_and_b32 s0, s19, 7
	s_cmp_eq_u32 s0, 0
	s_cbranch_scc1 .LBB8_30
.LBB8_28:
	s_lshl_b32 s1, s20, 3
	v_lshl_or_b32 v4, s20, 6, v0
	s_add_i32 s1, s1, 0
	s_mov_b32 s2, 0x3fb8aa3b
	s_mov_b32 s3, 0xc2ce8ed0
	;; [unrolled: 1-line block ×3, first 2 shown]
	v_mov_b32_e32 v6, 0x7f800000
	v_mov_b32_e32 v5, 0
.LBB8_29:                               ; =>This Inner Loop Header: Depth=1
	v_lshl_add_u64 v[8:9], v[4:5], 2, s[16:17]
	global_load_dword v9, v[8:9], off
	v_mov_b32_e32 v7, s1
	ds_read_b64 v[10:11], v7
	s_add_i32 s1, s1, 8
	s_add_i32 s0, s0, -1
	v_add_u32_e32 v4, 64, v4
	s_cmp_lg_u32 s0, 0
	s_waitcnt lgkmcnt(0)
	v_sub_f32_e32 v7, v10, v1
	v_mul_f32_e32 v8, 0x3fb8aa3b, v7
	v_fma_f32 v10, v7, s2, -v8
	v_rndne_f32_e32 v12, v8
	v_fmac_f32_e32 v10, 0x32a5705f, v7
	v_sub_f32_e32 v8, v8, v12
	v_add_f32_e32 v8, v8, v10
	v_cvt_i32_f32_e32 v12, v12
	v_exp_f32_e32 v10, v8
	v_cmp_ngt_f32_e32 vcc, s3, v7
	v_mov_b32_e32 v8, v11
	v_ldexp_f32 v10, v10, v12
	v_cndmask_b32_e32 v10, 0, v10, vcc
	v_cmp_nlt_f32_e32 vcc, s4, v7
	s_nop 1
	v_cndmask_b32_e32 v10, v6, v10, vcc
	s_waitcnt vmcnt(0)
	v_pk_fma_f32 v[2:3], v[10:11], v[8:9], v[2:3] op_sel_hi:[0,1,1]
	s_cbranch_scc1 .LBB8_29
.LBB8_30:
	s_waitcnt lgkmcnt(0)
	v_div_scale_f32 v1, s[0:1], v2, v2, v3
	v_rcp_f32_e32 v4, v1
	v_div_scale_f32 v5, vcc, v3, v2, v3
	v_fma_f32 v6, -v1, v4, 1.0
	v_fmac_f32_e32 v4, v6, v4
	v_mul_f32_e32 v6, v5, v4
	v_fma_f32 v7, -v1, v6, v5
	v_fmac_f32_e32 v6, v7, v4
	v_fma_f32 v1, -v1, v6, v5
	v_div_fmas_f32 v1, v1, v4, v6
	v_div_fixup_f32 v1, v1, v2, v3
.LBB8_31:
	s_lshl_b32 s0, s18, 6
	s_ashr_i32 s1, s0, 31
	s_lshl_b64 s[0:1], s[0:1], 2
	s_add_u32 s0, s14, s0
	s_addc_u32 s1, s15, s1
	v_lshlrev_b32_e32 v0, 2, v0
	global_store_dword v0, v1, s[0:1]
	s_endpgm
	.section	.rodata,"a",@progbits
	.p2align	6, 0x0
	.amdhsa_kernel _ZL26flash_attn_combine_resultsILi64EEvPKfPK15HIP_vector_typeIfLj2EEPfi
		.amdhsa_group_segment_fixed_size 0
		.amdhsa_private_segment_fixed_size 0
		.amdhsa_kernarg_size 288
		.amdhsa_user_sgpr_count 2
		.amdhsa_user_sgpr_dispatch_ptr 0
		.amdhsa_user_sgpr_queue_ptr 0
		.amdhsa_user_sgpr_kernarg_segment_ptr 1
		.amdhsa_user_sgpr_dispatch_id 0
		.amdhsa_user_sgpr_kernarg_preload_length 0
		.amdhsa_user_sgpr_kernarg_preload_offset 0
		.amdhsa_user_sgpr_private_segment_size 0
		.amdhsa_uses_dynamic_stack 0
		.amdhsa_enable_private_segment 0
		.amdhsa_system_sgpr_workgroup_id_x 1
		.amdhsa_system_sgpr_workgroup_id_y 1
		.amdhsa_system_sgpr_workgroup_id_z 1
		.amdhsa_system_sgpr_workgroup_info 0
		.amdhsa_system_vgpr_workitem_id 0
		.amdhsa_next_free_vgpr 59
		.amdhsa_next_free_sgpr 26
		.amdhsa_accum_offset 60
		.amdhsa_reserve_vcc 1
		.amdhsa_float_round_mode_32 0
		.amdhsa_float_round_mode_16_64 0
		.amdhsa_float_denorm_mode_32 3
		.amdhsa_float_denorm_mode_16_64 3
		.amdhsa_dx10_clamp 1
		.amdhsa_ieee_mode 1
		.amdhsa_fp16_overflow 0
		.amdhsa_tg_split 0
		.amdhsa_exception_fp_ieee_invalid_op 0
		.amdhsa_exception_fp_denorm_src 0
		.amdhsa_exception_fp_ieee_div_zero 0
		.amdhsa_exception_fp_ieee_overflow 0
		.amdhsa_exception_fp_ieee_underflow 0
		.amdhsa_exception_fp_ieee_inexact 0
		.amdhsa_exception_int_div_zero 0
	.end_amdhsa_kernel
	.section	.text._ZL26flash_attn_combine_resultsILi64EEvPKfPK15HIP_vector_typeIfLj2EEPfi,"axG",@progbits,_ZL26flash_attn_combine_resultsILi64EEvPKfPK15HIP_vector_typeIfLj2EEPfi,comdat
.Lfunc_end8:
	.size	_ZL26flash_attn_combine_resultsILi64EEvPKfPK15HIP_vector_typeIfLj2EEPfi, .Lfunc_end8-_ZL26flash_attn_combine_resultsILi64EEvPKfPK15HIP_vector_typeIfLj2EEPfi
                                        ; -- End function
	.set _ZL26flash_attn_combine_resultsILi64EEvPKfPK15HIP_vector_typeIfLj2EEPfi.num_vgpr, 59
	.set _ZL26flash_attn_combine_resultsILi64EEvPKfPK15HIP_vector_typeIfLj2EEPfi.num_agpr, 0
	.set _ZL26flash_attn_combine_resultsILi64EEvPKfPK15HIP_vector_typeIfLj2EEPfi.numbered_sgpr, 26
	.set _ZL26flash_attn_combine_resultsILi64EEvPKfPK15HIP_vector_typeIfLj2EEPfi.num_named_barrier, 0
	.set _ZL26flash_attn_combine_resultsILi64EEvPKfPK15HIP_vector_typeIfLj2EEPfi.private_seg_size, 0
	.set _ZL26flash_attn_combine_resultsILi64EEvPKfPK15HIP_vector_typeIfLj2EEPfi.uses_vcc, 1
	.set _ZL26flash_attn_combine_resultsILi64EEvPKfPK15HIP_vector_typeIfLj2EEPfi.uses_flat_scratch, 0
	.set _ZL26flash_attn_combine_resultsILi64EEvPKfPK15HIP_vector_typeIfLj2EEPfi.has_dyn_sized_stack, 0
	.set _ZL26flash_attn_combine_resultsILi64EEvPKfPK15HIP_vector_typeIfLj2EEPfi.has_recursion, 0
	.set _ZL26flash_attn_combine_resultsILi64EEvPKfPK15HIP_vector_typeIfLj2EEPfi.has_indirect_call, 0
	.section	.AMDGPU.csdata,"",@progbits
; Kernel info:
; codeLenInByte = 2900
; TotalNumSgprs: 32
; NumVgprs: 59
; NumAgprs: 0
; TotalNumVgprs: 59
; ScratchSize: 0
; MemoryBound: 0
; FloatMode: 240
; IeeeMode: 1
; LDSByteSize: 0 bytes/workgroup (compile time only)
; SGPRBlocks: 3
; VGPRBlocks: 7
; NumSGPRsForWavesPerEU: 32
; NumVGPRsForWavesPerEU: 59
; AccumOffset: 60
; Occupancy: 8
; WaveLimiterHint : 0
; COMPUTE_PGM_RSRC2:SCRATCH_EN: 0
; COMPUTE_PGM_RSRC2:USER_SGPR: 2
; COMPUTE_PGM_RSRC2:TRAP_HANDLER: 0
; COMPUTE_PGM_RSRC2:TGID_X_EN: 1
; COMPUTE_PGM_RSRC2:TGID_Y_EN: 1
; COMPUTE_PGM_RSRC2:TGID_Z_EN: 1
; COMPUTE_PGM_RSRC2:TIDIG_COMP_CNT: 0
; COMPUTE_PGM_RSRC3_GFX90A:ACCUM_OFFSET: 14
; COMPUTE_PGM_RSRC3_GFX90A:TG_SPLIT: 0
	.section	.text._ZL18flash_attn_ext_f16ILi80ELi80ELi8ELi4ELb0ELb0EEvPKcS1_S1_S1_S1_PKiPfP15HIP_vector_typeIfLj2EEffffjfiS5_IjLj3EEiiiiiiiiiiiliiliiiiil,"axG",@progbits,_ZL18flash_attn_ext_f16ILi80ELi80ELi8ELi4ELb0ELb0EEvPKcS1_S1_S1_S1_PKiPfP15HIP_vector_typeIfLj2EEffffjfiS5_IjLj3EEiiiiiiiiiiiliiliiiiil,comdat
	.globl	_ZL18flash_attn_ext_f16ILi80ELi80ELi8ELi4ELb0ELb0EEvPKcS1_S1_S1_S1_PKiPfP15HIP_vector_typeIfLj2EEffffjfiS5_IjLj3EEiiiiiiiiiiiliiliiiiil ; -- Begin function _ZL18flash_attn_ext_f16ILi80ELi80ELi8ELi4ELb0ELb0EEvPKcS1_S1_S1_S1_PKiPfP15HIP_vector_typeIfLj2EEffffjfiS5_IjLj3EEiiiiiiiiiiiliiliiiiil
	.p2align	8
	.type	_ZL18flash_attn_ext_f16ILi80ELi80ELi8ELi4ELb0ELb0EEvPKcS1_S1_S1_S1_PKiPfP15HIP_vector_typeIfLj2EEffffjfiS5_IjLj3EEiiiiiiiiiiiliiliiiiil,@function
_ZL18flash_attn_ext_f16ILi80ELi80ELi8ELi4ELb0ELb0EEvPKcS1_S1_S1_S1_PKiPfP15HIP_vector_typeIfLj2EEffffjfiS5_IjLj3EEiiiiiiiiiiiliiliiiiil: ; @_ZL18flash_attn_ext_f16ILi80ELi80ELi8ELi4ELb0ELb0EEvPKcS1_S1_S1_S1_PKiPfP15HIP_vector_typeIfLj2EEffffjfiS5_IjLj3EEiiiiiiiiiiiliiliiiiil
; %bb.0:
	s_load_dwordx2 s[4:5], s[0:1], 0x80
	s_load_dwordx4 s[36:39], s[0:1], 0x64
	s_mov_b32 s33, s2
                                        ; implicit-def: $vgpr164 : SGPR spill to VGPR lane
	s_load_dword s35, s[0:1], 0xd0
	s_mov_b32 s6, 0
	s_waitcnt lgkmcnt(0)
	s_abs_i32 s2, s5
	v_cvt_f32_u32_e32 v1, s2
	s_sub_i32 s8, 0, s2
	s_abs_i32 s7, s37
	s_xor_b32 s3, s37, s5
	v_rcp_iflag_f32_e32 v1, v1
	s_ashr_i32 s3, s3, 31
	v_mul_f32_e32 v1, 0x4f7ffffe, v1
	v_cvt_u32_f32_e32 v1, v1
	s_nop 0
	v_readfirstlane_b32 s9, v1
	s_mul_i32 s8, s8, s9
	s_mul_hi_u32 s8, s9, s8
	s_add_i32 s9, s9, s8
	s_mul_hi_u32 s8, s7, s9
	s_mul_i32 s9, s8, s2
	s_sub_i32 s7, s7, s9
	s_add_i32 s10, s8, 1
	s_sub_i32 s9, s7, s2
	s_cmp_ge_u32 s7, s2
	s_cselect_b32 s8, s10, s8
	s_cselect_b32 s7, s9, s7
	s_add_i32 s9, s8, 1
	s_cmp_ge_u32 s7, s2
	s_cselect_b32 s2, s9, s8
	s_add_i32 s4, s4, 63
	s_xor_b32 s2, s2, s3
	s_ashr_i32 s7, s4, 31
	s_sub_i32 s3, s2, s3
	s_lshr_b32 s2, s7, 26
	s_add_i32 s4, s4, s2
	s_add_i32 s2, s36, 7
	s_lshr_b32 s7, s2, 3
	s_add_i32 s2, s3, 3
	s_ashr_i32 s98, s4, 6
	s_ashr_i32 s4, s2, 31
	s_lshr_b32 s4, s4, 30
	s_add_i32 s2, s2, s4
	s_ashr_i32 s2, s2, 2
	v_writelane_b32 v164, s7, 0
	s_mul_i32 s4, s7, s98
	v_writelane_b32 v164, s4, 1
	s_mul_i32 s2, s4, s2
	;; [unrolled: 2-line block ×4, first 2 shown]
	s_ashr_i32 s10, s2, 31
	s_mul_i32 s4, s10, s33
	s_mul_hi_u32 s5, s2, s33
	s_add_i32 s7, s5, s4
	s_cmp_lg_u64 s[6:7], 0
	s_mul_i32 s6, s2, s33
	s_cbranch_scc0 .LBB9_220
; %bb.1:
	s_add_u32 s4, s35, 0
	s_addc_u32 s5, 0, 0
	s_xor_b64 s[8:9], s[4:5], 0
	v_cvt_f32_u32_e32 v1, s8
	v_cvt_f32_u32_e32 v2, s9
	s_sub_u32 s11, 0, s8
	s_subb_u32 s14, 0, s9
	v_fmamk_f32 v1, v2, 0x4f800000, v1
	v_rcp_f32_e32 v1, v1
	s_nop 0
	v_mul_f32_e32 v1, 0x5f7ffffc, v1
	v_mul_f32_e32 v2, 0x2f800000, v1
	v_trunc_f32_e32 v2, v2
	v_fmamk_f32 v1, v2, 0xcf800000, v1
	v_cvt_u32_f32_e32 v2, v2
	v_cvt_u32_f32_e32 v1, v1
	v_readfirstlane_b32 s15, v2
	v_readfirstlane_b32 s12, v1
	s_mul_i32 s13, s11, s15
	s_mul_hi_u32 s17, s11, s12
	s_mul_i32 s16, s14, s12
	s_add_i32 s13, s17, s13
	s_add_i32 s13, s13, s16
	s_mul_i32 s18, s11, s12
	s_mul_i32 s17, s12, s13
	s_mul_hi_u32 s19, s12, s18
	s_mul_hi_u32 s16, s12, s13
	s_add_u32 s17, s19, s17
	s_addc_u32 s16, 0, s16
	s_mul_hi_u32 s20, s15, s18
	s_mul_i32 s18, s15, s18
	s_add_u32 s17, s17, s18
	s_mul_hi_u32 s19, s15, s13
	s_addc_u32 s16, s16, s20
	s_addc_u32 s17, s19, 0
	s_mul_i32 s13, s15, s13
	s_add_u32 s13, s16, s13
	s_addc_u32 s16, 0, s17
	s_add_u32 s17, s12, s13
	s_cselect_b64 s[12:13], -1, 0
	s_cmp_lg_u64 s[12:13], 0
	s_addc_u32 s15, s15, s16
	s_mul_i32 s12, s11, s15
	s_mul_hi_u32 s13, s11, s17
	s_add_i32 s12, s13, s12
	s_mul_i32 s14, s14, s17
	s_add_i32 s12, s12, s14
	s_mul_i32 s11, s11, s17
	s_mul_hi_u32 s14, s15, s11
	s_mul_i32 s16, s15, s11
	s_mul_i32 s19, s17, s12
	s_mul_hi_u32 s11, s17, s11
	s_mul_hi_u32 s18, s17, s12
	s_add_u32 s11, s11, s19
	s_addc_u32 s18, 0, s18
	s_add_u32 s11, s11, s16
	s_mul_hi_u32 s13, s15, s12
	s_addc_u32 s11, s18, s14
	s_addc_u32 s13, s13, 0
	s_mul_i32 s12, s15, s12
	s_add_u32 s11, s11, s12
	s_addc_u32 s14, 0, s13
	s_add_u32 s11, s17, s11
	s_cselect_b64 s[12:13], -1, 0
	s_cmp_lg_u64 s[12:13], 0
	s_addc_u32 s16, s15, s14
	s_ashr_i32 s12, s7, 31
	s_add_u32 s14, s6, s12
	s_mov_b32 s13, s12
	s_addc_u32 s15, s7, s12
	s_xor_b64 s[14:15], s[14:15], s[12:13]
	s_mul_i32 s17, s14, s16
	s_mul_hi_u32 s18, s14, s11
	s_mul_hi_u32 s7, s14, s16
	s_add_u32 s17, s18, s17
	s_addc_u32 s7, 0, s7
	s_mul_hi_u32 s19, s15, s11
	s_mul_i32 s11, s15, s11
	s_add_u32 s11, s17, s11
	s_mul_hi_u32 s18, s15, s16
	s_addc_u32 s7, s7, s19
	s_addc_u32 s11, s18, 0
	s_mul_i32 s16, s15, s16
	s_add_u32 s7, s7, s16
	s_addc_u32 s11, 0, s11
	s_mul_i32 s16, s8, s11
	s_mul_hi_u32 s17, s8, s7
	s_add_i32 s16, s17, s16
	s_mul_i32 s17, s9, s7
	s_add_i32 s20, s16, s17
	s_sub_i32 s18, s15, s20
	s_mul_i32 s16, s8, s7
	s_sub_u32 s14, s14, s16
	s_cselect_b64 s[16:17], -1, 0
	s_cmp_lg_u64 s[16:17], 0
	s_subb_u32 s21, s18, s9
	s_sub_u32 s22, s14, s8
	s_cselect_b64 s[18:19], -1, 0
	s_cmp_lg_u64 s[18:19], 0
	s_subb_u32 s18, s21, 0
	s_cmp_ge_u32 s18, s9
	s_cselect_b32 s19, -1, 0
	s_cmp_ge_u32 s22, s8
	s_cselect_b32 s21, -1, 0
	s_cmp_eq_u32 s18, s9
	s_cselect_b32 s18, s21, s19
	s_add_u32 s19, s7, 1
	s_addc_u32 s21, s11, 0
	s_add_u32 s22, s7, 2
	s_addc_u32 s23, s11, 0
	s_cmp_lg_u32 s18, 0
	s_cselect_b32 s18, s22, s19
	s_cselect_b32 s19, s23, s21
	s_cmp_lg_u64 s[16:17], 0
	s_subb_u32 s15, s15, s20
	s_cmp_ge_u32 s15, s9
	s_cselect_b32 s16, -1, 0
	s_cmp_ge_u32 s14, s8
	s_cselect_b32 s8, -1, 0
	s_cmp_eq_u32 s15, s9
	s_cselect_b32 s8, s8, s16
	s_cmp_lg_u32 s8, 0
	s_cselect_b32 s9, s19, s11
	s_cselect_b32 s8, s18, s7
	s_xor_b64 s[12:13], s[12:13], 0
	s_xor_b64 s[8:9], s[8:9], s[12:13]
	s_sub_u32 s56, s8, s12
	s_load_dwordx2 s[54:55], s[0:1], 0x74
	v_cvt_f32_u32_e32 v1, s35
	s_cbranch_execnz .LBB9_3
.LBB9_2:
	v_rcp_iflag_f32_e32 v2, v1
	s_sub_i32 s4, 0, s35
	v_mul_f32_e32 v2, 0x4f7ffffe, v2
	v_cvt_u32_f32_e32 v2, v2
	s_nop 0
	v_readfirstlane_b32 s5, v2
	s_mul_i32 s4, s4, s5
	s_mul_hi_u32 s4, s5, s4
	s_add_i32 s5, s5, s4
	s_mul_hi_u32 s4, s6, s5
	s_mul_i32 s7, s4, s35
	s_sub_i32 s6, s6, s7
	s_add_i32 s5, s4, 1
	s_sub_i32 s7, s6, s35
	s_cmp_ge_u32 s6, s35
	s_cselect_b32 s4, s5, s4
	s_cselect_b32 s6, s7, s6
	s_add_i32 s5, s4, 1
	s_cmp_ge_u32 s6, s35
	s_cselect_b32 s56, s5, s4
.LBB9_3:
	s_add_i32 s4, s33, 1
	s_mul_i32 s5, s10, s4
	s_mul_hi_u32 s6, s2, s4
	s_add_i32 s9, s6, s5
	s_mov_b32 s8, 0
	s_cmp_lg_u64 s[8:9], 0
	s_mul_i32 s2, s2, s4
	s_cbranch_scc0 .LBB9_221
; %bb.4:
	s_add_u32 s4, s35, 0
	s_addc_u32 s5, 0, 0
	s_xor_b64 s[6:7], s[4:5], 0
	v_cvt_f32_u32_e32 v2, s6
	v_cvt_f32_u32_e32 v3, s7
	s_sub_u32 s8, 0, s6
	s_subb_u32 s12, 0, s7
	v_fmamk_f32 v2, v3, 0x4f800000, v2
	v_rcp_f32_e32 v2, v2
	s_nop 0
	v_mul_f32_e32 v2, 0x5f7ffffc, v2
	v_mul_f32_e32 v3, 0x2f800000, v2
	v_trunc_f32_e32 v3, v3
	v_fmamk_f32 v2, v3, 0xcf800000, v2
	v_cvt_u32_f32_e32 v3, v3
	v_cvt_u32_f32_e32 v2, v2
	v_readfirstlane_b32 s13, v3
	v_readfirstlane_b32 s10, v2
	s_mul_i32 s11, s8, s13
	s_mul_hi_u32 s15, s8, s10
	s_mul_i32 s14, s12, s10
	s_add_i32 s11, s15, s11
	s_add_i32 s11, s11, s14
	s_mul_i32 s16, s8, s10
	s_mul_i32 s15, s10, s11
	s_mul_hi_u32 s17, s10, s16
	s_mul_hi_u32 s14, s10, s11
	s_add_u32 s15, s17, s15
	s_addc_u32 s14, 0, s14
	s_mul_hi_u32 s18, s13, s16
	s_mul_i32 s16, s13, s16
	s_add_u32 s15, s15, s16
	s_mul_hi_u32 s17, s13, s11
	s_addc_u32 s14, s14, s18
	s_addc_u32 s15, s17, 0
	s_mul_i32 s11, s13, s11
	s_add_u32 s11, s14, s11
	s_addc_u32 s14, 0, s15
	s_add_u32 s15, s10, s11
	s_cselect_b64 s[10:11], -1, 0
	s_cmp_lg_u64 s[10:11], 0
	s_addc_u32 s13, s13, s14
	s_mul_i32 s10, s8, s13
	s_mul_hi_u32 s11, s8, s15
	s_add_i32 s10, s11, s10
	s_mul_i32 s12, s12, s15
	s_add_i32 s10, s10, s12
	s_mul_i32 s8, s8, s15
	s_mul_hi_u32 s12, s13, s8
	s_mul_i32 s14, s13, s8
	s_mul_i32 s17, s15, s10
	s_mul_hi_u32 s8, s15, s8
	s_mul_hi_u32 s16, s15, s10
	s_add_u32 s8, s8, s17
	s_addc_u32 s16, 0, s16
	s_add_u32 s8, s8, s14
	s_mul_hi_u32 s11, s13, s10
	s_addc_u32 s8, s16, s12
	s_addc_u32 s11, s11, 0
	s_mul_i32 s10, s13, s10
	s_add_u32 s8, s8, s10
	s_addc_u32 s12, 0, s11
	s_add_u32 s14, s15, s8
	s_cselect_b64 s[10:11], -1, 0
	s_cmp_lg_u64 s[10:11], 0
	s_addc_u32 s12, s13, s12
	s_ashr_i32 s10, s9, 31
	s_add_u32 s8, s2, s10
	s_mov_b32 s11, s10
	s_addc_u32 s9, s9, s10
	s_xor_b64 s[8:9], s[8:9], s[10:11]
	s_mul_i32 s15, s8, s12
	s_mul_hi_u32 s16, s8, s14
	s_mul_hi_u32 s13, s8, s12
	s_add_u32 s15, s16, s15
	s_addc_u32 s13, 0, s13
	s_mul_hi_u32 s17, s9, s14
	s_mul_i32 s14, s9, s14
	s_add_u32 s14, s15, s14
	s_mul_hi_u32 s16, s9, s12
	s_addc_u32 s13, s13, s17
	s_addc_u32 s14, s16, 0
	s_mul_i32 s12, s9, s12
	s_add_u32 s16, s13, s12
	s_addc_u32 s17, 0, s14
	s_mul_i32 s12, s6, s17
	s_mul_hi_u32 s13, s6, s16
	s_add_i32 s12, s13, s12
	s_mul_i32 s13, s7, s16
	s_add_i32 s18, s12, s13
	s_sub_i32 s14, s9, s18
	s_mul_i32 s12, s6, s16
	s_sub_u32 s8, s8, s12
	s_cselect_b64 s[12:13], -1, 0
	s_cmp_lg_u64 s[12:13], 0
	s_subb_u32 s19, s14, s7
	s_sub_u32 s20, s8, s6
	s_cselect_b64 s[14:15], -1, 0
	s_cmp_lg_u64 s[14:15], 0
	s_subb_u32 s14, s19, 0
	s_cmp_ge_u32 s14, s7
	s_cselect_b32 s15, -1, 0
	s_cmp_ge_u32 s20, s6
	s_cselect_b32 s19, -1, 0
	s_cmp_eq_u32 s14, s7
	s_cselect_b32 s14, s19, s15
	s_add_u32 s15, s16, 1
	s_addc_u32 s19, s17, 0
	s_add_u32 s20, s16, 2
	s_addc_u32 s21, s17, 0
	s_cmp_lg_u32 s14, 0
	s_cselect_b32 s14, s20, s15
	s_cselect_b32 s15, s21, s19
	s_cmp_lg_u64 s[12:13], 0
	s_subb_u32 s9, s9, s18
	s_cmp_ge_u32 s9, s7
	s_cselect_b32 s12, -1, 0
	s_cmp_ge_u32 s8, s6
	s_cselect_b32 s6, -1, 0
	s_cmp_eq_u32 s9, s7
	s_cselect_b32 s6, s6, s12
	s_cmp_lg_u32 s6, 0
	s_cselect_b32 s7, s15, s17
	s_cselect_b32 s6, s14, s16
	s_xor_b64 s[8:9], s[10:11], 0
	s_xor_b64 s[6:7], s[6:7], s[8:9]
	s_sub_u32 s60, s6, s8
	s_load_dwordx2 s[46:47], s[0:1], 0x5c
	s_cbranch_execnz .LBB9_6
.LBB9_5:
	v_rcp_iflag_f32_e32 v1, v1
	s_sub_i32 s4, 0, s35
	v_mul_f32_e32 v1, 0x4f7ffffe, v1
	v_cvt_u32_f32_e32 v1, v1
	s_nop 0
	v_readfirstlane_b32 s5, v1
	s_mul_i32 s4, s4, s5
	s_mul_hi_u32 s4, s5, s4
	s_add_i32 s5, s5, s4
	s_mul_hi_u32 s4, s2, s5
	s_mul_i32 s6, s4, s35
	s_sub_i32 s2, s2, s6
	s_add_i32 s5, s4, 1
	s_sub_i32 s6, s2, s35
	s_cmp_ge_u32 s2, s35
	s_cselect_b32 s4, s5, s4
	s_cselect_b32 s2, s6, s2
	s_add_i32 s5, s4, 1
	s_cmp_ge_u32 s2, s35
	s_cselect_b32 s60, s5, s4
.LBB9_6:
	s_abs_i32 s99, s98
	v_cvt_f32_u32_e32 v1, s99
	s_load_dwordx16 s[16:31], s[0:1], 0x0
	s_load_dword s6, s[0:1], 0x40
	s_load_dwordx2 s[4:5], s[0:1], 0x8c
	s_load_dwordx4 s[40:43], s[0:1], 0x98
	s_load_dwordx2 s[48:49], s[0:1], 0xa8
	s_load_dwordx2 s[64:65], s[0:1], 0xb8
	;; [unrolled: 1-line block ×3, first 2 shown]
	s_waitcnt lgkmcnt(0)
	s_mov_b32 s1, s5
	s_sub_i32 s2, 0, s99
	v_rcp_iflag_f32_e32 v1, v1
	v_writelane_b32 v164, s0, 4
	s_ashr_i32 s57, s39, 3
	s_ashr_i32 s39, s54, 3
	v_mul_f32_e32 v1, 0x4f7ffffe, v1
	v_cvt_u32_f32_e32 v1, v1
	v_writelane_b32 v164, s1, 5
	s_ashr_i32 s1, s98, 31
	v_writelane_b32 v164, s1, 6
	v_readfirstlane_b32 s52, v1
	s_mul_i32 s2, s2, s52
	s_mul_hi_u32 s2, s52, s2
	s_abs_i32 s1, s56
	s_add_i32 s52, s52, s2
	s_mul_hi_u32 s2, s1, s52
	s_mul_i32 s2, s2, s99
	s_sub_i32 s1, s1, s2
	s_ashr_i32 s38, s4, 2
	s_ashr_i32 s44, s65, 1
	;; [unrolled: 1-line block ×4, first 2 shown]
	s_sub_i32 s2, s1, s99
	s_cmp_ge_u32 s1, s99
	s_cselect_b32 s1, s2, s1
	s_sub_i32 s2, s1, s99
	s_cmp_ge_u32 s1, s99
	s_cselect_b32 s1, s2, s1
	s_xor_b32 s1, s1, s0
	s_sub_i32 s88, s1, s0
	s_sub_i32 s0, s60, s56
	s_add_i32 s4, s0, s88
	s_min_i32 s2, s98, s4
	s_cmp_gt_i32 s60, s56
	s_cselect_b64 s[10:11], -1, 0
	s_cmp_le_i32 s60, s56
	s_cselect_b64 s[0:1], -1, 0
	s_cmp_gt_i32 s98, s4
	v_cvt_f16_f32_e32 v1, s6
	s_cselect_b64 s[4:5], -1, 0
	s_or_b64 s[0:1], s[4:5], s[0:1]
	v_bfe_u32 v29, v0, 5, 5
	v_bfe_u32 v27, v0, 10, 10
	s_mov_b32 s63, 0
	s_and_b64 vcc, exec, s[0:1]
	v_lshl_add_u32 v31, v27, 1, v29
	v_and_b32_e32 v26, 31, v0
	v_lshlrev_b32_e32 v37, 3, v27
	v_mbcnt_lo_u32_b32 v43, -1, 0
	s_cbranch_vccz .LBB9_9
; %bb.7:
	s_andn2_b64 vcc, exec, s[10:11]
	s_cbranch_vccz .LBB9_196
.LBB9_8:
	s_endpgm
.LBB9_9:
	s_cmp_eq_u64 s[24:25], 0
	s_movk_i32 s7, 0xb0
	v_and_b32_e32 v6, 0x7f0, v37
	v_and_b32_e32 v8, 15, v0
	v_bfe_u32 v10, v0, 1, 9
	v_writelane_b32 v164, s35, 7
	s_cselect_b64 s[0:1], -1, 0
	v_and_b32_e32 v4, 0x3ff, v0
	v_mad_u32_u24 v7, v6, s7, 0
	v_mul_u32_u24_e32 v9, 0xb0, v8
	v_and_b32_e32 v11, 0x78, v10
	v_writelane_b32 v164, s0, 8
	s_cmp_lg_u64 s[26:27], 0
	v_add3_u32 v61, v7, v9, v11
	v_lshlrev_b32_e32 v9, 1, v4
	v_writelane_b32 v164, s1, 9
	s_cselect_b64 s[0:1], -1, 0
	v_and_b32_e32 v30, 62, v9
	v_lshl_add_u32 v9, v27, 5, v10
	v_lshlrev_b32_e32 v10, 2, v4
	v_writelane_b32 v164, s0, 10
	v_mul_u32_u24_e32 v7, 0x90, v31
	v_lshlrev_b32_e32 v14, 1, v30
	v_and_b32_e32 v36, 4, v10
	v_writelane_b32 v164, s1, 11
	v_add3_u32 v63, 0, v7, v14
	v_mad_u32_u24 v7, v9, s7, 0
	v_lshlrev_b32_e32 v14, 2, v36
	s_movk_i32 s1, 0x80
	v_lshlrev_b32_e32 v12, 4, v27
	v_add3_u32 v65, v7, v14, s1
	v_lshrrev_b32_e32 v7, 2, v0
	v_and_b32_e32 v13, 16, v12
	v_and_b32_e32 v7, 60, v7
	v_and_or_b32 v6, v0, 12, v6
	s_movk_i32 s0, 0x90
	v_add_u32_e32 v14, v7, v13
	v_lshrrev_b32_e32 v6, 2, v6
	v_add_u16_e32 v7, v7, v13
	v_bfe_u32 v2, v0, 3, 7
	v_mad_u32_u24 v6, v6, s0, 0
	v_lshrrev_b16_e32 v7, 1, v7
	v_lshl_add_u32 v67, v7, 2, v6
	v_lshlrev_b32_e32 v7, 1, v2
	v_lshl_add_u32 v6, v14, 1, v6
	v_or_b32_e32 v14, 3, v7
	v_or_b32_e32 v15, 2, v7
	v_and_b32_e32 v7, 60, v7
	v_and_b32_e32 v16, 8, v37
	s_movk_i32 s0, 0x160
	v_mul_u32_u24_e32 v7, 0xb0, v7
	v_mad_u32_u24 v16, v16, s0, 0
	v_lshlrev_b32_e32 v17, 1, v8
	v_add3_u32 v96, v16, v7, v17
	v_bfe_u32 v7, v0, 10, 1
	v_cmp_eq_u32_e64 s[0:1], 0, v7
	v_and_b32_e32 v7, 0x400, v0
	v_cmp_ne_u32_e64 s[4:5], 0, v7
	v_or_b32_e32 v7, v37, v4
	v_mul_u32_u24_e32 v14, 0xb0, v14
	v_mul_u32_u24_e32 v15, 0xb0, v15
	v_lshlrev_b32_e32 v32, 3, v7
	v_add_u32_e32 v7, v29, v27
	v_add3_u32 v97, v16, v15, v17
	v_add3_u32 v98, v16, v14, v17
	v_lshlrev_b32_e32 v15, 1, v7
	v_and_b32_e32 v16, 15, v7
	s_movk_i32 s8, 0x3e0
	v_add_u32_e32 v17, 4, v7
	v_and_or_b32 v15, v15, s8, v16
	v_lshlrev_b32_e32 v18, 1, v17
	v_and_b32_e32 v19, 15, v17
	s_movk_i32 s8, 0x7e0
	v_and_or_b32 v18, v18, s8, v19
	v_add_u32_e32 v19, 8, v7
	v_lshlrev_b32_e32 v20, 1, v19
	v_and_b32_e32 v21, 15, v19
	v_and_or_b32 v20, v20, s8, v21
	v_add_u32_e32 v21, 12, v7
	v_lshlrev_b32_e32 v22, 1, v21
	v_and_b32_e32 v23, 15, v21
	v_and_or_b32 v22, v22, s8, v23
	v_add_u32_e32 v23, 16, v7
	v_lshlrev_b32_e32 v24, 1, v23
	v_writelane_b32 v164, s4, 12
	v_and_or_b32 v16, v24, s8, v16
	v_add_u32_e32 v24, 20, v7
	v_writelane_b32 v164, s5, 13
	s_lshl_b32 s62, s33, 5
	v_lshlrev_b32_e32 v25, 1, v24
	v_and_b32_e32 v38, 15, v24
	v_add_u32_e32 v52, 24, v7
	s_ashr_i32 s45, s44, 31
	s_mov_b32 s15, s39
	s_ashr_i32 s39, s38, 31
	s_ashr_i32 s35, s34, 31
	v_writelane_b32 v164, s33, 14
	s_lshl_b64 s[4:5], s[62:63], 3
	v_and_or_b32 v25, v25, s8, v38
	v_lshlrev_b32_e32 v38, 1, v52
	v_and_b32_e32 v39, 15, v52
	v_add_u32_e32 v54, 28, v7
	v_add_u32_e32 v3, v37, v2
	s_add_u32 s4, s30, s4
	v_lshl_add_u32 v2, v27, 2, v2
	v_and_or_b32 v53, v38, s8, v39
	v_lshlrev_b32_e32 v38, 1, v54
	v_and_b32_e32 v39, 15, v54
	v_readlane_b32 s14, v164, 3
	s_addc_u32 s5, s31, s5
	v_and_b32_e32 v14, 15, v2
	v_and_or_b32 v55, v38, s8, v39
	v_lshlrev_b32_e32 v38, 1, v2
	s_movk_i32 s8, 0xfe0
	s_abs_i32 s59, s14
	v_and_or_b32 v56, v38, s8, v14
	v_cvt_f32_u32_e32 v38, s59
	v_readlane_b32 s13, v164, 2
	v_add_u32_e32 v57, 16, v2
	s_abs_i32 s58, s13
	v_rcp_iflag_f32_e32 v38, v38
	v_lshlrev_b32_e32 v39, 1, v57
	s_movk_i32 s8, 0x1fe0
	v_cvt_f32_u32_e32 v40, s58
	v_and_or_b32 v14, v39, s8, v14
	s_mov_b32 s8, s64
	v_readlane_b32 s12, v164, 1
	v_writelane_b32 v164, s8, 15
	v_mul_f32_e32 v38, 0x4f7ffffe, v38
	s_abs_i32 s68, s64
	v_writelane_b32 v164, s9, 16
	v_cmp_gt_u32_e64 s[64:65], 16, v4
	v_cvt_u32_f32_e32 v38, v38
	v_rcp_iflag_f32_e32 v39, v40
	s_abs_i32 s61, s12
	v_writelane_b32 v164, s64, 17
	v_cvt_f32_u32_e32 v40, s61
	v_add_u32_e32 v101, 0, v11
	v_writelane_b32 v164, s65, 18
	v_cmp_gt_u32_e64 s[64:65], 32, v4
	v_mad_u32_u24 v5, v3, s7, 0
	v_mad_u32_u24 v111, v8, s7, v101
	v_writelane_b32 v164, s64, 19
	s_ashr_i32 s7, s14, 31
	v_readfirstlane_b32 s8, v38
	v_writelane_b32 v164, s65, 20
	v_mul_f32_e32 v39, 0x4f7ffffe, v39
	v_writelane_b32 v164, s7, 21
	s_sub_i32 s7, 0, s59
	v_cvt_f32_u32_e32 v41, s68
	v_rcp_iflag_f32_e32 v38, v40
	v_cvt_u32_f32_e32 v39, v39
	s_mul_i32 s7, s7, s8
	s_mul_hi_u32 s7, s8, s7
	s_add_i32 s7, s8, s7
	v_writelane_b32 v164, s7, 22
	s_ashr_i32 s7, s13, 31
	v_rcp_iflag_f32_e32 v40, v41
	v_mul_f32_e32 v38, 0x4f7ffffe, v38
	v_readfirstlane_b32 s9, v39
	v_writelane_b32 v164, s7, 23
	s_sub_i32 s7, 0, s58
	v_cvt_u32_f32_e32 v41, v38
	s_mul_i32 s7, s7, s9
	s_mul_hi_u32 s7, s9, s7
	s_add_i32 s7, s9, s7
	v_and_b32_e32 v28, 7, v0
	v_mul_f32_e32 v38, 0x4f7ffffe, v40
	v_writelane_b32 v164, s7, 24
	s_ashr_i32 s7, s12, 31
	v_cvt_u32_f32_e32 v40, v38
	v_readfirstlane_b32 s10, v41
	v_lshlrev_b32_e32 v58, 2, v28
	v_and_b32_e32 v42, 28, v10
	v_writelane_b32 v164, s7, 25
	s_sub_i32 s7, 0, s61
	v_mul_lo_u32 v34, s38, v3
	v_add_u32_e32 v99, v5, v58
	v_lshl_add_u32 v100, v42, 2, v5
	v_add_u32_e32 v5, 32, v3
	v_lshrrev_b32_e32 v105, 2, v3
	v_mul_lo_u32 v50, s34, v3
	v_add_u32_e32 v3, 8, v31
	s_mul_i32 s7, s7, s10
	v_lshrrev_b32_e32 v107, 2, v3
	v_add_u32_e32 v3, 16, v31
	s_mul_hi_u32 s7, s10, s7
	v_lshrrev_b32_e32 v108, 2, v3
	v_add_u32_e32 v3, 24, v31
	s_add_i32 s7, s10, s7
	v_mov_b32_e32 v33, 0
	v_readfirstlane_b32 s11, v40
	v_lshrrev_b32_e32 v109, 2, v3
	v_or_b32_e32 v3, v12, v4
	v_writelane_b32 v164, s7, 26
	s_sub_i32 s7, 0, s68
	v_lshl_add_u64 v[38:39], s[4:5], 0, v[32:33]
	v_and_b32_e32 v32, 1, v0
	v_mul_lo_u32 v46, s34, v9
	v_mul_u32_u24_e32 v110, 0xb0, v3
	v_or_b32_e32 v3, v12, v8
	s_mul_i32 s7, s7, s11
	v_lshlrev_b32_e32 v32, 4, v32
	v_ashrrev_i32_e32 v47, 31, v46
	v_mul_u32_u24_e32 v113, 0xb0, v3
	v_lshrrev_b32_e32 v129, 2, v2
	s_mul_hi_u32 s7, s11, s7
	v_lshlrev_b32_e32 v2, 2, v26
	v_mov_b32_e32 v3, v33
	v_mul_lo_u32 v44, s38, v9
	v_lshrrev_b32_e32 v125, 2, v52
	v_mul_u32_u24_e32 v126, 0xb0, v53
	s_add_i32 s7, s11, s7
	v_add_u32_e32 v133, 0, v2
	v_lshl_add_u64 v[52:53], s[22:23], 0, v[2:3]
	v_lshl_add_u64 v[2:3], v[46:47], 2, v[32:33]
	v_ashrrev_i32_e32 v45, 31, v44
	v_writelane_b32 v164, s7, 27
	s_mov_b32 s8, s44
	v_lshl_add_u64 v[2:3], s[20:21], 0, v[2:3]
	s_mov_b64 s[70:71], 0x80
	v_lshrrev_b32_e32 v127, 2, v54
	v_mul_u32_u24_e32 v128, 0xb0, v55
	v_writelane_b32 v164, s8, 28
	v_lshl_add_u64 v[54:55], v[2:3], 0, s[70:71]
	v_lshl_add_u64 v[2:3], v[44:45], 2, v[32:33]
	v_lshl_add_u32 v40, s38, 5, v34
	v_mul_lo_u32 v48, s34, v5
	v_writelane_b32 v164, s9, 29
	s_lshl_b64 s[8:9], s[44:45], 1
	v_lshl_add_u64 v[2:3], s[18:19], 0, v[2:3]
	v_bfe_u32 v60, v4, 3, 2
	s_mov_b32 s6, 0x10001
	v_ashrrev_i32_e32 v35, 31, v34
	v_ashrrev_i32_e32 v41, 31, v40
	;; [unrolled: 1-line block ×4, first 2 shown]
	v_add_u32_e32 v106, 0, v58
	v_or_b32_e32 v5, v12, v26
	v_writelane_b32 v164, s8, 30
	v_lshl_add_u64 v[58:59], v[2:3], 0, s[70:71]
	v_mul_lo_u32 v2, s15, v60
	v_and_b32_e32 v138, 3, v31
	v_cmp_gt_u32_e64 s[4:5], 64, v9
	v_mul_u32_u24_e32 v102, 0xb0, v13
	v_add_u32_e32 v103, 64, v6
	v_add_u32_e32 v104, 0x44, v6
	v_mul_u32_u24_e32 v112, 0xb0, v5
	v_mul_u32_u24_e32 v114, 0xb0, v15
	v_lshrrev_b32_e32 v115, 2, v17
	v_mul_u32_u24_e32 v116, 0xb0, v18
	v_lshrrev_b32_e32 v117, 2, v19
	;; [unrolled: 2-line block ×5, first 2 shown]
	v_mul_u32_u24_e32 v124, 0xb0, v25
	v_mul_u32_u24_e32 v130, 0xb0, v56
	v_lshrrev_b32_e32 v131, 2, v57
	v_mul_u32_u24_e32 v132, 0xb0, v14
	v_writelane_b32 v164, s9, 31
	s_lshl_b64 s[72:73], s[34:35], 8
	v_lshlrev_b32_e32 v56, 4, v28
	v_mov_b32_e32 v57, v33
	s_lshl_b64 s[74:75], s[38:39], 8
	s_mov_b32 s45, 0x3fb8aa3b
	s_mov_b32 s65, 0xc2ce8ed0
	;; [unrolled: 1-line block ×5, first 2 shown]
	v_mul_lo_u32 v134, v1, s6
	v_add3_u32 v62, v2, v28, 32
	v_add_u32_e32 v135, 0x1600, v100
	v_lshrrev_b32_e32 v136, 2, v7
	v_and_b32_e32 v64, 3, v7
	v_lshrrev_b32_e32 v137, 2, v31
	v_mul_u32_u24_e32 v139, 0xb0, v31
	v_mbcnt_hi_u32_b32 v140, -1, v43
	v_mov_b32_e32 v141, 0x7f800000
	v_and_b32_e32 v66, 3, v0
	v_mad_u64_u32 v[68:69], s[6:7], v138, s15, v[26:27]
	v_lshl_add_u64 v[70:71], v[50:51], 2, s[20:21]
	v_lshl_add_u64 v[72:73], v[48:49], 2, s[20:21]
	;; [unrolled: 1-line block ×4, first 2 shown]
	v_writelane_b32 v164, s15, 32
	s_branch .LBB9_12
.LBB9_10:                               ;   in Loop: Header=BB9_12 Depth=1
	s_or_b64 exec, exec, s[78:79]
	s_barrier
.LBB9_11:                               ;   in Loop: Header=BB9_12 Depth=1
	s_add_i32 s2, s56, s98
	s_abs_i32 s7, s2
	s_mul_hi_u32 s8, s7, s52
	s_mul_i32 s8, s8, s99
	s_sub_i32 s7, s7, s8
	s_ashr_i32 s6, s2, 31
	s_sub_i32 s8, s7, s99
	s_cmp_ge_u32 s7, s99
	s_cselect_b32 s7, s8, s7
	s_sub_i32 s8, s7, s99
	s_cmp_ge_u32 s7, s99
	s_cselect_b32 s7, s8, s7
	s_xor_b32 s7, s7, s6
	s_sub_i32 s6, s6, s7
	s_add_i32 s56, s2, s6
	s_sub_i32 s6, s60, s56
	s_min_i32 s2, s98, s6
	s_cmp_gt_i32 s60, s56
	s_cselect_b64 s[10:11], -1, 0
	s_cmp_le_i32 s98, s6
	s_cselect_b64 s[6:7], -1, 0
	s_and_b64 s[6:7], s[6:7], s[10:11]
	s_mov_b32 s88, 0
	s_and_b64 vcc, exec, s[6:7]
	s_cbranch_vccz .LBB9_195
.LBB9_12:                               ; =>This Loop Header: Depth=1
                                        ;     Child Loop BB9_130 Depth 2
                                        ;     Child Loop BB9_37 Depth 2
	s_ashr_i32 s6, s56, 31
	v_readlane_b32 s7, v164, 21
	s_xor_b32 s6, s6, s7
	s_abs_i32 s7, s56
	v_readlane_b32 s8, v164, 22
	s_mul_hi_u32 s8, s7, s8
	s_mul_i32 s9, s8, s59
	s_sub_i32 s7, s7, s9
	s_add_i32 s9, s8, 1
	s_sub_i32 s10, s7, s59
	s_cmp_ge_u32 s7, s59
	s_cselect_b32 s8, s9, s8
	s_cselect_b32 s7, s10, s7
	s_add_i32 s9, s8, 1
	s_cmp_ge_u32 s7, s59
	s_cselect_b32 s7, s9, s8
	s_xor_b32 s7, s7, s6
	s_sub_i32 s6, s7, s6
	v_readlane_b32 s7, v164, 3
	s_mul_i32 s7, s6, s7
	s_sub_i32 s8, s56, s7
	s_ashr_i32 s7, s8, 31
	v_readlane_b32 s9, v164, 23
	s_xor_b32 s7, s7, s9
	s_abs_i32 s9, s8
	v_readlane_b32 s10, v164, 24
	s_mul_hi_u32 s10, s9, s10
	s_mul_i32 s11, s10, s58
	s_sub_i32 s9, s9, s11
	s_add_i32 s11, s10, 1
	s_sub_i32 s12, s9, s58
	s_cmp_ge_u32 s9, s58
	s_cselect_b32 s10, s11, s10
	s_cselect_b32 s9, s12, s9
	s_add_i32 s11, s10, 1
	s_cmp_ge_u32 s9, s58
	s_cselect_b32 s9, s11, s10
	s_xor_b32 s9, s9, s7
	s_sub_i32 s7, s9, s7
	v_readlane_b32 s9, v164, 2
	s_mul_i32 s9, s7, s9
	s_sub_i32 s9, s8, s9
	s_ashr_i32 s8, s9, 31
	v_readlane_b32 s10, v164, 25
	s_xor_b32 s8, s8, s10
	s_abs_i32 s10, s9
	v_readlane_b32 s11, v164, 26
	s_mul_hi_u32 s11, s10, s11
	s_mul_i32 s12, s11, s61
	s_sub_i32 s10, s10, s12
	s_add_i32 s12, s11, 1
	s_sub_i32 s13, s10, s61
	s_cmp_ge_u32 s10, s61
	s_cselect_b32 s11, s12, s11
	s_cselect_b32 s10, s13, s10
	s_add_i32 s12, s11, 1
	s_cmp_ge_u32 s10, s61
	s_cselect_b32 s10, s12, s11
	s_xor_b32 s10, s10, s8
	s_sub_i32 s8, s10, s8
	v_readlane_b32 s10, v164, 1
	s_mul_i32 s10, s8, s10
	s_sub_i32 s9, s9, s10
	s_ashr_i32 s10, s9, 31
	v_readlane_b32 s11, v164, 6
	s_abs_i32 s9, s9
	s_xor_b32 s10, s10, s11
	s_mul_hi_u32 s11, s9, s52
	s_mul_i32 s12, s11, s99
	s_sub_i32 s9, s9, s12
	s_add_i32 s12, s11, 1
	s_sub_i32 s13, s9, s99
	s_cmp_ge_u32 s9, s99
	s_cselect_b32 s11, s12, s11
	s_cselect_b32 s9, s13, s9
	s_add_i32 s12, s11, 1
	s_cmp_ge_u32 s9, s99
	s_cselect_b32 s9, s12, s11
	v_readlane_b32 s12, v164, 10
	s_xor_b32 s9, s9, s10
	v_readlane_b32 s13, v164, 11
	s_andn2_b64 vcc, exec, s[12:13]
	s_sub_i32 s44, s9, s10
	s_cbranch_vccnz .LBB9_14
; %bb.13:                               ;   in Loop: Header=BB9_12 Depth=1
	v_readlane_b32 s9, v164, 0
	s_mul_i32 s9, s6, s9
	s_add_i32 s10, s44, s9
	s_ashr_i32 s11, s10, 31
	s_lshl_b64 s[10:11], s[10:11], 2
	s_add_u32 s10, s26, s10
	s_addc_u32 s11, s27, s11
	global_load_dword v2, v33, s[10:11]
	s_waitcnt vmcnt(0)
	v_readfirstlane_b32 s9, v2
	s_ashr_i32 s10, s9, 31
	s_lshr_b32 s10, s10, 26
	s_add_i32 s9, s9, s10
	s_ashr_i32 s9, s9, 6
	s_min_i32 s2, s2, s9
.LBB9_14:                               ;   in Loop: Header=BB9_12 Depth=1
	s_mul_i32 s9, s7, s3
	s_lshl_b32 s69, s8, 2
	s_mul_i32 s8, s6, s55
	s_add_i32 s10, s69, s9
	s_ashr_i32 s9, s8, 31
	s_add_u32 s8, s16, s8
	s_mul_i32 s11, s10, s54
	s_addc_u32 s9, s17, s9
	s_ashr_i32 s12, s11, 31
	s_add_u32 s82, s8, s11
	s_addc_u32 s83, s9, s12
	s_ashr_i32 s8, s6, 31
	s_mul_hi_u32 s9, s40, s6
	s_mul_i32 s11, s40, s8
	s_add_i32 s9, s9, s11
	s_mul_i32 s11, s41, s6
	v_readlane_b32 s12, v164, 4
	s_add_i32 s64, s9, s11
	s_mul_i32 s53, s40, s6
	v_readlane_b32 s13, v164, 5
	s_add_u32 s9, s18, s53
	s_mul_i32 s14, s7, s13
	s_addc_u32 s11, s19, s64
	s_ashr_i32 s15, s14, 31
	s_add_u32 s94, s9, s14
	s_addc_u32 s9, s11, s15
	s_abs_i32 s11, s6
	v_readlane_b32 s12, v164, 27
	s_mul_hi_u32 s12, s11, s12
	s_mul_i32 s12, s12, s68
	s_sub_i32 s11, s11, s12
	s_sub_i32 s12, s11, s68
	s_cmp_ge_u32 s11, s68
	s_cselect_b32 s11, s12, s11
	s_sub_i32 s12, s11, s68
	s_cmp_ge_u32 s11, s68
	s_cselect_b32 s11, s12, s11
	s_xor_b32 s11, s11, s8
	s_sub_i32 s11, s11, s8
	s_ashr_i32 s12, s11, 31
	s_mul_i32 s12, s50, s12
	s_mul_hi_u32 s13, s50, s11
	s_add_i32 s12, s13, s12
	s_mul_i32 s13, s51, s11
	s_add_i32 s85, s12, s13
	s_mul_i32 s84, s50, s11
	s_mul_i32 s11, s36, s37
	s_add_u32 s80, s22, s84
	s_mul_i32 s11, s11, s6
	s_addc_u32 s81, s23, s85
	s_add_i32 s11, s10, s11
	s_mul_i32 s62, s11, 40
	s_lshl_b64 s[12:13], s[62:63], 3
	s_add_u32 s76, s28, s12
	s_mul_hi_u32 s11, s48, s6
	s_mul_i32 s8, s48, s8
	s_addc_u32 s77, s29, s13
	s_add_i32 s8, s11, s8
	s_mul_i32 s11, s49, s6
	s_add_i32 s62, s8, s11
	s_mul_i32 s95, s48, s6
	s_add_u32 s6, s20, s95
	s_mul_i32 s96, s7, s43
	s_addc_u32 s8, s21, s62
	s_ashr_i32 s97, s96, 31
	s_add_u32 s33, s6, s96
	s_addc_u32 s8, s8, s97
	s_ashr_i32 s11, s10, 31
	s_lshl_b64 s[6:7], s[10:11], 2
	s_add_u32 s10, s24, s6
	s_addc_u32 s11, s25, s7
	v_readlane_b32 s6, v164, 8
	v_readlane_b32 s7, v164, 9
	s_and_b64 s[6:7], s[6:7], exec
	s_cselect_b32 s79, 0, s11
	s_cselect_b32 s78, 0, s10
	s_cmp_lg_u32 s88, 0
	v_or_b32_e32 v69, s69, v138
	s_cbranch_scc0 .LBB9_43
; %bb.15:                               ;   in Loop: Header=BB9_12 Depth=1
	s_lshl_b32 s6, s44, 3
	v_add_u32_e32 v2, s6, v137
	v_cmp_le_i32_e64 s[10:11], s36, v2
	v_cmp_le_i32_e64 s[12:13], s3, v69
	v_cmp_gt_i32_e32 vcc, s3, v69
	s_or_b64 s[10:11], s[10:11], s[12:13]
	s_and_saveexec_b64 s[12:13], s[10:11]
	s_xor_b64 s[10:11], exec, s[12:13]
; %bb.16:                               ;   in Loop: Header=BB9_12 Depth=1
	v_add_u32_e32 v2, v133, v139
	ds_write_b32 v2, v33
                                        ; implicit-def: $vgpr2
; %bb.17:                               ;   in Loop: Header=BB9_12 Depth=1
	s_andn2_saveexec_b64 s[10:11], s[10:11]
	s_cbranch_execz .LBB9_19
; %bb.18:                               ;   in Loop: Header=BB9_12 Depth=1
	v_mad_u64_u32 v[2:3], s[12:13], v2, s57, v[68:69]
	v_ashrrev_i32_e32 v3, 31, v2
	v_lshl_add_u64 v[2:3], v[2:3], 3, s[82:83]
	global_load_dwordx2 v[2:3], v[2:3], off
	s_waitcnt vmcnt(0)
	v_cvt_pk_f16_f32 v2, v2, v3
	v_pk_mul_f16 v2, v2, v134
	v_add_u32_e32 v3, v133, v139
	ds_write_b32 v3, v2
.LBB9_19:                               ;   in Loop: Header=BB9_12 Depth=1
	s_or_b64 exec, exec, s[10:11]
	v_add_u32_e32 v2, s6, v107
	v_cmp_le_i32_e64 s[10:11], s36, v2
	s_xor_b64 s[12:13], vcc, -1
	s_or_b64 s[10:11], s[10:11], s[12:13]
	s_and_saveexec_b64 s[86:87], s[10:11]
	s_xor_b64 s[10:11], exec, s[86:87]
; %bb.20:                               ;   in Loop: Header=BB9_12 Depth=1
	v_add_u32_e32 v2, v133, v139
	ds_write_b32 v2, v33 offset:1408
                                        ; implicit-def: $vgpr2
; %bb.21:                               ;   in Loop: Header=BB9_12 Depth=1
	s_andn2_saveexec_b64 s[10:11], s[10:11]
	s_cbranch_execz .LBB9_23
; %bb.22:                               ;   in Loop: Header=BB9_12 Depth=1
	v_mad_u64_u32 v[2:3], s[86:87], v2, s57, v[68:69]
	v_ashrrev_i32_e32 v3, 31, v2
	v_lshl_add_u64 v[2:3], v[2:3], 3, s[82:83]
	global_load_dwordx2 v[2:3], v[2:3], off
	s_waitcnt vmcnt(0)
	v_cvt_pk_f16_f32 v2, v2, v3
	v_pk_mul_f16 v2, v2, v134
	v_add_u32_e32 v3, v133, v139
	ds_write_b32 v3, v2 offset:1408
.LBB9_23:                               ;   in Loop: Header=BB9_12 Depth=1
	s_or_b64 exec, exec, s[10:11]
	v_add_u32_e32 v2, s6, v108
	v_cmp_le_i32_e32 vcc, s36, v2
	s_or_b64 s[10:11], vcc, s[12:13]
	s_and_saveexec_b64 s[86:87], s[10:11]
	s_xor_b64 s[10:11], exec, s[86:87]
; %bb.24:                               ;   in Loop: Header=BB9_12 Depth=1
	v_add_u32_e32 v2, v133, v139
	ds_write_b32 v2, v33 offset:2816
                                        ; implicit-def: $vgpr2
; %bb.25:                               ;   in Loop: Header=BB9_12 Depth=1
	s_andn2_saveexec_b64 s[10:11], s[10:11]
	s_cbranch_execz .LBB9_27
; %bb.26:                               ;   in Loop: Header=BB9_12 Depth=1
	v_mad_u64_u32 v[2:3], s[86:87], v2, s57, v[68:69]
	v_ashrrev_i32_e32 v3, 31, v2
	v_lshl_add_u64 v[2:3], v[2:3], 3, s[82:83]
	global_load_dwordx2 v[2:3], v[2:3], off
	s_waitcnt vmcnt(0)
	v_cvt_pk_f16_f32 v2, v2, v3
	v_pk_mul_f16 v2, v2, v134
	v_add_u32_e32 v3, v133, v139
	ds_write_b32 v3, v2 offset:2816
.LBB9_27:                               ;   in Loop: Header=BB9_12 Depth=1
	s_or_b64 exec, exec, s[10:11]
	v_add_u32_e32 v2, s6, v109
	v_cmp_le_i32_e32 vcc, s36, v2
	s_or_b64 s[10:11], vcc, s[12:13]
	s_and_saveexec_b64 s[12:13], s[10:11]
	s_xor_b64 s[10:11], exec, s[12:13]
; %bb.28:                               ;   in Loop: Header=BB9_12 Depth=1
	v_add_u32_e32 v2, v133, v139
	ds_write_b32 v2, v33 offset:4224
                                        ; implicit-def: $vgpr2
; %bb.29:                               ;   in Loop: Header=BB9_12 Depth=1
	s_andn2_saveexec_b64 s[10:11], s[10:11]
	s_cbranch_execz .LBB9_31
; %bb.30:                               ;   in Loop: Header=BB9_12 Depth=1
	v_mad_u64_u32 v[2:3], s[12:13], v2, s57, v[68:69]
	v_ashrrev_i32_e32 v3, 31, v2
	v_lshl_add_u64 v[2:3], v[2:3], 3, s[82:83]
	global_load_dwordx2 v[2:3], v[2:3], off
	s_waitcnt vmcnt(0)
	v_cvt_pk_f16_f32 v2, v2, v3
	v_pk_mul_f16 v2, v2, v134
	v_add_u32_e32 v3, v133, v139
	ds_write_b32 v3, v2 offset:4224
.LBB9_31:                               ;   in Loop: Header=BB9_12 Depth=1
	s_or_b64 exec, exec, s[10:11]
	v_add_u32_e32 v2, s6, v105
	v_or_b32_e32 v3, s69, v60
	v_cmp_le_i32_e64 s[10:11], s36, v2
	v_cmp_le_i32_e64 s[12:13], s3, v3
	v_cmp_gt_i32_e32 vcc, s3, v3
	s_or_b64 s[10:11], s[10:11], s[12:13]
	s_and_saveexec_b64 s[12:13], s[10:11]
	s_xor_b64 s[10:11], exec, s[12:13]
; %bb.32:                               ;   in Loop: Header=BB9_12 Depth=1
	ds_write_b32 v99, v33 offset:128
                                        ; implicit-def: $vgpr2
; %bb.33:                               ;   in Loop: Header=BB9_12 Depth=1
	s_andn2_saveexec_b64 s[10:11], s[10:11]
	s_cbranch_execz .LBB9_35
; %bb.34:                               ;   in Loop: Header=BB9_12 Depth=1
	v_mad_u64_u32 v[2:3], s[12:13], v2, s57, v[62:63]
	v_ashrrev_i32_e32 v3, 31, v2
	v_lshl_add_u64 v[2:3], v[2:3], 3, s[82:83]
	global_load_dwordx2 v[2:3], v[2:3], off
	s_waitcnt vmcnt(0)
	v_cvt_pk_f16_f32 v2, v2, v3
	v_pk_mul_f16 v2, v2, v134
	ds_write_b32 v99, v2 offset:128
.LBB9_35:                               ;   in Loop: Header=BB9_12 Depth=1
	s_or_b64 exec, exec, s[10:11]
	v_add_u32_e32 v10, s6, v31
	s_waitcnt lgkmcnt(0)
	s_barrier
	ds_read2_b64 v[6:9], v61 offset1:4
	ds_read2_b64 v[2:5], v61 offset0:8 offset1:12
	ds_read_b64 v[78:79], v61 offset:128
	v_mul_hi_u32 v11, s46, v10
	v_add_u32_e32 v11, v10, v11
	v_lshrrev_b32_e32 v11, s47, v11
	v_mul_lo_u32 v11, v11, s36
	v_readlane_b32 s10, v164, 28
	s_add_i32 s7, s2, -1
	v_sub_u32_e32 v10, v10, v11
	v_readlane_b32 s11, v164, 29
	s_cmp_ge_i32 s88, s7
	v_mad_i64_i32 v[80:81], s[10:11], v10, s10, 0
	s_waitcnt lgkmcnt(0)
	s_barrier
	s_cbranch_scc1 .LBB9_44
; %bb.36:                               ;   in Loop: Header=BB9_12 Depth=1
	v_lshl_add_u64 v[10:11], v[80:81], 1, s[80:81]
	v_lshlrev_b32_e32 v32, 1, v30
	v_lshl_add_u64 v[82:83], v[10:11], 0, v[32:33]
	v_and_b32_e32 v10, 64, v140
	v_add_u32_e32 v10, 64, v10
	v_xor_b32_e32 v11, 32, v140
	v_cmp_lt_i32_e64 s[10:11], v11, v10
	s_lshl_b32 s86, s88, 6
	v_mov_b32_e32 v84, 0
	v_cndmask_b32_e64 v11, v140, v11, s[10:11]
	v_lshlrev_b32_e32 v87, 2, v11
	v_xor_b32_e32 v11, 16, v140
	v_cmp_lt_i32_e64 s[10:11], v11, v10
	v_mov_b32_e32 v12, 0xfeffffff
	v_mov_b32_e32 v89, 0
	v_cndmask_b32_e64 v10, v140, v11, s[10:11]
	v_lshlrev_b32_e32 v88, 2, v10
	v_mov_b32_e32 v16, 0
	v_mov_b32_e32 v11, 0
	;; [unrolled: 1-line block ×9, first 2 shown]
.LBB9_37:                               ;   Parent Loop BB9_12 Depth=1
                                        ; =>  This Inner Loop Header: Depth=2
	s_ashr_i32 s87, s86, 31
	v_lshl_add_u64 v[24:25], s[86:87], 1, v[82:83]
	global_load_dword v13, v[24:25], off
	s_mul_hi_i32 s11, s86, s38
	s_mul_i32 s10, s86, s38
	s_lshl_b64 s[10:11], s[10:11], 2
	s_add_u32 s10, s94, s10
	s_addc_u32 s11, s9, s11
	s_waitcnt vmcnt(0)
	ds_write_b32 v63, v13 offset:11264
	s_and_saveexec_b64 s[12:13], s[4:5]
	s_cbranch_execz .LBB9_39
; %bb.38:                               ;   in Loop: Header=BB9_37 Depth=2
	v_lshl_add_u64 v[24:25], v[44:45], 2, s[10:11]
	v_lshlrev_b32_e32 v32, 2, v36
	v_lshl_add_u64 v[24:25], v[24:25], 0, v[32:33]
	global_load_dwordx4 v[90:93], v[24:25], off offset:128
	s_waitcnt vmcnt(0)
	ds_write_b128 v65, v[90:93]
.LBB9_39:                               ;   in Loop: Header=BB9_37 Depth=2
	s_or_b64 exec, exec, s[12:13]
	v_lshl_add_u64 v[24:25], v[34:35], 2, s[10:11]
	v_lshlrev_b32_e32 v32, 2, v42
	v_lshl_add_u64 v[24:25], v[24:25], 0, v[32:33]
	v_lshl_add_u64 v[90:91], v[40:41], 2, s[10:11]
	;; [unrolled: 1-line block ×3, first 2 shown]
	global_load_dwordx4 v[90:93], v[24:25], off
	global_load_dwordx4 v[142:145], v[94:95], off
	v_add_u32_e32 v13, v111, v102
	v_add_u32_e32 v17, 0x1000, v13
	s_mul_hi_i32 s11, s86, s34
	s_mul_i32 s10, s86, s34
	s_lshl_b64 s[10:11], s[10:11], 2
	s_add_u32 s12, s33, s10
	s_addc_u32 s13, s8, s11
	s_waitcnt vmcnt(1)
	ds_write_b128 v100, v[90:93]
	s_waitcnt vmcnt(0)
	ds_write_b128 v135, v[142:145]
	s_waitcnt lgkmcnt(0)
	s_barrier
	ds_read2_b64 v[90:93], v13 offset1:4
	ds_read2_b64 v[146:149], v17 offset0:192 offset1:196
	s_waitcnt lgkmcnt(1)
	v_mfma_f32_16x16x16_f16 v[142:145], v[90:91], v[6:7], 0
	s_waitcnt lgkmcnt(0)
	v_mfma_f32_16x16x16_f16 v[150:153], v[146:147], v[6:7], 0
	v_mfma_f32_16x16x16_f16 v[90:93], v[92:93], v[8:9], v[142:145]
	s_nop 4
	ds_read2_b64 v[142:145], v13 offset0:8 offset1:12
	v_mfma_f32_16x16x16_f16 v[146:149], v[148:149], v[8:9], v[150:153]
	s_nop 2
	ds_read2_b64 v[150:153], v17 offset0:200 offset1:204
	s_waitcnt lgkmcnt(1)
	v_mfma_f32_16x16x16_f16 v[90:93], v[142:143], v[2:3], v[90:93]
	v_add_u32_e32 v17, 0x2c00, v67
	ds_read_b64 v[24:25], v13 offset:128
	ds_read_b64 v[94:95], v13 offset:5760
	s_waitcnt lgkmcnt(0)
	v_mfma_f32_16x16x16_f16 v[146:149], v[150:151], v[2:3], v[146:149]
	s_barrier
	ds_read2_b32 v[150:151], v17 offset1:1
	v_mfma_f32_16x16x16_f16 v[90:93], v[144:145], v[4:5], v[90:93]
	ds_read_b32 v13, v103 offset:11264
	ds_read_b32 v17, v104 offset:11264
	s_waitcnt lgkmcnt(2)
	v_cvt_f32_f16_e32 v18, v150
	v_mfma_f32_16x16x16_f16 v[142:145], v[152:153], v[4:5], v[146:149]
	v_cvt_f32_f16_sdwa v21, v150 dst_sel:DWORD dst_unused:UNUSED_PAD src0_sel:WORD_1
	v_cvt_f32_f16_e32 v85, v151
	v_cvt_f32_f16_sdwa v86, v151 dst_sel:DWORD dst_unused:UNUSED_PAD src0_sel:WORD_1
	v_mfma_f32_16x16x16_f16 v[90:93], v[24:25], v[78:79], v[90:93]
	s_waitcnt lgkmcnt(1)
	v_cvt_f32_f16_e32 v146, v13
	v_cvt_f32_f16_sdwa v13, v13 dst_sel:DWORD dst_unused:UNUSED_PAD src0_sel:WORD_1
	s_waitcnt lgkmcnt(0)
	v_cvt_f32_f16_e32 v147, v17
	v_mfma_f32_16x16x16_f16 v[142:145], v[94:95], v[78:79], v[142:145]
	v_cvt_f32_f16_sdwa v148, v17 dst_sel:DWORD dst_unused:UNUSED_PAD src0_sel:WORD_1
	s_nop 0
	v_add_f32_e32 v90, v90, v18
	v_add_f32_e32 v24, v91, v21
	v_add_f32_e32 v25, v92, v85
	v_add_f32_e32 v85, v93, v86
	v_add_f32_e32 v86, 0x40051340, v90
	v_add_f32_e32 v91, 0x40051340, v24
	v_add_f32_e32 v21, v142, v146
	v_add_f32_e32 v18, v143, v13
	v_add_f32_e32 v92, 0x40051340, v25
	v_add_f32_e32 v93, 0x40051340, v85
	v_max3_f32 v86, v12, v86, v91
	v_add_f32_e32 v17, v144, v147
	v_add_f32_e32 v13, v145, v148
	;; [unrolled: 1-line block ×4, first 2 shown]
	v_max3_f32 v86, v86, v92, v93
	v_add_f32_e32 v142, 0x40051340, v17
	v_add_f32_e32 v143, 0x40051340, v13
	v_max3_f32 v86, v86, v94, v95
	v_max3_f32 v86, v86, v142, v143
	ds_bpermute_b32 v91, v87, v86
	s_waitcnt lgkmcnt(0)
	v_max_f32_e32 v91, v91, v91
	v_max_f32_e32 v86, v86, v91
	ds_bpermute_b32 v91, v88, v86
	s_and_saveexec_b64 s[10:11], s[4:5]
	s_cbranch_execz .LBB9_41
; %bb.40:                               ;   in Loop: Header=BB9_37 Depth=2
	v_lshl_add_u64 v[92:93], v[46:47], 2, s[12:13]
	v_lshlrev_b32_e32 v94, 2, v36
	v_mov_b32_e32 v95, v33
	v_lshl_add_u64 v[92:93], v[92:93], 0, v[94:95]
	global_load_dwordx4 v[92:95], v[92:93], off offset:128
	s_waitcnt vmcnt(0)
	ds_write_b128 v65, v[92:95]
.LBB9_41:                               ;   in Loop: Header=BB9_37 Depth=2
	s_or_b64 exec, exec, s[10:11]
	s_waitcnt lgkmcnt(0)
	v_max_f32_e32 v91, v91, v91
	v_max_f32_e32 v86, v86, v86
	;; [unrolled: 1-line block ×3, first 2 shown]
	v_sub_f32_e32 v90, v90, v86
	v_mul_f32_e32 v91, 0x3fb8aa3b, v90
	v_fma_f32 v92, v90, s45, -v91
	v_rndne_f32_e32 v93, v91
	v_fmac_f32_e32 v92, 0x32a5705f, v90
	v_sub_f32_e32 v91, v91, v93
	v_add_f32_e32 v91, v91, v92
	v_exp_f32_e32 v91, v91
	v_cvt_i32_f32_e32 v92, v93
	v_cmp_ngt_f32_e64 s[10:11], s65, v90
	v_sub_f32_e32 v85, v85, v86
	v_sub_f32_e32 v21, v21, v86
	v_ldexp_f32 v91, v91, v92
	v_sub_f32_e32 v92, v24, v86
	v_mul_f32_e32 v24, 0x3fb8aa3b, v92
	v_fma_f32 v93, v92, s45, -v24
	v_rndne_f32_e32 v94, v24
	v_fmac_f32_e32 v93, 0x32a5705f, v92
	v_sub_f32_e32 v24, v24, v94
	v_add_f32_e32 v24, v24, v93
	v_exp_f32_e32 v93, v24
	v_cvt_i32_f32_e32 v94, v94
	v_cndmask_b32_e64 v24, 0, v91, s[10:11]
	v_sub_f32_e32 v91, v25, v86
	v_mul_f32_e32 v25, 0x3fb8aa3b, v91
	v_cmp_nlt_f32_e64 s[10:11], s66, v90
	v_ldexp_f32 v90, v93, v94
	v_fma_f32 v93, v91, s45, -v25
	v_rndne_f32_e32 v94, v25
	v_fmac_f32_e32 v93, 0x32a5705f, v91
	v_sub_f32_e32 v25, v25, v94
	v_add_f32_e32 v25, v25, v93
	v_exp_f32_e32 v93, v25
	v_cvt_i32_f32_e32 v94, v94
	v_cndmask_b32_e64 v24, v141, v24, s[10:11]
	v_cmp_ngt_f32_e64 s[10:11], s65, v92
	v_sub_f32_e32 v18, v18, v86
	v_sub_f32_e32 v17, v17, v86
	v_cndmask_b32_e64 v25, 0, v90, s[10:11]
	v_cmp_nlt_f32_e64 s[10:11], s66, v92
	v_mul_f32_e32 v92, 0x3fb8aa3b, v85
	v_ldexp_f32 v90, v93, v94
	v_fma_f32 v93, v85, s45, -v92
	v_rndne_f32_e32 v94, v92
	v_cndmask_b32_e64 v25, v141, v25, s[10:11]
	v_cmp_ngt_f32_e64 s[10:11], s65, v91
	v_fmac_f32_e32 v93, 0x32a5705f, v85
	v_sub_f32_e32 v92, v92, v94
	v_add_f32_e32 v92, v92, v93
	v_cndmask_b32_e64 v90, 0, v90, s[10:11]
	v_cmp_nlt_f32_e64 s[10:11], s66, v91
	v_exp_f32_e32 v93, v92
	v_cvt_i32_f32_e32 v94, v94
	v_cndmask_b32_e64 v92, v141, v90, s[10:11]
	v_lshl_add_u64 v[90:91], v[50:51], 2, s[12:13]
	v_lshl_add_u64 v[90:91], v[90:91], 0, v[32:33]
	global_load_dwordx4 v[142:145], v[90:91], off
	v_lshl_add_u64 v[90:91], v[48:49], 2, s[12:13]
	v_lshl_add_u64 v[90:91], v[90:91], 0, v[32:33]
	global_load_dwordx4 v[146:149], v[90:91], off
	v_ldexp_f32 v93, v93, v94
	v_mul_f32_e32 v94, 0x3fb8aa3b, v21
	v_fma_f32 v95, v21, s45, -v94
	v_rndne_f32_e32 v32, v94
	v_fmac_f32_e32 v95, 0x32a5705f, v21
	v_sub_f32_e32 v90, v94, v32
	v_add_f32_e32 v90, v90, v95
	v_exp_f32_e32 v90, v90
	v_cvt_i32_f32_e32 v32, v32
	v_cmp_ngt_f32_e64 s[10:11], s65, v85
	v_sub_f32_e32 v13, v13, v86
	v_sub_f32_e32 v12, v12, v86
	v_cndmask_b32_e64 v91, 0, v93, s[10:11]
	v_cmp_nlt_f32_e64 s[10:11], s66, v85
	v_mul_f32_e32 v85, 0x3fb8aa3b, v18
	v_ldexp_f32 v32, v90, v32
	v_cndmask_b32_e64 v93, v141, v91, s[10:11]
	v_fma_f32 v90, v18, s45, -v85
	v_rndne_f32_e32 v91, v85
	v_fmac_f32_e32 v90, 0x32a5705f, v18
	v_sub_f32_e32 v85, v85, v91
	v_add_f32_e32 v85, v85, v90
	v_exp_f32_e32 v85, v85
	v_cvt_i32_f32_e32 v90, v91
	v_cmp_ngt_f32_e64 s[10:11], s65, v21
	v_cmp_ngt_f32_e64 s[12:13], s65, v12
	v_cvt_pk_f16_f32 v95, v92, v93
	v_cndmask_b32_e64 v32, 0, v32, s[10:11]
	v_cmp_nlt_f32_e64 s[10:11], s66, v21
	v_ldexp_f32 v21, v85, v90
	v_cvt_pk_f16_f32 v94, v24, v25
	v_cndmask_b32_e64 v150, v141, v32, s[10:11]
	v_mul_f32_e32 v32, 0x3fb8aa3b, v17
	v_fma_f32 v85, v17, s45, -v32
	v_rndne_f32_e32 v90, v32
	v_fmac_f32_e32 v85, 0x32a5705f, v17
	v_sub_f32_e32 v32, v32, v90
	v_add_f32_e32 v32, v32, v85
	v_exp_f32_e32 v32, v32
	v_cvt_i32_f32_e32 v85, v90
	v_cmp_ngt_f32_e64 s[10:11], s65, v18
	s_add_i32 s88, s88, 1
	s_add_i32 s86, s86, 64
	v_cndmask_b32_e64 v21, 0, v21, s[10:11]
	v_cmp_nlt_f32_e64 s[10:11], s66, v18
	v_ldexp_f32 v18, v32, v85
	s_cmp_lt_i32 s88, s7
	v_cndmask_b32_e64 v151, v141, v21, s[10:11]
	v_cmp_ngt_f32_e64 s[10:11], s65, v17
	s_waitcnt vmcnt(1)
	ds_write_b128 v100, v[142:145]
	s_waitcnt vmcnt(0)
	ds_write_b128 v135, v[146:149]
	v_cndmask_b32_e64 v18, 0, v18, s[10:11]
	v_cmp_nlt_f32_e64 s[10:11], s66, v17
	v_mul_f32_e32 v17, 0x3fb8aa3b, v13
	v_fma_f32 v21, v13, s45, -v17
	v_rndne_f32_e32 v32, v17
	v_fmac_f32_e32 v21, 0x32a5705f, v13
	v_sub_f32_e32 v17, v17, v32
	v_add_f32_e32 v17, v17, v21
	v_cvt_i32_f32_e32 v21, v32
	v_mul_f32_e32 v32, 0x3fb8aa3b, v12
	v_fma_f32 v85, v12, s45, -v32
	v_rndne_f32_e32 v90, v32
	v_fmac_f32_e32 v85, 0x32a5705f, v12
	v_sub_f32_e32 v32, v32, v90
	v_add_f32_e32 v32, v32, v85
	v_exp_f32_e32 v85, v32
	v_cvt_i32_f32_e32 v90, v90
	v_cndmask_b32_e64 v32, v141, v18, s[10:11]
	v_exp_f32_e32 v17, v17
	v_cmp_ngt_f32_e64 s[10:11], s65, v13
	v_ldexp_f32 v18, v85, v90
	v_cndmask_b32_e64 v18, 0, v18, s[12:13]
	v_cmp_nlt_f32_e64 s[12:13], s66, v12
	v_ldexp_f32 v17, v17, v21
	v_cndmask_b32_e64 v17, 0, v17, s[10:11]
	v_cndmask_b32_e64 v18, v141, v18, s[12:13]
	v_cmp_le_f32_e64 s[12:13], s67, v12
	v_cmp_nlt_f32_e64 s[10:11], s66, v13
	s_waitcnt lgkmcnt(0)
	v_cndmask_b32_e64 v90, 0, v18, s[12:13]
	v_cvt_f16_f32_e32 v12, v90
	v_cndmask_b32_e64 v91, v141, v17, s[10:11]
	s_barrier
	v_mul_u32_u24_e32 v152, 0x10001, v12
	v_pk_mul_f16 v18, v84, v152
	v_pk_mul_f16 v21, v16, v152
	ds_read_u16 v16, v96 offset:176
	ds_read_u16 v17, v97
	ds_read_u16 v84, v98
	;; [unrolled: 1-line block ×3, first 2 shown]
	v_pk_mul_f16 v11, v11, v152
	v_pk_mul_f16 v13, v10, v152
	v_cvt_f32_f16_e32 v10, v11
	s_waitcnt lgkmcnt(1)
	v_perm_b32 v17, v84, v17, s42
	s_waitcnt lgkmcnt(0)
	v_perm_b32 v16, v16, v85, s42
	v_cvt_f32_f16_sdwa v11, v11 dst_sel:DWORD dst_unused:UNUSED_PAD src0_sel:WORD_1
	v_cvt_f32_f16_e32 v12, v13
	v_cvt_f32_f16_sdwa v13, v13 dst_sel:DWORD dst_unused:UNUSED_PAD src0_sel:WORD_1
	ds_read_u16 v145, v97 offset:32
	ds_read_u16 v146, v98 offset:32
	v_mfma_f32_16x16x16_f16 v[10:13], v[16:17], v[94:95], v[10:13]
	ds_read_u16 v16, v96 offset:5632
	ds_read_u16 v17, v97 offset:5632
	;; [unrolled: 1-line block ×5, first 2 shown]
	v_cvt_f32_f16_e32 v142, v18
	s_nop 1
	v_cvt_f16_f32_e32 v10, v10
	v_cvt_f16_f32_e32 v11, v11
	;; [unrolled: 1-line block ×4, first 2 shown]
	s_waitcnt lgkmcnt(2)
	v_perm_b32 v17, v84, v17, s42
	s_waitcnt lgkmcnt(1)
	v_perm_b32 v16, v85, v16, s42
	v_cvt_f32_f16_e32 v10, v10
	v_cvt_f32_f16_e32 v11, v11
	v_cvt_f32_f16_e32 v12, v12
	v_cvt_f32_f16_e32 v13, v13
	v_cvt_pk_f16_f32 v85, v32, v91
	v_cvt_pk_f16_f32 v84, v150, v151
	v_cvt_f32_f16_sdwa v143, v18 dst_sel:DWORD dst_unused:UNUSED_PAD src0_sel:WORD_1
	v_cvt_f32_f16_e32 v144, v21
	v_mfma_f32_16x16x16_f16 v[10:13], v[16:17], v[84:85], v[10:13]
	ds_read_u16 v16, v96 offset:208
	v_perm_b32 v17, v146, v145, s42
	v_cvt_f32_f16_sdwa v145, v21 dst_sel:DWORD dst_unused:UNUSED_PAD src0_sel:WORD_1
	s_waitcnt lgkmcnt(0)
	v_perm_b32 v16, v16, v147, s42
	s_nop 1
	v_mfma_f32_16x16x16_f16 v[142:145], v[16:17], v[94:95], v[142:145]
	v_cvt_pk_f16_f32 v11, v10, v11
	v_cvt_pk_f16_f32 v10, v12, v13
	s_nop 5
	v_cvt_f16_f32_e32 v21, v145
	ds_read_u16 v145, v96 offset:5664
	ds_read_u16 v146, v97 offset:5664
	;; [unrolled: 1-line block ×4, first 2 shown]
	v_cvt_f16_f32_e32 v16, v142
	v_cvt_f16_f32_e32 v17, v143
	;; [unrolled: 1-line block ×3, first 2 shown]
	v_cvt_f32_f16_e32 v142, v16
	v_cvt_f32_f16_e32 v143, v17
	s_waitcnt lgkmcnt(1)
	v_perm_b32 v17, v147, v146, s42
	s_waitcnt lgkmcnt(0)
	v_perm_b32 v16, v148, v145, s42
	v_cvt_f32_f16_e32 v144, v18
	v_cvt_f32_f16_e32 v145, v21
	v_pk_mul_f16 v18, v15, v152
	v_pk_mul_f16 v21, v14, v152
	v_mfma_f32_16x16x16_f16 v[14:17], v[16:17], v[84:85], v[142:145]
	s_nop 2
	ds_read_u16 v145, v96 offset:64
	ds_read_u16 v146, v97 offset:64
	;; [unrolled: 1-line block ×4, first 2 shown]
	v_cvt_f32_f16_e32 v142, v18
	v_cvt_f32_f16_sdwa v143, v18 dst_sel:DWORD dst_unused:UNUSED_PAD src0_sel:WORD_1
	v_cvt_f32_f16_e32 v144, v21
	s_waitcnt lgkmcnt(1)
	v_perm_b32 v147, v147, v146, s42
	s_waitcnt lgkmcnt(0)
	v_perm_b32 v146, v148, v145, s42
	v_cvt_f32_f16_sdwa v145, v21 dst_sel:DWORD dst_unused:UNUSED_PAD src0_sel:WORD_1
	v_cvt_pk_f16_f32 v16, v16, v17
	s_nop 0
	v_mfma_f32_16x16x16_f16 v[142:145], v[146:147], v[94:95], v[142:145]
	ds_read_u16 v146, v96 offset:5696
	ds_read_u16 v147, v97 offset:5696
	;; [unrolled: 1-line block ×4, first 2 shown]
	s_nop 3
	v_cvt_f16_f32_e32 v18, v142
	v_cvt_f16_f32_e32 v21, v143
	;; [unrolled: 1-line block ×4, first 2 shown]
	s_waitcnt lgkmcnt(1)
	v_perm_b32 v147, v148, v147, s42
	s_waitcnt lgkmcnt(0)
	v_perm_b32 v146, v149, v146, s42
	v_cvt_f32_f16_e32 v142, v18
	v_cvt_f32_f16_e32 v143, v21
	;; [unrolled: 1-line block ×4, first 2 shown]
	v_pk_mul_f16 v148, v20, v152
	v_pk_mul_f16 v149, v19, v152
	v_mfma_f32_16x16x16_f16 v[18:21], v[146:147], v[84:85], v[142:145]
	s_nop 2
	ds_read_u16 v145, v96 offset:96
	ds_read_u16 v146, v97 offset:96
	;; [unrolled: 1-line block ×4, first 2 shown]
	v_cvt_f32_f16_e32 v142, v148
	v_cvt_f32_f16_sdwa v143, v148 dst_sel:DWORD dst_unused:UNUSED_PAD src0_sel:WORD_1
	v_cvt_f32_f16_e32 v144, v149
	s_waitcnt lgkmcnt(1)
	v_perm_b32 v147, v147, v146, s42
	s_waitcnt lgkmcnt(0)
	v_perm_b32 v146, v153, v145, s42
	v_cvt_f32_f16_sdwa v145, v149 dst_sel:DWORD dst_unused:UNUSED_PAD src0_sel:WORD_1
	v_add_f32_e32 v148, v24, v25
	v_add_f32_e32 v92, v92, v148
	v_mfma_f32_16x16x16_f16 v[142:145], v[146:147], v[94:95], v[142:145]
	ds_read_u16 v146, v96 offset:5728
	ds_read_u16 v147, v97 offset:5728
	;; [unrolled: 1-line block ×4, first 2 shown]
	v_pk_mul_f16 v148, v22, v152
	v_add_f32_e32 v92, v93, v92
	s_nop 1
	v_cvt_f16_f32_e32 v24, v142
	v_cvt_f16_f32_e32 v25, v143
	;; [unrolled: 1-line block ×4, first 2 shown]
	v_cvt_f32_f16_e32 v142, v24
	v_cvt_f32_f16_e32 v143, v25
	s_waitcnt lgkmcnt(1)
	v_perm_b32 v25, v149, v147, s42
	s_waitcnt lgkmcnt(0)
	v_perm_b32 v24, v153, v146, s42
	v_cvt_f32_f16_e32 v144, v144
	v_cvt_f32_f16_e32 v145, v145
	v_pk_mul_f16 v146, v23, v152
	v_add_f32_e32 v92, v150, v92
	v_mfma_f32_16x16x16_f16 v[22:25], v[24:25], v[84:85], v[142:145]
	s_nop 2
	ds_read_u16 v145, v96 offset:128
	ds_read_u16 v147, v97 offset:128
	;; [unrolled: 1-line block ×4, first 2 shown]
	v_cvt_f32_f16_e32 v142, v146
	v_cvt_f32_f16_sdwa v143, v146 dst_sel:DWORD dst_unused:UNUSED_PAD src0_sel:WORD_1
	v_cvt_f32_f16_e32 v144, v148
	s_waitcnt lgkmcnt(1)
	v_perm_b32 v147, v149, v147, s42
	s_waitcnt lgkmcnt(0)
	v_perm_b32 v146, v152, v145, s42
	v_cvt_f32_f16_sdwa v145, v148 dst_sel:DWORD dst_unused:UNUSED_PAD src0_sel:WORD_1
	v_add_f32_e32 v92, v151, v92
	v_add_f32_e32 v32, v32, v92
	v_mfma_f32_16x16x16_f16 v[142:145], v[146:147], v[94:95], v[142:145]
	ds_read_u16 v94, v96 offset:5760
	ds_read_u16 v147, v97 offset:5760
	;; [unrolled: 1-line block ×4, first 2 shown]
	v_add_f32_e32 v91, v91, v32
	v_fmac_f32_e32 v91, v89, v90
	s_nop 1
	v_cvt_f16_f32_e32 v95, v142
	v_cvt_f16_f32_e32 v142, v143
	;; [unrolled: 1-line block ×4, first 2 shown]
	v_cvt_f32_f16_e32 v144, v95
	s_waitcnt lgkmcnt(1)
	v_perm_b32 v95, v148, v147, s42
	s_waitcnt lgkmcnt(0)
	v_perm_b32 v94, v149, v94, s42
	v_cvt_f32_f16_e32 v145, v142
	v_cvt_f32_f16_e32 v146, v143
	;; [unrolled: 1-line block ×3, first 2 shown]
	s_barrier
	s_nop 0
	v_mfma_f32_16x16x16_f16 v[92:95], v[94:95], v[84:85], v[144:147]
	v_cvt_pk_f16_f32 v84, v14, v15
	v_cvt_pk_f16_f32 v15, v18, v19
	;; [unrolled: 1-line block ×5, first 2 shown]
	s_nop 2
	v_cvt_pk_f16_f32 v23, v92, v93
	v_cvt_pk_f16_f32 v22, v94, v95
	s_cbranch_scc0 .LBB9_45
; %bb.42:                               ;   in Loop: Header=BB9_37 Depth=2
	v_mov_b32_e32 v89, v91
	v_mov_b32_e32 v12, v86
	s_branch .LBB9_37
.LBB9_43:                               ;   in Loop: Header=BB9_12 Depth=1
	s_cbranch_execz .LBB9_11
	s_branch .LBB9_107
.LBB9_44:                               ;   in Loop: Header=BB9_12 Depth=1
	v_mov_b32_e32 v86, 0xfeffffff
	v_mov_b32_e32 v91, 0
	v_mov_b32_e32 v22, 0
	v_mov_b32_e32 v23, 0
	v_mov_b32_e32 v19, 0
	v_mov_b32_e32 v20, 0
	v_mov_b32_e32 v14, 0
	v_mov_b32_e32 v15, 0
	v_mov_b32_e32 v10, 0
	v_mov_b32_e32 v11, 0
	v_mov_b32_e32 v16, 0
	v_mov_b32_e32 v84, 0
.LBB9_45:                               ;   in Loop: Header=BB9_12 Depth=1
	s_lshl_b32 s12, s88, 6
	s_ashr_i32 s13, s12, 31
	s_lshl_b64 s[10:11], s[12:13], 1
	s_add_u32 s10, s80, s10
	s_addc_u32 s11, s81, s11
	v_lshl_add_u64 v[12:13], v[80:81], 1, s[10:11]
	v_lshlrev_b32_e32 v32, 1, v30
	v_lshl_add_u64 v[12:13], v[12:13], 0, v[32:33]
	global_load_dword v12, v[12:13], off
	s_mul_hi_i32 s11, s38, s12
	s_mul_i32 s10, s38, s12
	s_lshl_b64 s[10:11], s[10:11], 2
	s_add_u32 s10, s94, s10
	s_addc_u32 s11, s9, s11
	s_waitcnt vmcnt(0)
	ds_write_b32 v63, v12 offset:11264
	s_and_saveexec_b64 s[86:87], s[4:5]
	s_cbranch_execz .LBB9_47
; %bb.46:                               ;   in Loop: Header=BB9_12 Depth=1
	v_lshl_add_u64 v[12:13], v[44:45], 2, s[10:11]
	v_lshlrev_b32_e32 v32, 2, v36
	v_lshl_add_u64 v[12:13], v[12:13], 0, v[32:33]
	global_load_dwordx4 v[80:83], v[12:13], off offset:128
	s_waitcnt vmcnt(0)
	ds_write_b128 v65, v[80:83]
.LBB9_47:                               ;   in Loop: Header=BB9_12 Depth=1
	s_or_b64 exec, exec, s[86:87]
	v_lshl_add_u64 v[12:13], v[34:35], 2, s[10:11]
	v_lshlrev_b32_e32 v32, 2, v42
	v_lshl_add_u64 v[12:13], v[12:13], 0, v[32:33]
	v_lshl_add_u64 v[24:25], v[40:41], 2, s[10:11]
	;; [unrolled: 1-line block ×3, first 2 shown]
	global_load_dwordx4 v[80:83], v[12:13], off
	global_load_dwordx4 v[92:95], v[24:25], off
	v_add_u32_e32 v17, v111, v102
	v_add_u32_e32 v12, 0x1000, v17
	;; [unrolled: 1-line block ×3, first 2 shown]
	v_and_b32_e32 v13, 64, v140
	v_add_u32_e32 v25, 64, v13
	v_xor_b32_e32 v21, 32, v140
	v_cmp_lt_i32_e64 s[10:11], v21, v25
	s_waitcnt vmcnt(1)
	ds_write_b128 v100, v[80:83]
	s_waitcnt vmcnt(0)
	ds_write_b128 v135, v[92:95]
	s_waitcnt lgkmcnt(0)
	s_barrier
	ds_read2_b64 v[80:83], v17 offset1:4
	ds_read2_b64 v[142:145], v12 offset0:192 offset1:196
	s_waitcnt lgkmcnt(1)
	v_mfma_f32_16x16x16_f16 v[92:95], v[80:81], v[6:7], 0
	ds_read2_b64 v[150:153], v17 offset0:8 offset1:12
	v_cndmask_b32_e64 v21, v140, v21, s[10:11]
	v_lshlrev_b32_e32 v24, 2, v21
	v_mfma_f32_16x16x16_f16 v[80:83], v[82:83], v[8:9], v[92:95]
	s_nop 3
	ds_read2_b64 v[92:95], v12 offset0:200 offset1:204
	s_waitcnt lgkmcnt(2)
	v_mfma_f32_16x16x16_f16 v[146:149], v[142:143], v[6:7], 0
	ds_read_b64 v[12:13], v17 offset:128
	ds_read_b64 v[88:89], v17 offset:5760
	s_waitcnt lgkmcnt(0)
	s_barrier
	v_mfma_f32_16x16x16_f16 v[6:9], v[144:145], v[8:9], v[146:149]
	v_mfma_f32_16x16x16_f16 v[80:83], v[150:151], v[2:3], v[80:83]
	;; [unrolled: 1-line block ×3, first 2 shown]
	ds_read2_b32 v[92:93], v18 offset1:1
	ds_read_b32 v17, v103 offset:11264
	ds_read_b32 v18, v104 offset:11264
	s_waitcnt lgkmcnt(2)
	v_cvt_f32_f16_e32 v21, v92
	v_mfma_f32_16x16x16_f16 v[80:83], v[152:153], v[4:5], v[80:83]
	v_cvt_f32_f16_sdwa v85, v92 dst_sel:DWORD dst_unused:UNUSED_PAD src0_sel:WORD_1
	v_cvt_f32_f16_sdwa v87, v93 dst_sel:DWORD dst_unused:UNUSED_PAD src0_sel:WORD_1
	s_waitcnt lgkmcnt(1)
	v_cvt_f32_f16_e32 v90, v17
	v_mfma_f32_16x16x16_f16 v[2:5], v[94:95], v[4:5], v[6:9]
	v_mfma_f32_16x16x16_f16 v[80:83], v[12:13], v[78:79], v[80:83]
	s_nop 1
	v_cvt_f32_f16_e32 v6, v93
	v_cvt_f32_f16_sdwa v12, v17 dst_sel:DWORD dst_unused:UNUSED_PAD src0_sel:WORD_1
	s_waitcnt lgkmcnt(0)
	v_cvt_f32_f16_e32 v13, v18
	v_mfma_f32_16x16x16_f16 v[92:95], v[88:89], v[78:79], v[2:5]
	v_cvt_f32_f16_sdwa v17, v18 dst_sel:DWORD dst_unused:UNUSED_PAD src0_sel:WORD_1
	v_add_f32_e32 v9, v80, v21
	v_add_f32_e32 v8, v81, v85
	;; [unrolled: 1-line block ×4, first 2 shown]
	s_nop 2
	v_add_f32_e32 v4, v93, v12
	v_add_f32_e32 v3, v94, v13
	;; [unrolled: 1-line block ×8, first 2 shown]
	v_max3_f32 v12, v86, v12, v13
	v_add_f32_e32 v21, 0x40051340, v5
	v_add_f32_e32 v78, 0x40051340, v4
	v_max3_f32 v12, v12, v17, v18
	v_add_f32_e32 v79, 0x40051340, v3
	v_add_f32_e32 v80, 0x40051340, v2
	v_max3_f32 v12, v12, v21, v78
	v_max3_f32 v12, v12, v79, v80
	ds_bpermute_b32 v13, v24, v12
	v_xor_b32_e32 v17, 16, v140
	v_cmp_lt_i32_e64 s[10:11], v17, v25
	s_waitcnt lgkmcnt(0)
	v_max_f32_e32 v13, v13, v13
	v_cndmask_b32_e64 v17, v140, v17, s[10:11]
	v_lshlrev_b32_e32 v21, 2, v17
	v_max_f32_e32 v12, v12, v13
	ds_bpermute_b32 v13, v21, v12
	s_mul_hi_i32 s11, s12, s34
	s_mul_i32 s10, s12, s34
	s_lshl_b64 s[10:11], s[10:11], 2
	s_add_u32 s12, s33, s10
	s_addc_u32 s13, s8, s11
	s_and_saveexec_b64 s[10:11], s[4:5]
	s_cbranch_execz .LBB9_49
; %bb.48:                               ;   in Loop: Header=BB9_12 Depth=1
	v_lshl_add_u64 v[78:79], v[46:47], 2, s[12:13]
	v_lshlrev_b32_e32 v80, 2, v36
	v_mov_b32_e32 v81, v33
	v_lshl_add_u64 v[78:79], v[78:79], 0, v[80:81]
	global_load_dwordx4 v[78:81], v[78:79], off offset:128
	s_waitcnt vmcnt(0)
	ds_write_b128 v65, v[78:81]
.LBB9_49:                               ;   in Loop: Header=BB9_12 Depth=1
	s_or_b64 exec, exec, s[10:11]
	s_waitcnt lgkmcnt(0)
	v_max_f32_e32 v13, v13, v13
	v_max_f32_e32 v12, v12, v12
	;; [unrolled: 1-line block ×3, first 2 shown]
	v_sub_f32_e32 v9, v9, v18
	v_mul_f32_e32 v12, 0x3fb8aa3b, v9
	v_fma_f32 v13, v9, s45, -v12
	v_rndne_f32_e32 v17, v12
	v_fmac_f32_e32 v13, 0x32a5705f, v9
	v_sub_f32_e32 v12, v12, v17
	v_add_f32_e32 v12, v12, v13
	v_exp_f32_e32 v12, v12
	v_cvt_i32_f32_e32 v13, v17
	v_sub_f32_e32 v8, v8, v18
	v_cmp_ngt_f32_e64 s[10:11], s65, v9
	v_sub_f32_e32 v7, v7, v18
	v_ldexp_f32 v12, v12, v13
	v_mul_f32_e32 v13, 0x3fb8aa3b, v8
	v_fma_f32 v17, v8, s45, -v13
	v_rndne_f32_e32 v25, v13
	v_fmac_f32_e32 v17, 0x32a5705f, v8
	v_sub_f32_e32 v13, v13, v25
	v_add_f32_e32 v13, v13, v17
	v_exp_f32_e32 v13, v13
	v_cvt_i32_f32_e32 v17, v25
	v_cndmask_b32_e64 v12, 0, v12, s[10:11]
	v_cmp_nlt_f32_e64 s[10:11], s66, v9
	v_sub_f32_e32 v82, v6, v18
	v_ldexp_f32 v9, v13, v17
	v_cndmask_b32_e64 v25, v141, v12, s[10:11]
	v_mul_f32_e32 v12, 0x3fb8aa3b, v7
	v_fma_f32 v13, v7, s45, -v12
	v_rndne_f32_e32 v17, v12
	v_fmac_f32_e32 v13, 0x32a5705f, v7
	v_sub_f32_e32 v12, v12, v17
	v_add_f32_e32 v12, v12, v13
	v_exp_f32_e32 v12, v12
	v_cvt_i32_f32_e32 v13, v17
	v_cmp_ngt_f32_e64 s[10:11], s65, v8
	v_mul_f32_e32 v6, 0x3fb8aa3b, v82
	v_sub_f32_e32 v5, v5, v18
	v_cndmask_b32_e64 v9, 0, v9, s[10:11]
	v_cmp_nlt_f32_e64 s[10:11], s66, v8
	v_sub_f32_e32 v4, v4, v18
	v_sub_f32_e32 v3, v3, v18
	v_cndmask_b32_e64 v17, v141, v9, s[10:11]
	v_ldexp_f32 v9, v12, v13
	v_fma_f32 v12, v82, s45, -v6
	v_rndne_f32_e32 v13, v6
	v_fmac_f32_e32 v12, 0x32a5705f, v82
	v_sub_f32_e32 v6, v6, v13
	v_add_f32_e32 v6, v6, v12
	v_exp_f32_e32 v6, v6
	v_cvt_i32_f32_e32 v12, v13
	v_cmp_ngt_f32_e64 s[10:11], s65, v7
	v_add_f32_e32 v8, v25, v17
	v_sub_f32_e32 v2, v2, v18
	v_cndmask_b32_e64 v9, 0, v9, s[10:11]
	v_cmp_nlt_f32_e64 s[10:11], s66, v7
	v_ldexp_f32 v6, v6, v12
	s_cmp_lg_u64 s[78:79], 0
	v_cndmask_b32_e64 v83, v141, v9, s[10:11]
	v_cmp_ngt_f32_e64 s[10:11], s65, v82
	v_add_f32_e32 v85, v83, v8
	v_lshl_add_u64 v[8:9], v[48:49], 2, s[12:13]
	v_cndmask_b32_e64 v87, 0, v6, s[10:11]
	v_mul_f32_e32 v6, 0x3fb8aa3b, v5
	v_fma_f32 v7, v5, s45, -v6
	v_rndne_f32_e32 v88, v6
	v_fmac_f32_e32 v7, 0x32a5705f, v5
	v_sub_f32_e32 v6, v6, v88
	v_add_f32_e32 v6, v6, v7
	v_exp_f32_e32 v89, v6
	v_lshl_add_u64 v[6:7], v[50:51], 2, s[12:13]
	v_lshl_add_u64 v[6:7], v[6:7], 0, v[32:33]
	v_lshl_add_u64 v[12:13], v[8:9], 0, v[32:33]
	global_load_dwordx4 v[6:9], v[6:7], off
	s_nop 0
	global_load_dwordx4 v[78:81], v[12:13], off
	v_cmp_nlt_f32_e64 s[10:11], s66, v82
	v_mul_f32_e32 v82, 0x3fb8aa3b, v4
	v_cvt_i32_f32_e32 v12, v88
	v_cndmask_b32_e64 v13, v141, v87, s[10:11]
	v_add_f32_e32 v32, v13, v85
	v_fma_f32 v85, v4, s45, -v82
	v_rndne_f32_e32 v87, v82
	v_fmac_f32_e32 v85, 0x32a5705f, v4
	v_sub_f32_e32 v82, v82, v87
	v_add_f32_e32 v82, v82, v85
	v_exp_f32_e32 v82, v82
	v_cvt_i32_f32_e32 v85, v87
	v_ldexp_f32 v12, v89, v12
	v_cmp_ngt_f32_e64 s[10:11], s65, v5
	s_waitcnt vmcnt(1)
	ds_write_b128 v100, v[6:9]
	s_waitcnt vmcnt(0)
	ds_write_b128 v135, v[78:81]
	v_cndmask_b32_e64 v12, 0, v12, s[10:11]
	v_cmp_nlt_f32_e64 s[10:11], s66, v5
	s_waitcnt lgkmcnt(0)
	s_barrier
	v_cndmask_b32_e64 v12, v141, v12, s[10:11]
	v_add_f32_e32 v5, v12, v32
	v_ldexp_f32 v32, v82, v85
	v_mul_f32_e32 v82, 0x3fb8aa3b, v3
	v_fma_f32 v85, v3, s45, -v82
	v_rndne_f32_e32 v87, v82
	v_fmac_f32_e32 v85, 0x32a5705f, v3
	v_sub_f32_e32 v82, v82, v87
	v_add_f32_e32 v82, v82, v85
	v_exp_f32_e32 v82, v82
	v_cvt_i32_f32_e32 v85, v87
	v_cmp_ngt_f32_e64 s[10:11], s65, v4
	v_cvt_pk_f16_f32 v79, v83, v13
	s_nop 0
	v_cndmask_b32_e64 v32, 0, v32, s[10:11]
	v_cmp_nlt_f32_e64 s[10:11], s66, v4
	v_cvt_pk_f16_f32 v78, v25, v17
	s_nop 0
	v_cndmask_b32_e64 v32, v141, v32, s[10:11]
	v_add_f32_e32 v4, v32, v5
	v_ldexp_f32 v5, v82, v85
	v_cmp_ngt_f32_e64 s[10:11], s65, v3
	v_cvt_pk_f16_f32 v80, v12, v32
	s_nop 0
	v_cndmask_b32_e64 v5, 0, v5, s[10:11]
	v_cmp_nlt_f32_e64 s[10:11], s66, v3
	s_nop 1
	v_cndmask_b32_e64 v82, v141, v5, s[10:11]
	v_add_f32_e32 v3, v82, v4
	v_mul_f32_e32 v4, 0x3fb8aa3b, v2
	v_fma_f32 v5, v2, s45, -v4
	v_rndne_f32_e32 v85, v4
	v_fmac_f32_e32 v5, 0x32a5705f, v2
	v_sub_f32_e32 v4, v4, v85
	v_add_f32_e32 v4, v4, v5
	v_cvt_i32_f32_e32 v5, v85
	v_sub_f32_e32 v85, v86, v18
	v_mul_f32_e32 v86, 0x3fb8aa3b, v85
	v_fma_f32 v87, v85, s45, -v86
	v_rndne_f32_e32 v88, v86
	v_fmac_f32_e32 v87, 0x32a5705f, v85
	v_sub_f32_e32 v86, v86, v88
	v_exp_f32_e32 v4, v4
	v_add_f32_e32 v86, v86, v87
	v_exp_f32_e32 v86, v86
	v_cvt_i32_f32_e32 v87, v88
	v_ldexp_f32 v4, v4, v5
	v_cmp_ngt_f32_e64 s[10:11], s65, v2
	v_ldexp_f32 v5, v86, v87
	s_nop 0
	v_cndmask_b32_e64 v4, 0, v4, s[10:11]
	v_cmp_ngt_f32_e64 s[10:11], s65, v85
	s_nop 1
	v_cndmask_b32_e64 v5, 0, v5, s[10:11]
	v_cmp_nlt_f32_e64 s[10:11], s66, v85
	s_nop 1
	v_cndmask_b32_e64 v5, v141, v5, s[10:11]
	v_cmp_le_f32_e64 s[10:11], s67, v85
	s_nop 1
	v_cndmask_b32_e64 v5, 0, v5, s[10:11]
	v_cvt_f16_f32_e32 v85, v5
	v_cmp_nlt_f32_e64 s[10:11], s66, v2
	v_mul_u32_u24_e32 v85, 0x10001, v85
	s_nop 0
	v_cndmask_b32_e64 v86, v141, v4, s[10:11]
	v_add_f32_e32 v87, v86, v3
	v_fmac_f32_e32 v87, v91, v5
	v_pk_mul_f16 v3, v11, v85
	v_pk_mul_f16 v5, v10, v85
	;; [unrolled: 1-line block ×3, first 2 shown]
	ds_read_u16 v6, v98
	ds_read_u16 v7, v97
	ds_read_u16 v11, v97 offset:32
	ds_read_u16 v84, v96 offset:5840
	;; [unrolled: 1-line block ×9, first 2 shown]
	s_waitcnt lgkmcnt(9)
	v_perm_b32 v7, v6, v7, s42
	ds_read_u16 v6, v96 offset:176
	ds_read_u16 v8, v96
	ds_read_u16 v95, v96 offset:32
	ds_read_u16 v142, v96 offset:208
	;; [unrolled: 1-line block ×6, first 2 shown]
	s_waitcnt lgkmcnt(6)
	v_perm_b32 v6, v6, v8, s42
	v_cvt_f32_f16_e32 v2, v3
	v_cvt_f32_f16_sdwa v3, v3 dst_sel:DWORD dst_unused:UNUSED_PAD src0_sel:WORD_1
	v_cvt_f32_f16_e32 v4, v5
	v_cvt_f32_f16_sdwa v5, v5 dst_sel:DWORD dst_unused:UNUSED_PAD src0_sel:WORD_1
	v_pk_mul_f16 v147, v15, v85
	v_cvt_pk_f16_f32 v81, v82, v86
	v_mfma_f32_16x16x16_f16 v[2:5], v[6:7], v[78:79], v[2:5]
	ds_read_u16 v6, v97 offset:5632
	ds_read_u16 v13, v97 offset:5664
	;; [unrolled: 1-line block ×13, first 2 shown]
	s_waitcnt lgkmcnt(7)
	v_perm_b32 v7, v7, v6, s42
	ds_read_u16 v6, v96 offset:5632
	ds_read_u16 v8, v96 offset:5808
	;; [unrolled: 1-line block ×8, first 2 shown]
	v_cvt_f16_f32_e32 v2, v2
	v_cvt_f16_f32_e32 v3, v3
	;; [unrolled: 1-line block ×4, first 2 shown]
	s_waitcnt lgkmcnt(6)
	v_perm_b32 v6, v8, v6, s42
	v_cvt_f32_f16_e32 v2, v2
	v_cvt_f32_f16_e32 v3, v3
	v_cvt_f32_f16_e32 v4, v4
	v_cvt_f32_f16_e32 v5, v5
	v_pk_mul_f16 v16, v16, v85
	v_perm_b32 v11, v93, v11, s42
	v_mfma_f32_16x16x16_f16 v[6:9], v[6:7], v[80:81], v[2:5]
	v_pk_mul_f16 v160, v14, v85
	v_pk_mul_f16 v32, v20, v85
	s_nop 0
	v_cvt_f32_f16_e32 v2, v10
	v_cvt_f32_f16_sdwa v3, v10 dst_sel:DWORD dst_unused:UNUSED_PAD src0_sel:WORD_1
	v_perm_b32 v10, v142, v95, s42
	v_cvt_f32_f16_e32 v4, v16
	v_cvt_f32_f16_sdwa v5, v16 dst_sel:DWORD dst_unused:UNUSED_PAD src0_sel:WORD_1
	v_cvt_f16_f32_e32 v16, v8
	v_cvt_f16_f32_e32 v20, v9
	v_mfma_f32_16x16x16_f16 v[2:5], v[10:11], v[78:79], v[2:5]
	v_perm_b32 v11, v15, v13, s42
	s_waitcnt lgkmcnt(5)
	v_perm_b32 v10, v84, v154, s42
	v_perm_b32 v9, v148, v88, s42
	;; [unrolled: 1-line block ×3, first 2 shown]
	s_nop 2
	v_cvt_f16_f32_e32 v2, v2
	v_cvt_f16_f32_e32 v3, v3
	;; [unrolled: 1-line block ×4, first 2 shown]
	v_cvt_f32_f16_e32 v2, v2
	v_cvt_f32_f16_e32 v3, v3
	;; [unrolled: 1-line block ×4, first 2 shown]
	v_pk_mul_f16 v19, v19, v85
	v_perm_b32 v20, v20, v16, s42
	v_mfma_f32_16x16x16_f16 v[12:15], v[10:11], v[80:81], v[2:5]
	v_pk_mul_f16 v23, v23, v85
	v_pk_mul_f16 v84, v22, v85
	s_nop 0
	v_cvt_f32_f16_e32 v2, v147
	v_cvt_f32_f16_sdwa v3, v147 dst_sel:DWORD dst_unused:UNUSED_PAD src0_sel:WORD_1
	v_cvt_f32_f16_e32 v4, v160
	v_cvt_f32_f16_sdwa v5, v160 dst_sel:DWORD dst_unused:UNUSED_PAD src0_sel:WORD_1
	s_nop 0
	v_cvt_f16_f32_e32 v10, v14
	v_cvt_f16_f32_e32 v11, v15
	v_mfma_f32_16x16x16_f16 v[2:5], v[8:9], v[78:79], v[2:5]
	v_perm_b32 v9, v149, v17, s42
	s_waitcnt lgkmcnt(4)
	v_perm_b32 v8, v89, v155, s42
	v_perm_b32 v83, v153, v83, s42
	s_waitcnt lgkmcnt(0)
	v_perm_b32 v82, v159, v146, s42
	s_nop 1
	v_cvt_f16_f32_e32 v2, v2
	v_cvt_f16_f32_e32 v3, v3
	v_cvt_f16_f32_e32 v4, v4
	v_cvt_f16_f32_e32 v5, v5
	v_cvt_f32_f16_e32 v2, v2
	v_cvt_f32_f16_e32 v3, v3
	;; [unrolled: 1-line block ×4, first 2 shown]
	v_perm_b32 v22, v11, v10, s42
	v_cvt_f32_f16_e32 v10, v84
	v_mfma_f32_16x16x16_f16 v[14:17], v[8:9], v[80:81], v[2:5]
	v_perm_b32 v9, v150, v90, s42
	v_perm_b32 v8, v156, v145, s42
	s_nop 0
	v_cvt_f32_f16_e32 v2, v32
	v_cvt_f32_f16_sdwa v3, v32 dst_sel:DWORD dst_unused:UNUSED_PAD src0_sel:WORD_1
	v_cvt_f32_f16_e32 v4, v19
	v_cvt_f32_f16_sdwa v5, v19 dst_sel:DWORD dst_unused:UNUSED_PAD src0_sel:WORD_1
	v_cvt_f32_f16_sdwa v11, v84 dst_sel:DWORD dst_unused:UNUSED_PAD src0_sel:WORD_1
	v_cvt_f16_f32_e32 v16, v16
	v_mfma_f32_16x16x16_f16 v[2:5], v[8:9], v[78:79], v[2:5]
	v_perm_b32 v9, v151, v25, s42
	v_perm_b32 v8, v91, v157, s42
	v_cvt_f16_f32_e32 v17, v17
	v_cvt_f16_f32_e32 v85, v6
	s_nop 3
	v_cvt_f16_f32_e32 v2, v2
	v_cvt_f16_f32_e32 v3, v3
	;; [unrolled: 1-line block ×4, first 2 shown]
	v_cvt_f32_f16_e32 v2, v2
	v_cvt_f32_f16_e32 v3, v3
	;; [unrolled: 1-line block ×4, first 2 shown]
	v_perm_b32 v16, v17, v16, s42
	v_cvt_f16_f32_e32 v86, v7
	v_mfma_f32_16x16x16_f16 v[2:5], v[8:9], v[80:81], v[2:5]
	v_cvt_f32_f16_e32 v8, v23
	v_cvt_f32_f16_sdwa v9, v23 dst_sel:DWORD dst_unused:UNUSED_PAD src0_sel:WORD_1
	v_cvt_f16_f32_e32 v88, v12
	v_cvt_f16_f32_e32 v32, v13
	v_mfma_f32_16x16x16_f16 v[8:11], v[82:83], v[78:79], v[8:11]
	s_nop 2
	v_cvt_f16_f32_e32 v17, v4
	v_cvt_f16_f32_e32 v19, v5
	;; [unrolled: 1-line block ×4, first 2 shown]
	s_nop 0
	v_cvt_f16_f32_e32 v4, v8
	v_cvt_f16_f32_e32 v5, v9
	;; [unrolled: 1-line block ×4, first 2 shown]
	v_cvt_f32_f16_e32 v8, v4
	v_cvt_f32_f16_e32 v9, v5
	v_perm_b32 v5, v152, v94, s42
	v_perm_b32 v4, v92, v158, s42
	v_cvt_f32_f16_e32 v10, v10
	v_cvt_f32_f16_e32 v11, v11
	v_perm_b32 v17, v19, v17, s42
	v_cvt_f16_f32_e32 v78, v2
	v_mfma_f32_16x16x16_f16 v[8:11], v[4:5], v[80:81], v[8:11]
	ds_bpermute_b32 v4, v24, v87
	v_cvt_f16_f32_e32 v79, v3
	s_cselect_b64 s[10:11], -1, 0
	s_and_b64 s[10:11], s[0:1], s[10:11]
	s_nop 3
	v_cvt_f16_f32_e32 v5, v8
	s_waitcnt lgkmcnt(0)
	v_add_f32_e32 v4, v87, v4
	ds_bpermute_b32 v19, v21, v4
	v_cvt_f16_f32_e32 v10, v10
	v_cvt_f16_f32_e32 v11, v11
	;; [unrolled: 1-line block ×3, first 2 shown]
	v_perm_b32 v23, v86, v85, s42
	s_waitcnt lgkmcnt(0)
	v_add_f32_e32 v19, v4, v19
	v_perm_b32 v10, v11, v10, s42
	v_perm_b32 v11, v32, v88, s42
	;; [unrolled: 1-line block ×5, first 2 shown]
	s_barrier
	s_and_saveexec_b64 s[12:13], s[10:11]
	s_cbranch_execz .LBB9_51
; %bb.50:                               ;   in Loop: Header=BB9_12 Depth=1
	v_lshlrev_b32_e32 v4, 2, v66
	global_load_dword v5, v4, s[78:79]
	v_max_f32_e32 v4, v18, v18
	v_cvt_pk_f16_f32 v6, v6, v7
	v_cvt_pk_f16_f32 v7, v12, v13
	;; [unrolled: 1-line block ×5, first 2 shown]
	s_waitcnt vmcnt(0)
	v_max_f32_e32 v11, v5, v5
	v_max_f32_e32 v4, v4, v11
	v_sub_f32_e32 v11, v18, v4
	v_sub_f32_e32 v5, v5, v4
	v_mul_f32_e32 v13, 0x3fb8aa3b, v11
	v_mul_f32_e32 v14, 0x3fb8aa3b, v5
	v_fma_f32 v15, v11, s45, -v13
	v_rndne_f32_e32 v18, v13
	v_fma_f32 v23, v5, s45, -v14
	v_rndne_f32_e32 v24, v14
	v_fmac_f32_e32 v15, 0x32a5705f, v11
	v_sub_f32_e32 v13, v13, v18
	v_fmac_f32_e32 v23, 0x32a5705f, v5
	v_sub_f32_e32 v14, v14, v24
	v_add_f32_e32 v13, v13, v15
	v_cvt_i32_f32_e32 v18, v18
	v_add_f32_e32 v14, v14, v23
	v_exp_f32_e32 v13, v13
	v_cvt_i32_f32_e32 v24, v24
	v_exp_f32_e32 v14, v14
	v_cmp_ngt_f32_e64 s[10:11], s65, v11
	v_ldexp_f32 v8, v13, v18
	v_ldexp_f32 v9, v14, v24
	v_cndmask_b32_e64 v8, 0, v8, s[10:11]
	v_cmp_ngt_f32_e64 s[10:11], s65, v5
	s_nop 1
	v_cndmask_b32_e64 v9, 0, v9, s[10:11]
	v_cmp_nlt_f32_e64 s[10:11], s66, v11
	s_nop 1
	v_cndmask_b32_e64 v8, v141, v8, s[10:11]
	v_cmp_le_f32_e64 s[10:11], s67, v11
	s_nop 1
	v_cndmask_b32_e64 v8, 0, v8, s[10:11]
	v_cvt_f16_f32_e32 v11, v8
	v_cmp_nlt_f32_e64 s[10:11], s66, v5
	s_nop 1
	v_cndmask_b32_e64 v5, v141, v9, s[10:11]
	v_fmac_f32_e32 v5, v19, v8
	v_mul_u32_u24_e32 v8, 0x10001, v11
	v_pk_mul_f16 v23, v6, v8
	v_pk_mul_f16 v20, v20, v8
	;; [unrolled: 1-line block ×10, first 2 shown]
	v_mov_b64_e32 v[18:19], v[4:5]
.LBB9_51:                               ;   in Loop: Header=BB9_12 Depth=1
	s_or_b64 exec, exec, s[12:13]
	s_mov_b64 s[10:11], exec
	v_readlane_b32 s12, v164, 17
	v_readlane_b32 s13, v164, 18
	s_and_b64 s[12:13], s[10:11], s[12:13]
	s_mov_b64 exec, s[12:13]
; %bb.52:                               ;   in Loop: Header=BB9_12 Depth=1
	v_add_u32_e32 v2, 0, v110
	ds_write2_b32 v2, v18, v19 offset0:40 offset1:41
; %bb.53:                               ;   in Loop: Header=BB9_12 Depth=1
	s_or_b64 exec, exec, s[10:11]
	s_waitcnt lgkmcnt(0)
	s_barrier
	s_mov_b64 s[10:11], exec
	v_readlane_b32 s12, v164, 12
	v_readlane_b32 s13, v164, 13
	s_and_b64 s[12:13], s[10:11], s[12:13]
	s_xor_b64 s[10:11], s[12:13], s[10:11]
	s_mov_b64 exec, s[12:13]
	s_cbranch_execz .LBB9_55
; %bb.54:                               ;   in Loop: Header=BB9_12 Depth=1
	s_barrier
                                        ; implicit-def: $vgpr21
.LBB9_55:                               ;   in Loop: Header=BB9_12 Depth=1
	s_andn2_saveexec_b64 s[12:13], s[10:11]
	s_cbranch_execz .LBB9_61
; %bb.56:                               ;   in Loop: Header=BB9_12 Depth=1
	v_add_u32_e32 v3, 0, v112
	ds_read_b64 v[6:7], v3 offset:160
	s_waitcnt lgkmcnt(0)
	s_barrier
	ds_bpermute_b32 v2, v21, v6
	v_max_f32_e32 v4, v6, v6
	s_waitcnt lgkmcnt(0)
	v_max_f32_e32 v2, v2, v2
	v_max_f32_e32 v2, v4, v2
	v_sub_f32_e32 v4, v6, v2
	v_mul_f32_e32 v5, 0x3fb8aa3b, v4
	v_fma_f32 v6, v4, s45, -v5
	v_rndne_f32_e32 v8, v5
	v_fmac_f32_e32 v6, 0x32a5705f, v4
	v_sub_f32_e32 v5, v5, v8
	v_add_f32_e32 v5, v5, v6
	v_cvt_i32_f32_e32 v8, v8
	v_exp_f32_e32 v5, v5
	v_cmp_ngt_f32_e64 s[10:11], s65, v4
	v_ldexp_f32 v5, v5, v8
	s_nop 0
	v_cndmask_b32_e64 v5, 0, v5, s[10:11]
	v_cmp_nlt_f32_e64 s[10:11], s66, v4
	s_nop 1
	v_cndmask_b32_e64 v4, v141, v5, s[10:11]
	v_mul_f32_e32 v5, v7, v4
	ds_bpermute_b32 v5, v21, v5
	s_waitcnt lgkmcnt(0)
	v_fmac_f32_e32 v5, v7, v4
	s_mov_b64 s[10:11], exec
	v_readlane_b32 s86, v164, 19
	v_readlane_b32 s87, v164, 20
	s_and_b64 s[86:87], s[10:11], s[86:87]
	s_mov_b64 exec, s[86:87]
; %bb.57:                               ;   in Loop: Header=BB9_12 Depth=1
	ds_write_b64 v3, v[4:5] offset:160
; %bb.58:                               ;   in Loop: Header=BB9_12 Depth=1
	s_or_b64 exec, exec, s[10:11]
	s_mov_b64 s[10:11], exec
	v_readlane_b32 s86, v164, 17
	v_readlane_b32 s87, v164, 18
	s_and_b64 s[86:87], s[10:11], s[86:87]
	s_mov_b64 exec, s[86:87]
	s_cbranch_execz .LBB9_60
; %bb.59:                               ;   in Loop: Header=BB9_12 Depth=1
	v_mov_b32_e32 v3, v5
	global_store_dwordx2 v[38:39], v[2:3], off
.LBB9_60:                               ;   in Loop: Header=BB9_12 Depth=1
	s_or_b64 exec, exec, s[10:11]
.LBB9_61:                               ;   in Loop: Header=BB9_12 Depth=1
	s_or_b64 exec, exec, s[12:13]
	v_add_u32_e32 v2, v101, v113
	ds_write2_b32 v2, v23, v20 offset1:1
	ds_write2_b32 v2, v11, v22 offset0:8 offset1:9
	ds_write2_b32 v2, v24, v16 offset0:16 offset1:17
	;; [unrolled: 1-line block ×4, first 2 shown]
	s_waitcnt lgkmcnt(0)
	s_barrier
	s_and_saveexec_b64 s[86:87], s[0:1]
	s_cbranch_execz .LBB9_106
; %bb.62:                               ;   in Loop: Header=BB9_12 Depth=1
	v_add_u32_e32 v3, s6, v136
	v_or_b32_e32 v2, s69, v64
	v_cmp_gt_i32_e64 s[12:13], s36, v3
	v_cmp_gt_i32_e64 s[10:11], s3, v2
	s_and_b64 s[88:89], s[12:13], s[10:11]
	v_mov_b32_e32 v2, 0x47
	s_and_saveexec_b64 s[12:13], s[88:89]
	s_cbranch_execz .LBB9_64
; %bb.63:                               ;   in Loop: Header=BB9_12 Depth=1
	v_mad_u64_u32 v[2:3], s[88:89], v3, s37, v[64:65]
	v_add_u32_e32 v3, 0, v114
	v_add_u32_e32 v4, v133, v114
	;; [unrolled: 1-line block ×3, first 2 shown]
	ds_read2st64_b32 v[4:5], v4 offset1:11
	ds_read2st64_b32 v[6:7], v3 offset1:11
	v_mad_u64_u32 v[2:3], s[88:89], v2, 40, v[26:27]
	v_ashrrev_i32_e32 v3, 31, v2
	s_waitcnt lgkmcnt(1)
	v_cvt_f32_f16_e32 v8, v4
	v_cvt_f32_f16_sdwa v9, v4 dst_sel:DWORD dst_unused:UNUSED_PAD src0_sel:WORD_1
	v_cvt_f32_f16_e32 v4, v5
	v_cvt_f32_f16_sdwa v5, v5 dst_sel:DWORD dst_unused:UNUSED_PAD src0_sel:WORD_1
	v_lshl_add_u64 v[2:3], v[2:3], 3, s[76:77]
	s_waitcnt lgkmcnt(0)
	v_pk_fma_f32 v[8:9], v[6:7], v[8:9], 0 op_sel_hi:[0,1,0]
	v_mov_b32_e32 v6, v7
	v_pk_fma_f32 v[4:5], v[6:7], v[4:5], v[8:9] op_sel_hi:[0,1,1]
	global_store_dwordx2 v[2:3], v[4:5], off
	v_mov_b32_e32 v2, 0
.LBB9_64:                               ;   in Loop: Header=BB9_12 Depth=1
	s_or_b64 exec, exec, s[12:13]
	s_movk_i32 s7, 0x47
	v_cmp_gt_i32_e64 s[12:13], s7, v2
	s_mov_b64 s[90:91], -1
	s_and_saveexec_b64 s[88:89], s[12:13]
; %bb.65:                               ;   in Loop: Header=BB9_12 Depth=1
	v_cmp_eq_u32_e64 s[12:13], 0, v2
	s_orn2_b64 s[90:91], s[12:13], exec
; %bb.66:                               ;   in Loop: Header=BB9_12 Depth=1
	s_or_b64 exec, exec, s[88:89]
	s_and_saveexec_b64 s[88:89], s[90:91]
	s_cbranch_execz .LBB9_99
; %bb.67:                               ;   in Loop: Header=BB9_12 Depth=1
	v_add_u32_e32 v3, s6, v115
	v_cmp_gt_i32_e64 s[12:13], s36, v3
	s_and_b64 s[90:91], s[12:13], s[10:11]
	v_mov_b32_e32 v2, 0x47
	s_and_saveexec_b64 s[12:13], s[90:91]
	s_cbranch_execz .LBB9_69
; %bb.68:                               ;   in Loop: Header=BB9_12 Depth=1
	v_mad_u64_u32 v[2:3], s[90:91], v3, s37, v[64:65]
	v_add_u32_e32 v3, 0, v116
	v_add_u32_e32 v4, v133, v116
	v_add_u32_e32 v3, 0xa0, v3
	ds_read2st64_b32 v[4:5], v4 offset1:11
	ds_read2st64_b32 v[6:7], v3 offset1:11
	v_mad_u64_u32 v[2:3], s[90:91], v2, 40, v[26:27]
	v_ashrrev_i32_e32 v3, 31, v2
	s_waitcnt lgkmcnt(1)
	v_cvt_f32_f16_e32 v8, v4
	v_cvt_f32_f16_sdwa v9, v4 dst_sel:DWORD dst_unused:UNUSED_PAD src0_sel:WORD_1
	v_cvt_f32_f16_e32 v4, v5
	v_cvt_f32_f16_sdwa v5, v5 dst_sel:DWORD dst_unused:UNUSED_PAD src0_sel:WORD_1
	v_lshl_add_u64 v[2:3], v[2:3], 3, s[76:77]
	s_waitcnt lgkmcnt(0)
	v_pk_fma_f32 v[8:9], v[6:7], v[8:9], 0 op_sel_hi:[0,1,0]
	v_mov_b32_e32 v6, v7
	v_pk_fma_f32 v[4:5], v[6:7], v[4:5], v[8:9] op_sel_hi:[0,1,1]
	global_store_dwordx2 v[2:3], v[4:5], off
	v_mov_b32_e32 v2, 0
.LBB9_69:                               ;   in Loop: Header=BB9_12 Depth=1
	s_or_b64 exec, exec, s[12:13]
	v_cmp_gt_i32_e64 s[12:13], s7, v2
	s_mov_b64 s[90:91], -1
	s_and_saveexec_b64 s[92:93], s[12:13]
; %bb.70:                               ;   in Loop: Header=BB9_12 Depth=1
	v_cmp_eq_u32_e64 s[12:13], 0, v2
	s_orn2_b64 s[90:91], s[12:13], exec
; %bb.71:                               ;   in Loop: Header=BB9_12 Depth=1
	s_or_b64 exec, exec, s[92:93]
	s_and_b64 exec, exec, s[90:91]
	s_cbranch_execz .LBB9_99
; %bb.72:                               ;   in Loop: Header=BB9_12 Depth=1
	v_add_u32_e32 v3, s6, v117
	v_cmp_gt_i32_e64 s[12:13], s36, v3
	s_and_b64 s[90:91], s[12:13], s[10:11]
	v_mov_b32_e32 v2, 0x47
	s_and_saveexec_b64 s[12:13], s[90:91]
	s_cbranch_execz .LBB9_74
; %bb.73:                               ;   in Loop: Header=BB9_12 Depth=1
	v_mad_u64_u32 v[2:3], s[90:91], v3, s37, v[64:65]
	v_add_u32_e32 v3, 0, v118
	v_add_u32_e32 v4, v133, v118
	v_add_u32_e32 v3, 0xa0, v3
	ds_read2st64_b32 v[4:5], v4 offset1:11
	ds_read2st64_b32 v[6:7], v3 offset1:11
	v_mad_u64_u32 v[2:3], s[90:91], v2, 40, v[26:27]
	v_ashrrev_i32_e32 v3, 31, v2
	s_waitcnt lgkmcnt(1)
	v_cvt_f32_f16_e32 v8, v4
	v_cvt_f32_f16_sdwa v9, v4 dst_sel:DWORD dst_unused:UNUSED_PAD src0_sel:WORD_1
	v_cvt_f32_f16_e32 v4, v5
	v_cvt_f32_f16_sdwa v5, v5 dst_sel:DWORD dst_unused:UNUSED_PAD src0_sel:WORD_1
	v_lshl_add_u64 v[2:3], v[2:3], 3, s[76:77]
	s_waitcnt lgkmcnt(0)
	v_pk_fma_f32 v[8:9], v[6:7], v[8:9], 0 op_sel_hi:[0,1,0]
	v_mov_b32_e32 v6, v7
	v_pk_fma_f32 v[4:5], v[6:7], v[4:5], v[8:9] op_sel_hi:[0,1,1]
	global_store_dwordx2 v[2:3], v[4:5], off
	v_mov_b32_e32 v2, 0
.LBB9_74:                               ;   in Loop: Header=BB9_12 Depth=1
	s_or_b64 exec, exec, s[12:13]
	v_cmp_gt_i32_e64 s[12:13], s7, v2
	s_mov_b64 s[90:91], -1
	s_and_saveexec_b64 s[92:93], s[12:13]
; %bb.75:                               ;   in Loop: Header=BB9_12 Depth=1
	v_cmp_eq_u32_e64 s[12:13], 0, v2
	s_orn2_b64 s[90:91], s[12:13], exec
; %bb.76:                               ;   in Loop: Header=BB9_12 Depth=1
	s_or_b64 exec, exec, s[92:93]
	s_and_b64 exec, exec, s[90:91]
	;; [unrolled: 40-line block ×6, first 2 shown]
	s_cbranch_execz .LBB9_99
; %bb.97:                               ;   in Loop: Header=BB9_12 Depth=1
	v_add_u32_e32 v2, s6, v127
	v_cmp_gt_i32_e64 s[12:13], s36, v2
	s_and_b64 s[10:11], s[12:13], s[10:11]
	s_and_b64 exec, exec, s[10:11]
	s_cbranch_execz .LBB9_99
; %bb.98:                               ;   in Loop: Header=BB9_12 Depth=1
	v_mad_u64_u32 v[2:3], s[10:11], v2, s37, v[64:65]
	v_add_u32_e32 v3, 0, v128
	v_add_u32_e32 v4, v133, v128
	;; [unrolled: 1-line block ×3, first 2 shown]
	ds_read2st64_b32 v[4:5], v4 offset1:11
	ds_read2st64_b32 v[6:7], v3 offset1:11
	v_mad_u64_u32 v[2:3], s[10:11], v2, 40, v[26:27]
	v_ashrrev_i32_e32 v3, 31, v2
	s_waitcnt lgkmcnt(1)
	v_cvt_f32_f16_e32 v8, v4
	v_cvt_f32_f16_sdwa v9, v4 dst_sel:DWORD dst_unused:UNUSED_PAD src0_sel:WORD_1
	v_cvt_f32_f16_e32 v4, v5
	v_cvt_f32_f16_sdwa v5, v5 dst_sel:DWORD dst_unused:UNUSED_PAD src0_sel:WORD_1
	v_lshl_add_u64 v[2:3], v[2:3], 3, s[76:77]
	s_waitcnt lgkmcnt(0)
	v_pk_fma_f32 v[8:9], v[6:7], v[8:9], 0 op_sel_hi:[0,1,0]
	v_mov_b32_e32 v6, v7
	v_pk_fma_f32 v[4:5], v[6:7], v[4:5], v[8:9] op_sel_hi:[0,1,1]
	global_store_dwordx2 v[2:3], v[4:5], off
.LBB9_99:                               ;   in Loop: Header=BB9_12 Depth=1
	s_or_b64 exec, exec, s[88:89]
	v_add_u32_e32 v3, s6, v129
	v_cmp_gt_i32_e64 s[10:11], s36, v3
	s_and_b64 s[12:13], s[10:11], vcc
	v_mov_b32_e32 v2, 0x47
	s_and_saveexec_b64 s[10:11], s[12:13]
	s_cbranch_execz .LBB9_101
; %bb.100:                              ;   in Loop: Header=BB9_12 Depth=1
	v_mad_u64_u32 v[2:3], s[12:13], v3, s37, v[60:61]
	v_mul_lo_u32 v6, v2, 40
	v_add_u32_e32 v2, v106, v130
	v_add_u32_e32 v2, 0x80, v2
	ds_read2st64_b32 v[2:3], v2 offset1:11
	v_add_u32_e32 v4, 0, v130
	v_add_u32_e32 v4, 0xa0, v4
	ds_read2st64_b32 v[4:5], v4 offset1:11
	v_ashrrev_i32_e32 v7, 31, v6
	s_waitcnt lgkmcnt(1)
	v_cvt_f32_f16_e32 v8, v2
	v_cvt_f32_f16_sdwa v9, v2 dst_sel:DWORD dst_unused:UNUSED_PAD src0_sel:WORD_1
	v_cvt_f32_f16_e32 v2, v3
	v_cvt_f32_f16_sdwa v3, v3 dst_sel:DWORD dst_unused:UNUSED_PAD src0_sel:WORD_1
	v_or_b32_e32 v6, v6, v28
	s_waitcnt lgkmcnt(0)
	v_pk_fma_f32 v[8:9], v[4:5], v[8:9], 0 op_sel_hi:[0,1,0]
	v_mov_b32_e32 v4, v5
	v_lshl_add_u64 v[6:7], v[6:7], 3, s[76:77]
	v_pk_fma_f32 v[2:3], v[4:5], v[2:3], v[8:9] op_sel_hi:[0,1,1]
	global_store_dwordx2 v[6:7], v[2:3], off offset:256
	v_mov_b32_e32 v2, 0
.LBB9_101:                              ;   in Loop: Header=BB9_12 Depth=1
	s_or_b64 exec, exec, s[10:11]
	v_cmp_gt_i32_e64 s[10:11], s7, v2
	s_mov_b64 s[12:13], -1
	s_and_saveexec_b64 s[88:89], s[10:11]
; %bb.102:                              ;   in Loop: Header=BB9_12 Depth=1
	v_cmp_eq_u32_e64 s[10:11], 0, v2
	s_orn2_b64 s[12:13], s[10:11], exec
; %bb.103:                              ;   in Loop: Header=BB9_12 Depth=1
	s_or_b64 exec, exec, s[88:89]
	s_and_b64 exec, exec, s[12:13]
	s_cbranch_execz .LBB9_106
; %bb.104:                              ;   in Loop: Header=BB9_12 Depth=1
	v_add_u32_e32 v2, s6, v131
	v_cmp_gt_i32_e64 s[10:11], s36, v2
	s_and_b64 s[6:7], s[10:11], vcc
	s_and_b64 exec, exec, s[6:7]
	s_cbranch_execz .LBB9_106
; %bb.105:                              ;   in Loop: Header=BB9_12 Depth=1
	v_mad_u64_u32 v[2:3], s[6:7], v2, s37, v[60:61]
	v_mul_lo_u32 v6, v2, 40
	v_add_u32_e32 v2, v106, v132
	v_add_u32_e32 v2, 0x80, v2
	ds_read2st64_b32 v[2:3], v2 offset1:11
	v_add_u32_e32 v4, 0, v132
	v_add_u32_e32 v4, 0xa0, v4
	ds_read2st64_b32 v[4:5], v4 offset1:11
	v_ashrrev_i32_e32 v7, 31, v6
	s_waitcnt lgkmcnt(1)
	v_cvt_f32_f16_e32 v8, v2
	v_cvt_f32_f16_sdwa v9, v2 dst_sel:DWORD dst_unused:UNUSED_PAD src0_sel:WORD_1
	v_cvt_f32_f16_e32 v2, v3
	v_cvt_f32_f16_sdwa v3, v3 dst_sel:DWORD dst_unused:UNUSED_PAD src0_sel:WORD_1
	v_or_b32_e32 v6, v6, v28
	s_waitcnt lgkmcnt(0)
	v_pk_fma_f32 v[8:9], v[4:5], v[8:9], 0 op_sel_hi:[0,1,0]
	v_mov_b32_e32 v4, v5
	v_lshl_add_u64 v[6:7], v[6:7], 3, s[76:77]
	v_pk_fma_f32 v[2:3], v[4:5], v[2:3], v[8:9] op_sel_hi:[0,1,1]
	global_store_dwordx2 v[6:7], v[2:3], off offset:256
.LBB9_106:                              ;   in Loop: Header=BB9_12 Depth=1
	s_or_b64 exec, exec, s[86:87]
	s_barrier
	s_branch .LBB9_11
.LBB9_107:                              ;   in Loop: Header=BB9_12 Depth=1
	s_lshl_b32 s86, s44, 3
	v_add_u32_e32 v2, s86, v137
	v_cmp_le_i32_e64 s[10:11], s36, v2
	v_cmp_le_i32_e64 s[12:13], s3, v69
	v_cmp_gt_i32_e32 vcc, s3, v69
	s_or_b64 s[6:7], s[10:11], s[12:13]
	s_and_saveexec_b64 s[10:11], s[6:7]
	s_xor_b64 s[10:11], exec, s[10:11]
; %bb.108:                              ;   in Loop: Header=BB9_12 Depth=1
	v_add_u32_e32 v2, v133, v139
	ds_write_b32 v2, v33
                                        ; implicit-def: $vgpr2
; %bb.109:                              ;   in Loop: Header=BB9_12 Depth=1
	s_andn2_saveexec_b64 s[10:11], s[10:11]
	s_cbranch_execz .LBB9_111
; %bb.110:                              ;   in Loop: Header=BB9_12 Depth=1
	v_mad_u64_u32 v[2:3], s[6:7], v2, s57, v[68:69]
	v_ashrrev_i32_e32 v3, 31, v2
	v_lshl_add_u64 v[2:3], v[2:3], 3, s[82:83]
	global_load_dwordx2 v[2:3], v[2:3], off
	s_waitcnt vmcnt(0)
	v_cvt_pk_f16_f32 v2, v2, v3
	v_pk_mul_f16 v2, v2, v134
	v_add_u32_e32 v3, v133, v139
	ds_write_b32 v3, v2
.LBB9_111:                              ;   in Loop: Header=BB9_12 Depth=1
	s_or_b64 exec, exec, s[10:11]
	v_add_u32_e32 v2, s86, v107
	v_cmp_le_i32_e64 s[10:11], s36, v2
	s_xor_b64 s[12:13], vcc, -1
	s_or_b64 s[6:7], s[10:11], s[12:13]
	s_and_saveexec_b64 s[10:11], s[6:7]
	s_xor_b64 s[10:11], exec, s[10:11]
; %bb.112:                              ;   in Loop: Header=BB9_12 Depth=1
	v_add_u32_e32 v2, v133, v139
	ds_write_b32 v2, v33 offset:1408
                                        ; implicit-def: $vgpr2
; %bb.113:                              ;   in Loop: Header=BB9_12 Depth=1
	s_andn2_saveexec_b64 s[10:11], s[10:11]
	s_cbranch_execz .LBB9_115
; %bb.114:                              ;   in Loop: Header=BB9_12 Depth=1
	v_mad_u64_u32 v[2:3], s[6:7], v2, s57, v[68:69]
	v_ashrrev_i32_e32 v3, 31, v2
	v_lshl_add_u64 v[2:3], v[2:3], 3, s[82:83]
	global_load_dwordx2 v[2:3], v[2:3], off
	s_waitcnt vmcnt(0)
	v_cvt_pk_f16_f32 v2, v2, v3
	v_pk_mul_f16 v2, v2, v134
	v_add_u32_e32 v3, v133, v139
	ds_write_b32 v3, v2 offset:1408
.LBB9_115:                              ;   in Loop: Header=BB9_12 Depth=1
	s_or_b64 exec, exec, s[10:11]
	v_add_u32_e32 v2, s86, v108
	v_cmp_le_i32_e32 vcc, s36, v2
	s_or_b64 s[6:7], vcc, s[12:13]
	s_and_saveexec_b64 s[10:11], s[6:7]
	s_xor_b64 s[10:11], exec, s[10:11]
; %bb.116:                              ;   in Loop: Header=BB9_12 Depth=1
	v_add_u32_e32 v2, v133, v139
	ds_write_b32 v2, v33 offset:2816
                                        ; implicit-def: $vgpr2
; %bb.117:                              ;   in Loop: Header=BB9_12 Depth=1
	s_andn2_saveexec_b64 s[10:11], s[10:11]
	s_cbranch_execz .LBB9_119
; %bb.118:                              ;   in Loop: Header=BB9_12 Depth=1
	v_mad_u64_u32 v[2:3], s[6:7], v2, s57, v[68:69]
	v_ashrrev_i32_e32 v3, 31, v2
	v_lshl_add_u64 v[2:3], v[2:3], 3, s[82:83]
	global_load_dwordx2 v[2:3], v[2:3], off
	s_waitcnt vmcnt(0)
	v_cvt_pk_f16_f32 v2, v2, v3
	v_pk_mul_f16 v2, v2, v134
	v_add_u32_e32 v3, v133, v139
	ds_write_b32 v3, v2 offset:2816
.LBB9_119:                              ;   in Loop: Header=BB9_12 Depth=1
	s_or_b64 exec, exec, s[10:11]
	v_add_u32_e32 v2, s86, v109
	v_cmp_le_i32_e32 vcc, s36, v2
	s_or_b64 s[6:7], vcc, s[12:13]
	s_and_saveexec_b64 s[10:11], s[6:7]
	s_xor_b64 s[10:11], exec, s[10:11]
; %bb.120:                              ;   in Loop: Header=BB9_12 Depth=1
	v_add_u32_e32 v2, v133, v139
	ds_write_b32 v2, v33 offset:4224
                                        ; implicit-def: $vgpr2
; %bb.121:                              ;   in Loop: Header=BB9_12 Depth=1
	s_andn2_saveexec_b64 s[10:11], s[10:11]
	s_cbranch_execz .LBB9_123
; %bb.122:                              ;   in Loop: Header=BB9_12 Depth=1
	v_mad_u64_u32 v[2:3], s[6:7], v2, s57, v[68:69]
	v_ashrrev_i32_e32 v3, 31, v2
	v_lshl_add_u64 v[2:3], v[2:3], 3, s[82:83]
	global_load_dwordx2 v[2:3], v[2:3], off
	s_waitcnt vmcnt(0)
	v_cvt_pk_f16_f32 v2, v2, v3
	v_pk_mul_f16 v2, v2, v134
	v_add_u32_e32 v3, v133, v139
	ds_write_b32 v3, v2 offset:4224
.LBB9_123:                              ;   in Loop: Header=BB9_12 Depth=1
	s_or_b64 exec, exec, s[10:11]
	v_add_u32_e32 v2, s86, v105
	v_or_b32_e32 v3, s69, v60
	v_cmp_le_i32_e32 vcc, s36, v2
	v_cmp_le_i32_e64 s[12:13], s3, v3
	v_cmp_gt_i32_e64 s[10:11], s3, v3
	s_or_b64 s[6:7], vcc, s[12:13]
	s_and_saveexec_b64 s[12:13], s[6:7]
	s_xor_b64 s[12:13], exec, s[12:13]
; %bb.124:                              ;   in Loop: Header=BB9_12 Depth=1
	ds_write_b32 v99, v33 offset:128
                                        ; implicit-def: $vgpr2
; %bb.125:                              ;   in Loop: Header=BB9_12 Depth=1
	s_andn2_saveexec_b64 s[12:13], s[12:13]
	s_cbranch_execz .LBB9_127
; %bb.126:                              ;   in Loop: Header=BB9_12 Depth=1
	v_mad_u64_u32 v[2:3], s[6:7], v2, s57, v[62:63]
	v_ashrrev_i32_e32 v3, 31, v2
	v_lshl_add_u64 v[2:3], v[2:3], 3, s[82:83]
	global_load_dwordx2 v[2:3], v[2:3], off
	s_waitcnt vmcnt(0)
	v_cvt_pk_f16_f32 v2, v2, v3
	v_pk_mul_f16 v2, v2, v134
	ds_write_b32 v99, v2 offset:128
.LBB9_127:                              ;   in Loop: Header=BB9_12 Depth=1
	s_or_b64 exec, exec, s[12:13]
	s_waitcnt lgkmcnt(0)
	s_barrier
	ds_read2_b64 v[6:9], v61 offset1:4
	ds_read2_b64 v[2:5], v61 offset0:8 offset1:12
	ds_read_b64 v[78:79], v61 offset:128
	v_add_u32_e32 v10, s86, v31
	v_mul_hi_u32 v11, s46, v10
	v_add_u32_e32 v11, v10, v11
	v_lshrrev_b32_e32 v11, s47, v11
	v_mul_lo_u32 v11, v11, s36
	s_cmp_lt_i32 s2, 2
	v_sub_u32_e32 v32, v10, v11
	s_waitcnt lgkmcnt(0)
	s_barrier
	s_cbranch_scc1 .LBB9_134
; %bb.128:                              ;   in Loop: Header=BB9_12 Depth=1
	v_and_b32_e32 v10, 64, v140
	v_add_u32_e32 v10, 64, v10
	v_xor_b32_e32 v11, 32, v140
	v_cmp_lt_i32_e32 vcc, v11, v10
	v_readlane_b32 s6, v164, 30
	v_readlane_b32 s7, v164, 31
	v_cndmask_b32_e32 v11, v140, v11, vcc
	v_lshlrev_b32_e32 v142, 2, v11
	v_xor_b32_e32 v11, 16, v140
	v_cmp_lt_i32_e32 vcc, v11, v10
	s_add_i32 s2, s2, -1
	v_mov_b32_e32 v94, 0
	v_cndmask_b32_e32 v10, v140, v11, vcc
	v_lshlrev_b32_e32 v143, 2, v10
	v_mov_b64_e32 v[10:11], s[84:85]
	v_mad_i64_i32 v[10:11], s[6:7], s6, v32, v[10:11]
	s_add_u32 s6, s95, s96
	s_addc_u32 s7, s62, s97
	v_lshl_add_u64 v[82:83], v[54:55], 0, s[6:7]
	v_lshl_add_u64 v[84:85], v[70:71], 0, s[6:7]
	;; [unrolled: 1-line block ×3, first 2 shown]
	s_add_u32 s6, s53, s14
	s_addc_u32 s7, s64, s15
	v_lshl_add_u64 v[80:81], v[52:53], 0, v[10:11]
	v_lshl_add_u64 v[88:89], v[74:75], 0, s[6:7]
	;; [unrolled: 1-line block ×4, first 2 shown]
	v_mov_b32_e32 v12, 0xfeffffff
	v_mov_b32_e32 v144, 0
	s_mov_b32 s6, s2
	v_mov_b32_e32 v16, 0
	v_mov_b32_e32 v11, 0
	;; [unrolled: 1-line block ×9, first 2 shown]
	global_load_dword v13, v[80:81], off
	s_waitcnt vmcnt(0)
	ds_write_b32 v63, v13 offset:11264
	s_and_saveexec_b64 s[12:13], s[4:5]
	s_cbranch_execz .LBB9_130
.LBB9_129:                              ;   in Loop: Header=BB9_12 Depth=1
	global_load_dwordx4 v[146:149], v[92:93], off
	s_waitcnt vmcnt(0)
	ds_write_b128 v65, v[146:149]
.LBB9_130:                              ;   Parent Loop BB9_12 Depth=1
                                        ; =>  This Inner Loop Header: Depth=2
	s_or_b64 exec, exec, s[12:13]
	v_lshl_add_u64 v[24:25], v[88:89], 0, v[56:57]
	v_lshl_add_u64 v[150:151], v[90:91], 0, v[56:57]
	global_load_dwordx4 v[146:149], v[24:25], off
	s_nop 0
	global_load_dwordx4 v[150:153], v[150:151], off
	v_add_u32_e32 v13, v111, v102
	v_add_u32_e32 v17, 0x1000, v13
	s_waitcnt vmcnt(1)
	ds_write_b128 v100, v[146:149]
	s_waitcnt vmcnt(0)
	ds_write_b128 v135, v[150:153]
	s_waitcnt lgkmcnt(0)
	s_barrier
	ds_read2_b64 v[146:149], v13 offset1:4
	ds_read2_b64 v[154:157], v17 offset0:192 offset1:196
	s_waitcnt lgkmcnt(1)
	v_mfma_f32_16x16x16_f16 v[150:153], v[146:147], v[6:7], 0
	s_waitcnt lgkmcnt(0)
	v_mfma_f32_16x16x16_f16 v[158:161], v[154:155], v[6:7], 0
	v_mfma_f32_16x16x16_f16 v[146:149], v[148:149], v[8:9], v[150:153]
	s_nop 4
	ds_read2_b64 v[150:153], v13 offset0:8 offset1:12
	v_mfma_f32_16x16x16_f16 v[154:157], v[156:157], v[8:9], v[158:161]
	s_nop 2
	ds_read2_b64 v[158:161], v17 offset0:200 offset1:204
	s_waitcnt lgkmcnt(1)
	v_mfma_f32_16x16x16_f16 v[146:149], v[150:151], v[2:3], v[146:149]
	v_add_u32_e32 v17, 0x2c00, v67
	ds_read_b64 v[24:25], v13 offset:128
	ds_read_b64 v[162:163], v13 offset:5760
	s_waitcnt lgkmcnt(0)
	v_mfma_f32_16x16x16_f16 v[154:157], v[158:159], v[2:3], v[154:157]
	s_barrier
	ds_read2_b32 v[158:159], v17 offset1:1
	v_mfma_f32_16x16x16_f16 v[146:149], v[152:153], v[4:5], v[146:149]
	ds_read_b32 v13, v103 offset:11264
	ds_read_b32 v17, v104 offset:11264
	s_waitcnt lgkmcnt(2)
	v_cvt_f32_f16_e32 v18, v158
	v_mfma_f32_16x16x16_f16 v[150:153], v[160:161], v[4:5], v[154:157]
	v_cvt_f32_f16_sdwa v21, v158 dst_sel:DWORD dst_unused:UNUSED_PAD src0_sel:WORD_1
	v_cvt_f32_f16_e32 v69, v159
	v_cvt_f32_f16_sdwa v95, v159 dst_sel:DWORD dst_unused:UNUSED_PAD src0_sel:WORD_1
	v_mfma_f32_16x16x16_f16 v[146:149], v[24:25], v[78:79], v[146:149]
	s_waitcnt lgkmcnt(1)
	v_cvt_f32_f16_e32 v154, v13
	v_cvt_f32_f16_sdwa v13, v13 dst_sel:DWORD dst_unused:UNUSED_PAD src0_sel:WORD_1
	s_waitcnt lgkmcnt(0)
	v_cvt_f32_f16_e32 v155, v17
	v_mfma_f32_16x16x16_f16 v[150:153], v[162:163], v[78:79], v[150:153]
	v_cvt_f32_f16_sdwa v156, v17 dst_sel:DWORD dst_unused:UNUSED_PAD src0_sel:WORD_1
	s_nop 0
	v_add_f32_e32 v145, v146, v18
	v_add_f32_e32 v24, v147, v21
	;; [unrolled: 1-line block ×10, first 2 shown]
	v_max3_f32 v69, v12, v69, v146
	v_add_f32_e32 v17, v152, v155
	v_add_f32_e32 v13, v153, v156
	v_add_f32_e32 v149, 0x40051340, v21
	v_add_f32_e32 v150, 0x40051340, v18
	v_max3_f32 v69, v69, v147, v148
	v_add_f32_e32 v151, 0x40051340, v17
	v_max3_f32 v69, v69, v149, v150
	v_add_f32_e32 v146, 0x40051340, v13
	v_max3_f32 v69, v69, v151, v146
	ds_bpermute_b32 v146, v142, v69
	s_waitcnt lgkmcnt(0)
	v_max_f32_e32 v146, v146, v146
	v_max_f32_e32 v69, v69, v146
	ds_bpermute_b32 v146, v143, v69
	s_and_saveexec_b64 s[12:13], s[4:5]
	s_cbranch_execz .LBB9_132
; %bb.131:                              ;   in Loop: Header=BB9_130 Depth=2
	global_load_dwordx4 v[148:151], v[82:83], off
	s_waitcnt vmcnt(0)
	ds_write_b128 v65, v[148:151]
.LBB9_132:                              ;   in Loop: Header=BB9_130 Depth=2
	s_or_b64 exec, exec, s[12:13]
	s_waitcnt lgkmcnt(0)
	v_max_f32_e32 v146, v146, v146
	v_max_f32_e32 v69, v69, v69
	;; [unrolled: 1-line block ×3, first 2 shown]
	v_sub_f32_e32 v145, v145, v69
	v_mul_f32_e32 v146, 0x3fb8aa3b, v145
	v_fma_f32 v147, v145, s45, -v146
	v_rndne_f32_e32 v148, v146
	v_fmac_f32_e32 v147, 0x32a5705f, v145
	v_sub_f32_e32 v146, v146, v148
	v_add_f32_e32 v146, v146, v147
	v_exp_f32_e32 v146, v146
	v_cvt_i32_f32_e32 v147, v148
	v_cmp_ngt_f32_e32 vcc, s65, v145
	v_sub_f32_e32 v95, v95, v69
	v_sub_f32_e32 v21, v21, v69
	v_ldexp_f32 v146, v146, v147
	v_sub_f32_e32 v147, v24, v69
	v_mul_f32_e32 v24, 0x3fb8aa3b, v147
	v_fma_f32 v148, v147, s45, -v24
	v_rndne_f32_e32 v149, v24
	v_fmac_f32_e32 v148, 0x32a5705f, v147
	v_sub_f32_e32 v24, v24, v149
	v_add_f32_e32 v24, v24, v148
	v_exp_f32_e32 v148, v24
	v_cvt_i32_f32_e32 v149, v149
	v_cndmask_b32_e32 v24, 0, v146, vcc
	v_sub_f32_e32 v146, v25, v69
	v_mul_f32_e32 v25, 0x3fb8aa3b, v146
	v_cmp_nlt_f32_e32 vcc, s66, v145
	v_ldexp_f32 v145, v148, v149
	v_fma_f32 v148, v146, s45, -v25
	v_rndne_f32_e32 v149, v25
	v_fmac_f32_e32 v148, 0x32a5705f, v146
	v_sub_f32_e32 v25, v25, v149
	v_add_f32_e32 v25, v25, v148
	v_exp_f32_e32 v148, v25
	v_cvt_i32_f32_e32 v149, v149
	v_cndmask_b32_e32 v24, v141, v24, vcc
	v_cmp_ngt_f32_e32 vcc, s65, v147
	v_sub_f32_e32 v18, v18, v69
	v_sub_f32_e32 v17, v17, v69
	v_cndmask_b32_e32 v25, 0, v145, vcc
	v_cmp_nlt_f32_e32 vcc, s66, v147
	v_mul_f32_e32 v147, 0x3fb8aa3b, v95
	v_ldexp_f32 v145, v148, v149
	v_fma_f32 v148, v95, s45, -v147
	v_rndne_f32_e32 v149, v147
	v_fmac_f32_e32 v148, 0x32a5705f, v95
	v_sub_f32_e32 v147, v147, v149
	v_add_f32_e32 v147, v147, v148
	v_exp_f32_e32 v147, v147
	v_cvt_i32_f32_e32 v149, v149
	v_cndmask_b32_e32 v25, v141, v25, vcc
	v_cmp_ngt_f32_e32 vcc, s65, v146
	v_sub_f32_e32 v13, v13, v69
	v_sub_f32_e32 v12, v12, v69
	v_cndmask_b32_e32 v145, 0, v145, vcc
	v_cmp_nlt_f32_e32 vcc, s66, v146
	v_cmp_ngt_f32_e64 s[12:13], s65, v12
	s_add_i32 s6, s6, -1
	v_cndmask_b32_e32 v148, v141, v145, vcc
	v_ldexp_f32 v145, v147, v149
	v_lshl_add_u64 v[146:147], v[84:85], 0, v[56:57]
	global_load_dwordx4 v[150:153], v[146:147], off
	v_lshl_add_u64 v[146:147], v[86:87], 0, v[56:57]
	global_load_dwordx4 v[154:157], v[146:147], off
	v_mul_f32_e32 v149, 0x3fb8aa3b, v21
	v_fma_f32 v158, v21, s45, -v149
	v_rndne_f32_e32 v146, v149
	v_fmac_f32_e32 v158, 0x32a5705f, v21
	v_sub_f32_e32 v147, v149, v146
	v_add_f32_e32 v147, v147, v158
	v_exp_f32_e32 v147, v147
	v_cvt_i32_f32_e32 v146, v146
	v_cmp_ngt_f32_e32 vcc, s65, v95
	v_lshl_add_u64 v[80:81], v[80:81], 0, s[70:71]
	v_lshl_add_u64 v[82:83], v[82:83], 0, s[72:73]
	v_cndmask_b32_e32 v145, 0, v145, vcc
	v_cmp_nlt_f32_e32 vcc, s66, v95
	v_ldexp_f32 v95, v147, v146
	v_lshl_add_u64 v[84:85], v[84:85], 0, s[72:73]
	v_cndmask_b32_e32 v149, v141, v145, vcc
	v_mul_f32_e32 v145, 0x3fb8aa3b, v18
	v_fma_f32 v146, v18, s45, -v145
	v_rndne_f32_e32 v147, v145
	v_fmac_f32_e32 v146, 0x32a5705f, v18
	v_sub_f32_e32 v145, v145, v147
	v_add_f32_e32 v145, v145, v146
	v_exp_f32_e32 v145, v145
	v_cvt_i32_f32_e32 v146, v147
	v_cmp_ngt_f32_e32 vcc, s65, v21
	v_lshl_add_u64 v[86:87], v[86:87], 0, s[72:73]
	v_lshl_add_u64 v[88:89], v[88:89], 0, s[74:75]
	v_cndmask_b32_e32 v95, 0, v95, vcc
	v_cmp_nlt_f32_e32 vcc, s66, v21
	v_ldexp_f32 v21, v145, v146
	v_lshl_add_u64 v[90:91], v[90:91], 0, s[74:75]
	v_cndmask_b32_e32 v158, v141, v95, vcc
	v_mul_f32_e32 v95, 0x3fb8aa3b, v17
	v_fma_f32 v145, v17, s45, -v95
	v_rndne_f32_e32 v146, v95
	v_fmac_f32_e32 v145, 0x32a5705f, v17
	v_sub_f32_e32 v95, v95, v146
	v_add_f32_e32 v95, v95, v145
	v_exp_f32_e32 v95, v95
	v_cvt_i32_f32_e32 v145, v146
	v_cmp_ngt_f32_e32 vcc, s65, v18
	s_cmp_lg_u32 s6, 0
	v_lshl_add_u64 v[92:93], v[92:93], 0, s[74:75]
	v_cndmask_b32_e32 v21, 0, v21, vcc
	v_cmp_nlt_f32_e32 vcc, s66, v18
	v_ldexp_f32 v18, v95, v145
	s_waitcnt vmcnt(1)
	ds_write_b128 v100, v[150:153]
	s_waitcnt vmcnt(0)
	ds_write_b128 v135, v[154:157]
	v_cndmask_b32_e32 v159, v141, v21, vcc
	v_cmp_ngt_f32_e32 vcc, s65, v17
	s_waitcnt lgkmcnt(0)
	s_barrier
	v_cndmask_b32_e32 v18, 0, v18, vcc
	v_cmp_nlt_f32_e32 vcc, s66, v17
	v_mul_f32_e32 v17, 0x3fb8aa3b, v13
	v_fma_f32 v21, v13, s45, -v17
	v_rndne_f32_e32 v95, v17
	v_fmac_f32_e32 v21, 0x32a5705f, v13
	v_sub_f32_e32 v17, v17, v95
	v_add_f32_e32 v17, v17, v21
	v_cvt_i32_f32_e32 v21, v95
	v_mul_f32_e32 v95, 0x3fb8aa3b, v12
	v_fma_f32 v145, v12, s45, -v95
	v_rndne_f32_e32 v146, v95
	v_fmac_f32_e32 v145, 0x32a5705f, v12
	v_sub_f32_e32 v95, v95, v146
	v_add_f32_e32 v95, v95, v145
	v_exp_f32_e32 v95, v95
	v_cvt_i32_f32_e32 v146, v146
	v_cndmask_b32_e32 v145, v141, v18, vcc
	v_exp_f32_e32 v17, v17
	v_cmp_ngt_f32_e32 vcc, s65, v13
	v_ldexp_f32 v18, v95, v146
	v_cndmask_b32_e64 v18, 0, v18, s[12:13]
	v_cmp_nlt_f32_e64 s[12:13], s66, v12
	v_ldexp_f32 v17, v17, v21
	v_cndmask_b32_e32 v17, 0, v17, vcc
	v_cndmask_b32_e64 v18, v141, v18, s[12:13]
	v_cmp_le_f32_e64 s[12:13], s67, v12
	v_cmp_nlt_f32_e32 vcc, s66, v13
	s_nop 0
	v_cndmask_b32_e64 v146, 0, v18, s[12:13]
	v_cvt_f16_f32_e32 v12, v146
	v_cndmask_b32_e32 v147, v141, v17, vcc
	v_cvt_pk_f16_f32 v155, v148, v149
	v_cvt_pk_f16_f32 v154, v24, v25
	v_mul_u32_u24_e32 v160, 0x10001, v12
	v_pk_mul_f16 v18, v94, v160
	v_pk_mul_f16 v21, v16, v160
	ds_read_u16 v16, v96 offset:176
	ds_read_u16 v17, v97
	ds_read_u16 v94, v98
	;; [unrolled: 1-line block ×3, first 2 shown]
	v_pk_mul_f16 v11, v11, v160
	v_pk_mul_f16 v13, v10, v160
	v_cvt_f32_f16_e32 v10, v11
	s_waitcnt lgkmcnt(1)
	v_perm_b32 v17, v94, v17, s42
	s_waitcnt lgkmcnt(0)
	v_perm_b32 v16, v16, v95, s42
	v_cvt_f32_f16_sdwa v11, v11 dst_sel:DWORD dst_unused:UNUSED_PAD src0_sel:WORD_1
	v_cvt_f32_f16_e32 v12, v13
	v_cvt_f32_f16_sdwa v13, v13 dst_sel:DWORD dst_unused:UNUSED_PAD src0_sel:WORD_1
	ds_read_u16 v153, v97 offset:32
	ds_read_u16 v156, v98 offset:32
	v_mfma_f32_16x16x16_f16 v[10:13], v[16:17], v[154:155], v[10:13]
	ds_read_u16 v16, v96 offset:5632
	ds_read_u16 v17, v97 offset:5632
	;; [unrolled: 1-line block ×5, first 2 shown]
	v_cvt_f32_f16_e32 v150, v18
	s_nop 1
	v_cvt_f16_f32_e32 v10, v10
	v_cvt_f16_f32_e32 v11, v11
	;; [unrolled: 1-line block ×4, first 2 shown]
	s_waitcnt lgkmcnt(2)
	v_perm_b32 v17, v94, v17, s42
	s_waitcnt lgkmcnt(1)
	v_perm_b32 v16, v95, v16, s42
	v_cvt_f32_f16_e32 v10, v10
	v_cvt_f32_f16_e32 v11, v11
	;; [unrolled: 1-line block ×4, first 2 shown]
	v_cvt_pk_f16_f32 v95, v145, v147
	v_cvt_pk_f16_f32 v94, v158, v159
	v_cvt_f32_f16_sdwa v151, v18 dst_sel:DWORD dst_unused:UNUSED_PAD src0_sel:WORD_1
	v_cvt_f32_f16_e32 v152, v21
	v_mfma_f32_16x16x16_f16 v[10:13], v[16:17], v[94:95], v[10:13]
	ds_read_u16 v16, v96 offset:208
	v_perm_b32 v17, v156, v153, s42
	v_cvt_f32_f16_sdwa v153, v21 dst_sel:DWORD dst_unused:UNUSED_PAD src0_sel:WORD_1
	s_waitcnt lgkmcnt(0)
	v_perm_b32 v16, v16, v157, s42
	s_nop 1
	v_mfma_f32_16x16x16_f16 v[150:153], v[16:17], v[154:155], v[150:153]
	v_cvt_pk_f16_f32 v11, v10, v11
	v_cvt_pk_f16_f32 v10, v12, v13
	s_nop 5
	v_cvt_f16_f32_e32 v21, v153
	ds_read_u16 v153, v96 offset:5664
	ds_read_u16 v156, v97 offset:5664
	;; [unrolled: 1-line block ×4, first 2 shown]
	v_cvt_f16_f32_e32 v16, v150
	v_cvt_f16_f32_e32 v17, v151
	;; [unrolled: 1-line block ×3, first 2 shown]
	v_cvt_f32_f16_e32 v150, v16
	v_cvt_f32_f16_e32 v151, v17
	s_waitcnt lgkmcnt(1)
	v_perm_b32 v17, v157, v156, s42
	s_waitcnt lgkmcnt(0)
	v_perm_b32 v16, v161, v153, s42
	v_cvt_f32_f16_e32 v152, v18
	v_cvt_f32_f16_e32 v153, v21
	v_pk_mul_f16 v18, v15, v160
	v_pk_mul_f16 v21, v14, v160
	v_mfma_f32_16x16x16_f16 v[14:17], v[16:17], v[94:95], v[150:153]
	s_nop 2
	ds_read_u16 v153, v96 offset:64
	ds_read_u16 v156, v97 offset:64
	ds_read_u16 v157, v98 offset:64
	ds_read_u16 v161, v96 offset:240
	v_cvt_f32_f16_e32 v150, v18
	v_cvt_f32_f16_sdwa v151, v18 dst_sel:DWORD dst_unused:UNUSED_PAD src0_sel:WORD_1
	v_cvt_f32_f16_e32 v152, v21
	s_waitcnt lgkmcnt(1)
	v_perm_b32 v157, v157, v156, s42
	s_waitcnt lgkmcnt(0)
	v_perm_b32 v156, v161, v153, s42
	v_cvt_f32_f16_sdwa v153, v21 dst_sel:DWORD dst_unused:UNUSED_PAD src0_sel:WORD_1
	v_cvt_pk_f16_f32 v16, v16, v17
	s_nop 0
	v_mfma_f32_16x16x16_f16 v[150:153], v[156:157], v[154:155], v[150:153]
	ds_read_u16 v156, v96 offset:5696
	ds_read_u16 v157, v97 offset:5696
	;; [unrolled: 1-line block ×4, first 2 shown]
	s_nop 3
	v_cvt_f16_f32_e32 v18, v150
	v_cvt_f16_f32_e32 v21, v151
	;; [unrolled: 1-line block ×4, first 2 shown]
	s_waitcnt lgkmcnt(1)
	v_perm_b32 v157, v161, v157, s42
	s_waitcnt lgkmcnt(0)
	v_perm_b32 v156, v162, v156, s42
	v_cvt_f32_f16_e32 v150, v18
	v_cvt_f32_f16_e32 v151, v21
	;; [unrolled: 1-line block ×4, first 2 shown]
	v_pk_mul_f16 v161, v20, v160
	v_pk_mul_f16 v162, v19, v160
	v_mfma_f32_16x16x16_f16 v[18:21], v[156:157], v[94:95], v[150:153]
	s_nop 2
	ds_read_u16 v153, v96 offset:96
	ds_read_u16 v156, v97 offset:96
	;; [unrolled: 1-line block ×4, first 2 shown]
	v_cvt_f32_f16_e32 v150, v161
	v_cvt_f32_f16_sdwa v151, v161 dst_sel:DWORD dst_unused:UNUSED_PAD src0_sel:WORD_1
	v_cvt_f32_f16_e32 v152, v162
	s_waitcnt lgkmcnt(1)
	v_perm_b32 v157, v157, v156, s42
	s_waitcnt lgkmcnt(0)
	v_perm_b32 v156, v163, v153, s42
	v_cvt_f32_f16_sdwa v153, v162 dst_sel:DWORD dst_unused:UNUSED_PAD src0_sel:WORD_1
	v_add_f32_e32 v161, v24, v25
	v_add_f32_e32 v148, v148, v161
	v_mfma_f32_16x16x16_f16 v[150:153], v[156:157], v[154:155], v[150:153]
	ds_read_u16 v156, v96 offset:5728
	ds_read_u16 v157, v97 offset:5728
	;; [unrolled: 1-line block ×4, first 2 shown]
	v_add_f32_e32 v148, v149, v148
	v_add_f32_e32 v148, v158, v148
	s_nop 1
	v_cvt_f16_f32_e32 v24, v150
	v_cvt_f16_f32_e32 v25, v151
	;; [unrolled: 1-line block ×4, first 2 shown]
	v_cvt_f32_f16_e32 v150, v24
	v_cvt_f32_f16_e32 v151, v25
	s_waitcnt lgkmcnt(1)
	v_perm_b32 v25, v162, v157, s42
	s_waitcnt lgkmcnt(0)
	v_perm_b32 v24, v163, v156, s42
	v_cvt_f32_f16_e32 v152, v152
	v_cvt_f32_f16_e32 v153, v153
	v_pk_mul_f16 v156, v23, v160
	v_pk_mul_f16 v160, v22, v160
	v_mfma_f32_16x16x16_f16 v[22:25], v[24:25], v[94:95], v[150:153]
	s_nop 2
	ds_read_u16 v153, v96 offset:128
	ds_read_u16 v157, v97 offset:128
	;; [unrolled: 1-line block ×4, first 2 shown]
	v_cvt_f32_f16_e32 v150, v156
	v_cvt_f32_f16_sdwa v151, v156 dst_sel:DWORD dst_unused:UNUSED_PAD src0_sel:WORD_1
	v_cvt_f32_f16_e32 v152, v160
	s_waitcnt lgkmcnt(1)
	v_perm_b32 v157, v161, v157, s42
	s_waitcnt lgkmcnt(0)
	v_perm_b32 v156, v162, v153, s42
	v_cvt_f32_f16_sdwa v153, v160 dst_sel:DWORD dst_unused:UNUSED_PAD src0_sel:WORD_1
	v_add_f32_e32 v148, v159, v148
	v_add_f32_e32 v145, v145, v148
	v_mfma_f32_16x16x16_f16 v[152:155], v[156:157], v[154:155], v[150:153]
	s_nop 2
	ds_read_u16 v150, v96 offset:5760
	ds_read_u16 v157, v97 offset:5760
	;; [unrolled: 1-line block ×4, first 2 shown]
	v_add_f32_e32 v145, v147, v145
	v_fmac_f32_e32 v145, v144, v146
	v_cvt_f16_f32_e32 v151, v152
	v_cvt_f16_f32_e32 v152, v153
	v_cvt_f16_f32_e32 v153, v154
	v_cvt_f16_f32_e32 v149, v155
	v_cvt_f32_f16_e32 v154, v151
	s_waitcnt lgkmcnt(1)
	v_perm_b32 v151, v158, v157, s42
	s_waitcnt lgkmcnt(0)
	v_perm_b32 v150, v159, v150, s42
	v_cvt_f32_f16_e32 v155, v152
	v_cvt_f32_f16_e32 v156, v153
	;; [unrolled: 1-line block ×3, first 2 shown]
	s_barrier
	s_nop 0
	v_mfma_f32_16x16x16_f16 v[146:149], v[150:151], v[94:95], v[154:157]
	v_cvt_pk_f16_f32 v94, v14, v15
	v_cvt_pk_f16_f32 v15, v18, v19
	;; [unrolled: 1-line block ×5, first 2 shown]
	s_nop 2
	v_cvt_pk_f16_f32 v23, v146, v147
	v_cvt_pk_f16_f32 v22, v148, v149
	s_cbranch_scc0 .LBB9_135
; %bb.133:                              ;   in Loop: Header=BB9_130 Depth=2
	v_mov_b32_e32 v144, v145
	v_mov_b32_e32 v12, v69
	global_load_dword v13, v[80:81], off
	s_waitcnt vmcnt(0)
	ds_write_b32 v63, v13 offset:11264
	s_and_saveexec_b64 s[12:13], s[4:5]
	s_cbranch_execnz .LBB9_129
	s_branch .LBB9_130
.LBB9_134:                              ;   in Loop: Header=BB9_12 Depth=1
	v_mov_b32_e32 v69, 0xfeffffff
	v_mov_b32_e32 v145, 0
	s_mov_b64 s[12:13], 0
	v_mov_b32_e32 v22, 0
	v_mov_b32_e32 v23, 0
	;; [unrolled: 1-line block ×10, first 2 shown]
	s_branch .LBB9_136
.LBB9_135:                              ;   in Loop: Header=BB9_12 Depth=1
	s_lshl_b32 s62, s2, 6
	s_mov_b64 s[12:13], s[62:63]
.LBB9_136:                              ;   in Loop: Header=BB9_12 Depth=1
	v_readlane_b32 s6, v164, 28
	v_readlane_b32 s7, v164, 29
	s_mul_i32 s2, s12, s39
	v_mad_i64_i32 v[12:13], s[6:7], v32, s6, 0
	s_lshl_b64 s[6:7], s[12:13], 1
	s_add_u32 s6, s80, s6
	s_addc_u32 s7, s81, s7
	v_lshl_add_u64 v[12:13], v[12:13], 1, s[6:7]
	v_lshlrev_b32_e32 v32, 1, v30
	v_lshl_add_u64 v[12:13], v[12:13], 0, v[32:33]
	global_load_dword v12, v[12:13], off
	s_mul_hi_u32 s7, s12, s38
	s_mul_i32 s6, s12, s38
	s_add_i32 s7, s7, s2
	s_lshl_b64 s[6:7], s[6:7], 2
	s_add_u32 s80, s94, s6
	s_addc_u32 s81, s9, s7
	s_waitcnt vmcnt(0)
	ds_write_b32 v63, v12 offset:11264
	s_and_saveexec_b64 s[82:83], s[4:5]
	s_cbranch_execz .LBB9_138
; %bb.137:                              ;   in Loop: Header=BB9_12 Depth=1
	v_lshl_add_u64 v[12:13], v[44:45], 2, s[80:81]
	v_lshlrev_b32_e32 v32, 2, v36
	v_lshl_add_u64 v[12:13], v[12:13], 0, v[32:33]
	global_load_dwordx4 v[80:83], v[12:13], off offset:128
	s_waitcnt vmcnt(0)
	ds_write_b128 v65, v[80:83]
.LBB9_138:                              ;   in Loop: Header=BB9_12 Depth=1
	s_or_b64 exec, exec, s[82:83]
	v_lshl_add_u64 v[12:13], v[34:35], 2, s[80:81]
	v_lshlrev_b32_e32 v32, 2, v42
	v_lshl_add_u64 v[12:13], v[12:13], 0, v[32:33]
	v_lshl_add_u64 v[24:25], v[40:41], 2, s[80:81]
	;; [unrolled: 1-line block ×3, first 2 shown]
	global_load_dwordx4 v[80:83], v[12:13], off
	global_load_dwordx4 v[84:87], v[24:25], off
	v_add_u32_e32 v17, v111, v102
	v_add_u32_e32 v12, 0x1000, v17
	v_add_u32_e32 v18, 0x2c00, v67
	v_and_b32_e32 v13, 64, v140
	v_xor_b32_e32 v21, 32, v140
	v_xor_b32_e32 v25, 16, v140
	s_mul_i32 s2, s12, s35
	s_mul_hi_u32 s6, s12, s34
	s_add_i32 s7, s6, s2
	s_mul_i32 s6, s12, s34
	s_lshl_b64 s[6:7], s[6:7], 2
	s_add_u32 s12, s33, s6
	s_addc_u32 s13, s8, s7
	s_waitcnt vmcnt(1)
	ds_write_b128 v100, v[80:83]
	s_waitcnt vmcnt(0)
	ds_write_b128 v135, v[84:87]
	s_waitcnt lgkmcnt(0)
	s_barrier
	ds_read2_b64 v[80:83], v17 offset1:4
	ds_read2_b64 v[88:91], v12 offset0:192 offset1:196
	s_waitcnt lgkmcnt(1)
	v_mfma_f32_16x16x16_f16 v[84:87], v[80:81], v[6:7], 0
	ds_read2_b64 v[150:153], v17 offset0:8 offset1:12
	v_mfma_f32_16x16x16_f16 v[80:83], v[82:83], v[8:9], v[84:87]
	s_nop 5
	ds_read2_b64 v[84:87], v12 offset0:200 offset1:204
	s_waitcnt lgkmcnt(2)
	v_mfma_f32_16x16x16_f16 v[146:149], v[88:89], v[6:7], 0
	v_mfma_f32_16x16x16_f16 v[6:9], v[90:91], v[8:9], v[146:149]
	v_add_u32_e32 v90, 64, v13
	ds_read_b64 v[12:13], v17 offset:128
	ds_read_b64 v[88:89], v17 offset:5760
	s_waitcnt lgkmcnt(0)
	v_mfma_f32_16x16x16_f16 v[80:83], v[150:151], v[2:3], v[80:83]
	s_barrier
	v_cmp_lt_i32_e32 vcc, v21, v90
	v_mfma_f32_16x16x16_f16 v[6:9], v[84:85], v[2:3], v[6:9]
	ds_read2_b32 v[84:85], v18 offset1:1
	ds_read_b32 v17, v103 offset:11264
	ds_read_b32 v18, v104 offset:11264
	v_cndmask_b32_e32 v21, v140, v21, vcc
	v_mfma_f32_16x16x16_f16 v[80:83], v[152:153], v[4:5], v[80:83]
	v_lshlrev_b32_e32 v24, 2, v21
	s_waitcnt lgkmcnt(2)
	v_cvt_f32_f16_e32 v21, v84
	v_cvt_f32_f16_sdwa v91, v84 dst_sel:DWORD dst_unused:UNUSED_PAD src0_sel:WORD_1
	v_mfma_f32_16x16x16_f16 v[2:5], v[86:87], v[4:5], v[6:9]
	v_cvt_f32_f16_sdwa v92, v85 dst_sel:DWORD dst_unused:UNUSED_PAD src0_sel:WORD_1
	s_waitcnt lgkmcnt(1)
	v_cvt_f32_f16_e32 v93, v17
	v_cmp_lt_i32_e32 vcc, v25, v90
	v_mfma_f32_16x16x16_f16 v[80:83], v[12:13], v[78:79], v[80:83]
	v_cvt_f32_f16_e32 v6, v85
	v_cvt_f32_f16_sdwa v12, v17 dst_sel:DWORD dst_unused:UNUSED_PAD src0_sel:WORD_1
	s_waitcnt lgkmcnt(0)
	v_cvt_f32_f16_e32 v13, v18
	v_mfma_f32_16x16x16_f16 v[84:87], v[88:89], v[78:79], v[2:5]
	v_cvt_f32_f16_sdwa v17, v18 dst_sel:DWORD dst_unused:UNUSED_PAD src0_sel:WORD_1
	s_nop 1
	v_add_f32_e32 v9, v80, v21
	v_add_f32_e32 v8, v81, v91
	;; [unrolled: 1-line block ×4, first 2 shown]
	s_nop 0
	v_add_f32_e32 v4, v85, v12
	v_add_f32_e32 v3, v86, v13
	;; [unrolled: 1-line block ×8, first 2 shown]
	v_max3_f32 v12, v69, v12, v13
	v_add_f32_e32 v21, 0x40051340, v5
	v_add_f32_e32 v78, 0x40051340, v4
	v_max3_f32 v12, v12, v17, v18
	v_add_f32_e32 v79, 0x40051340, v3
	v_add_f32_e32 v80, 0x40051340, v2
	v_max3_f32 v12, v12, v21, v78
	v_max3_f32 v12, v12, v79, v80
	ds_bpermute_b32 v13, v24, v12
	v_cndmask_b32_e32 v17, v140, v25, vcc
	v_lshlrev_b32_e32 v21, 2, v17
	s_waitcnt lgkmcnt(0)
	v_max_f32_e32 v13, v13, v13
	v_max_f32_e32 v12, v12, v13
	ds_bpermute_b32 v13, v21, v12
	s_and_saveexec_b64 s[80:81], s[4:5]
	s_cbranch_execz .LBB9_140
; %bb.139:                              ;   in Loop: Header=BB9_12 Depth=1
	v_lshl_add_u64 v[78:79], v[46:47], 2, s[12:13]
	v_lshlrev_b32_e32 v80, 2, v36
	v_mov_b32_e32 v81, v33
	v_lshl_add_u64 v[78:79], v[78:79], 0, v[80:81]
	global_load_dwordx4 v[78:81], v[78:79], off offset:128
	s_waitcnt vmcnt(0)
	ds_write_b128 v65, v[78:81]
.LBB9_140:                              ;   in Loop: Header=BB9_12 Depth=1
	s_or_b64 exec, exec, s[80:81]
	s_waitcnt lgkmcnt(0)
	v_max_f32_e32 v13, v13, v13
	v_max_f32_e32 v12, v12, v12
	;; [unrolled: 1-line block ×3, first 2 shown]
	v_sub_f32_e32 v9, v9, v18
	v_mul_f32_e32 v12, 0x3fb8aa3b, v9
	v_fma_f32 v13, v9, s45, -v12
	v_rndne_f32_e32 v17, v12
	v_fmac_f32_e32 v13, 0x32a5705f, v9
	v_sub_f32_e32 v12, v12, v17
	v_add_f32_e32 v12, v12, v13
	v_exp_f32_e32 v12, v12
	v_cvt_i32_f32_e32 v13, v17
	v_sub_f32_e32 v8, v8, v18
	v_cmp_ngt_f32_e32 vcc, s65, v9
	v_sub_f32_e32 v7, v7, v18
	v_ldexp_f32 v12, v12, v13
	v_mul_f32_e32 v13, 0x3fb8aa3b, v8
	v_fma_f32 v17, v8, s45, -v13
	v_rndne_f32_e32 v25, v13
	v_fmac_f32_e32 v17, 0x32a5705f, v8
	v_sub_f32_e32 v13, v13, v25
	v_add_f32_e32 v13, v13, v17
	v_exp_f32_e32 v13, v13
	v_cvt_i32_f32_e32 v17, v25
	v_cndmask_b32_e32 v12, 0, v12, vcc
	v_cmp_nlt_f32_e32 vcc, s66, v9
	v_sub_f32_e32 v82, v6, v18
	v_ldexp_f32 v9, v13, v17
	v_cndmask_b32_e32 v25, v141, v12, vcc
	v_mul_f32_e32 v12, 0x3fb8aa3b, v7
	v_fma_f32 v13, v7, s45, -v12
	v_rndne_f32_e32 v17, v12
	v_fmac_f32_e32 v13, 0x32a5705f, v7
	v_sub_f32_e32 v12, v12, v17
	v_add_f32_e32 v12, v12, v13
	v_exp_f32_e32 v12, v12
	v_cvt_i32_f32_e32 v13, v17
	v_cmp_ngt_f32_e32 vcc, s65, v8
	v_mul_f32_e32 v6, 0x3fb8aa3b, v82
	v_sub_f32_e32 v5, v5, v18
	v_cndmask_b32_e32 v9, 0, v9, vcc
	v_cmp_nlt_f32_e32 vcc, s66, v8
	v_sub_f32_e32 v4, v4, v18
	v_sub_f32_e32 v3, v3, v18
	v_cndmask_b32_e32 v17, v141, v9, vcc
	v_ldexp_f32 v9, v12, v13
	v_fma_f32 v12, v82, s45, -v6
	v_rndne_f32_e32 v13, v6
	v_fmac_f32_e32 v12, 0x32a5705f, v82
	v_sub_f32_e32 v6, v6, v13
	v_add_f32_e32 v6, v6, v12
	v_exp_f32_e32 v6, v6
	v_cvt_i32_f32_e32 v12, v13
	v_cmp_ngt_f32_e32 vcc, s65, v7
	v_add_f32_e32 v8, v25, v17
	v_sub_f32_e32 v2, v2, v18
	v_cndmask_b32_e32 v9, 0, v9, vcc
	v_cmp_nlt_f32_e32 vcc, s66, v7
	v_ldexp_f32 v6, v6, v12
	v_sub_f32_e32 v69, v69, v18
	v_cndmask_b32_e32 v83, v141, v9, vcc
	v_cmp_ngt_f32_e32 vcc, s65, v82
	v_add_f32_e32 v84, v83, v8
	v_lshl_add_u64 v[8:9], v[48:49], 2, s[12:13]
	v_cndmask_b32_e32 v85, 0, v6, vcc
	v_mul_f32_e32 v6, 0x3fb8aa3b, v5
	v_fma_f32 v7, v5, s45, -v6
	v_rndne_f32_e32 v86, v6
	v_fmac_f32_e32 v7, 0x32a5705f, v5
	v_sub_f32_e32 v6, v6, v86
	v_add_f32_e32 v6, v6, v7
	v_exp_f32_e32 v87, v6
	v_lshl_add_u64 v[6:7], v[50:51], 2, s[12:13]
	v_lshl_add_u64 v[6:7], v[6:7], 0, v[32:33]
	;; [unrolled: 1-line block ×3, first 2 shown]
	global_load_dwordx4 v[6:9], v[6:7], off
	s_nop 0
	global_load_dwordx4 v[78:81], v[12:13], off
	v_cmp_nlt_f32_e32 vcc, s66, v82
	v_mul_f32_e32 v82, 0x3fb8aa3b, v4
	v_cvt_i32_f32_e32 v12, v86
	v_cndmask_b32_e32 v13, v141, v85, vcc
	v_add_f32_e32 v32, v13, v84
	v_fma_f32 v84, v4, s45, -v82
	v_rndne_f32_e32 v85, v82
	v_fmac_f32_e32 v84, 0x32a5705f, v4
	v_sub_f32_e32 v82, v82, v85
	v_add_f32_e32 v82, v82, v84
	v_exp_f32_e32 v82, v82
	v_cvt_i32_f32_e32 v84, v85
	v_ldexp_f32 v12, v87, v12
	v_cmp_ngt_f32_e32 vcc, s65, v5
	s_cmp_lg_u64 s[78:79], 0
	s_cselect_b64 s[6:7], -1, 0
	v_cndmask_b32_e32 v12, 0, v12, vcc
	v_cmp_nlt_f32_e32 vcc, s66, v5
	s_and_b64 s[6:7], s[0:1], s[6:7]
	s_waitcnt vmcnt(1)
	ds_write_b128 v100, v[6:9]
	s_waitcnt vmcnt(0)
	ds_write_b128 v135, v[78:81]
	v_cndmask_b32_e32 v12, v141, v12, vcc
	v_add_f32_e32 v5, v12, v32
	v_ldexp_f32 v32, v82, v84
	v_mul_f32_e32 v82, 0x3fb8aa3b, v3
	v_fma_f32 v84, v3, s45, -v82
	v_rndne_f32_e32 v85, v82
	v_fmac_f32_e32 v84, 0x32a5705f, v3
	v_sub_f32_e32 v82, v82, v85
	v_add_f32_e32 v82, v82, v84
	v_exp_f32_e32 v82, v82
	v_cvt_i32_f32_e32 v84, v85
	v_cmp_ngt_f32_e32 vcc, s65, v4
	s_waitcnt lgkmcnt(0)
	s_barrier
	v_cndmask_b32_e32 v32, 0, v32, vcc
	v_cmp_nlt_f32_e32 vcc, s66, v4
	v_cvt_pk_f16_f32 v79, v83, v13
	s_nop 0
	v_cndmask_b32_e32 v32, v141, v32, vcc
	v_add_f32_e32 v4, v32, v5
	v_ldexp_f32 v5, v82, v84
	v_cmp_ngt_f32_e32 vcc, s65, v3
	v_cvt_pk_f16_f32 v78, v25, v17
	v_cvt_pk_f16_f32 v80, v12, v32
	v_cndmask_b32_e32 v5, 0, v5, vcc
	v_cmp_nlt_f32_e32 vcc, s66, v3
	s_nop 1
	v_cndmask_b32_e32 v82, v141, v5, vcc
	v_add_f32_e32 v3, v82, v4
	v_mul_f32_e32 v4, 0x3fb8aa3b, v2
	v_fma_f32 v5, v2, s45, -v4
	v_rndne_f32_e32 v84, v4
	v_fmac_f32_e32 v5, 0x32a5705f, v2
	v_sub_f32_e32 v4, v4, v84
	v_add_f32_e32 v4, v4, v5
	v_cvt_i32_f32_e32 v5, v84
	v_mul_f32_e32 v84, 0x3fb8aa3b, v69
	v_fma_f32 v85, v69, s45, -v84
	v_rndne_f32_e32 v86, v84
	v_fmac_f32_e32 v85, 0x32a5705f, v69
	v_sub_f32_e32 v84, v84, v86
	v_exp_f32_e32 v4, v4
	v_add_f32_e32 v84, v84, v85
	v_exp_f32_e32 v84, v84
	v_cvt_i32_f32_e32 v85, v86
	v_ldexp_f32 v4, v4, v5
	v_cmp_ngt_f32_e32 vcc, s65, v2
	v_ldexp_f32 v5, v84, v85
	s_nop 0
	v_cndmask_b32_e32 v4, 0, v4, vcc
	v_cmp_ngt_f32_e32 vcc, s65, v69
	s_nop 1
	v_cndmask_b32_e32 v5, 0, v5, vcc
	v_cmp_nlt_f32_e32 vcc, s66, v69
	s_nop 1
	v_cndmask_b32_e32 v5, v141, v5, vcc
	v_cmp_le_f32_e32 vcc, s67, v69
	s_nop 1
	v_cndmask_b32_e32 v5, 0, v5, vcc
	v_cvt_f16_f32_e32 v69, v5
	v_cmp_nlt_f32_e32 vcc, s66, v2
	v_mul_u32_u24_e32 v69, 0x10001, v69
	s_nop 0
	v_cndmask_b32_e32 v84, v141, v4, vcc
	v_add_f32_e32 v85, v84, v3
	v_pk_mul_f16 v3, v11, v69
	ds_read_u16 v6, v98
	ds_read_u16 v7, v97
	ds_read_u16 v9, v97 offset:32
	ds_read_u16 v86, v96 offset:5840
	;; [unrolled: 1-line block ×9, first 2 shown]
	v_fmac_f32_e32 v85, v145, v5
	v_pk_mul_f16 v5, v10, v69
	v_pk_mul_f16 v10, v94, v69
	s_waitcnt lgkmcnt(9)
	v_perm_b32 v7, v6, v7, s42
	ds_read_u16 v6, v96 offset:176
	ds_read_u16 v8, v96
	ds_read_u16 v93, v96 offset:32
	ds_read_u16 v94, v96 offset:208
	;; [unrolled: 1-line block ×6, first 2 shown]
	s_waitcnt lgkmcnt(6)
	v_perm_b32 v6, v6, v8, s42
	v_cvt_f32_f16_e32 v2, v3
	v_cvt_f32_f16_sdwa v3, v3 dst_sel:DWORD dst_unused:UNUSED_PAD src0_sel:WORD_1
	v_cvt_f32_f16_e32 v4, v5
	v_cvt_f32_f16_sdwa v5, v5 dst_sel:DWORD dst_unused:UNUSED_PAD src0_sel:WORD_1
	v_cvt_pk_f16_f32 v81, v82, v84
	v_pk_mul_f16 v16, v16, v69
	v_mfma_f32_16x16x16_f16 v[2:5], v[6:7], v[78:79], v[2:5]
	ds_read_u16 v6, v97 offset:5632
	ds_read_u16 v13, v97 offset:5664
	;; [unrolled: 1-line block ×13, first 2 shown]
	s_waitcnt lgkmcnt(7)
	v_perm_b32 v7, v7, v6, s42
	ds_read_u16 v6, v96 offset:5632
	ds_read_u16 v8, v96 offset:5808
	;; [unrolled: 1-line block ×8, first 2 shown]
	v_cvt_f16_f32_e32 v2, v2
	v_cvt_f16_f32_e32 v3, v3
	;; [unrolled: 1-line block ×4, first 2 shown]
	s_waitcnt lgkmcnt(6)
	v_perm_b32 v6, v8, v6, s42
	v_cvt_f32_f16_e32 v2, v2
	v_cvt_f32_f16_e32 v3, v3
	v_cvt_f32_f16_e32 v4, v4
	v_cvt_f32_f16_e32 v5, v5
	v_perm_b32 v11, v11, v9, s42
	v_cvt_f32_f16_e32 v8, v16
	v_mfma_f32_16x16x16_f16 v[2:5], v[6:7], v[80:81], v[2:5]
	v_cvt_f32_f16_e32 v6, v10
	v_cvt_f32_f16_sdwa v7, v10 dst_sel:DWORD dst_unused:UNUSED_PAD src0_sel:WORD_1
	v_perm_b32 v10, v94, v93, s42
	v_cvt_f32_f16_sdwa v9, v16 dst_sel:DWORD dst_unused:UNUSED_PAD src0_sel:WORD_1
	v_pk_mul_f16 v15, v15, v69
	v_pk_mul_f16 v14, v14, v69
	v_mfma_f32_16x16x16_f16 v[6:9], v[10:11], v[78:79], v[6:9]
	v_perm_b32 v11, v145, v13, s42
	s_waitcnt lgkmcnt(5)
	v_perm_b32 v10, v86, v152, s42
	v_perm_b32 v13, v146, v87, s42
	;; [unrolled: 1-line block ×3, first 2 shown]
	s_nop 2
	v_cvt_f16_f32_e32 v6, v6
	v_cvt_f16_f32_e32 v7, v7
	;; [unrolled: 1-line block ×4, first 2 shown]
	v_cvt_f32_f16_e32 v6, v6
	v_cvt_f32_f16_e32 v7, v7
	;; [unrolled: 1-line block ×4, first 2 shown]
	v_pk_mul_f16 v32, v20, v69
	v_cvt_f16_f32_e32 v16, v4
	v_cvt_f16_f32_e32 v20, v5
	v_mfma_f32_16x16x16_f16 v[8:11], v[10:11], v[80:81], v[6:9]
	v_cvt_f32_f16_e32 v4, v15
	v_cvt_f32_f16_sdwa v5, v15 dst_sel:DWORD dst_unused:UNUSED_PAD src0_sel:WORD_1
	v_pk_mul_f16 v19, v19, v69
	v_cvt_f32_f16_e32 v6, v14
	v_cvt_f32_f16_sdwa v7, v14 dst_sel:DWORD dst_unused:UNUSED_PAD src0_sel:WORD_1
	v_pk_mul_f16 v23, v23, v69
	v_pk_mul_f16 v69, v22, v69
	v_mfma_f32_16x16x16_f16 v[4:7], v[12:13], v[78:79], v[4:7]
	v_perm_b32 v13, v147, v17, s42
	s_waitcnt lgkmcnt(4)
	v_perm_b32 v12, v88, v153, s42
	v_cvt_f16_f32_e32 v22, v10
	v_cvt_f16_f32_e32 v82, v11
	s_nop 2
	v_cvt_f16_f32_e32 v4, v4
	v_cvt_f16_f32_e32 v5, v5
	;; [unrolled: 1-line block ×4, first 2 shown]
	v_cvt_f32_f16_e32 v4, v4
	v_cvt_f32_f16_e32 v5, v5
	;; [unrolled: 1-line block ×4, first 2 shown]
	v_perm_b32 v11, v148, v89, s42
	s_waitcnt lgkmcnt(3)
	v_perm_b32 v10, v154, v143, s42
	v_perm_b32 v20, v20, v16, s42
	v_mfma_f32_16x16x16_f16 v[14:17], v[12:13], v[80:81], v[4:7]
	v_perm_b32 v22, v82, v22, s42
	v_perm_b32 v83, v151, v83, s42
	s_waitcnt lgkmcnt(0)
	v_perm_b32 v82, v157, v144, s42
	v_cvt_f32_f16_e32 v4, v32
	v_cvt_f32_f16_sdwa v5, v32 dst_sel:DWORD dst_unused:UNUSED_PAD src0_sel:WORD_1
	v_cvt_f32_f16_e32 v6, v19
	v_cvt_f32_f16_sdwa v7, v19 dst_sel:DWORD dst_unused:UNUSED_PAD src0_sel:WORD_1
	;; [unrolled: 2-line block ×3, first 2 shown]
	v_mfma_f32_16x16x16_f16 v[4:7], v[10:11], v[78:79], v[4:7]
	v_perm_b32 v11, v149, v25, s42
	v_perm_b32 v10, v90, v155, s42
	v_cvt_f16_f32_e32 v16, v16
	v_cvt_f16_f32_e32 v17, v17
	s_nop 3
	v_cvt_f16_f32_e32 v4, v4
	v_cvt_f16_f32_e32 v5, v5
	;; [unrolled: 1-line block ×4, first 2 shown]
	v_cvt_f32_f16_e32 v4, v4
	v_cvt_f32_f16_e32 v5, v5
	v_cvt_f32_f16_e32 v6, v6
	v_cvt_f32_f16_e32 v7, v7
	v_perm_b32 v16, v17, v16, s42
	v_cvt_f16_f32_e32 v84, v2
	v_mfma_f32_16x16x16_f16 v[4:7], v[10:11], v[80:81], v[4:7]
	v_cvt_f32_f16_e32 v10, v23
	v_cvt_f32_f16_sdwa v11, v23 dst_sel:DWORD dst_unused:UNUSED_PAD src0_sel:WORD_1
	v_cvt_f16_f32_e32 v86, v3
	v_cvt_f16_f32_e32 v87, v8
	v_mfma_f32_16x16x16_f16 v[10:13], v[82:83], v[78:79], v[10:13]
	s_nop 2
	v_cvt_f16_f32_e32 v6, v6
	v_cvt_f16_f32_e32 v7, v7
	v_perm_b32 v79, v150, v92, s42
	v_perm_b32 v78, v91, v156, s42
	s_nop 0
	v_cvt_f16_f32_e32 v10, v10
	v_cvt_f16_f32_e32 v11, v11
	;; [unrolled: 1-line block ×4, first 2 shown]
	v_cvt_f32_f16_e32 v10, v10
	v_cvt_f32_f16_e32 v11, v11
	v_cvt_f32_f16_e32 v12, v12
	v_cvt_f32_f16_e32 v13, v13
	v_perm_b32 v6, v7, v6, s42
	ds_bpermute_b32 v7, v24, v85
	v_mfma_f32_16x16x16_f16 v[10:13], v[78:79], v[80:81], v[10:13]
	v_cvt_f16_f32_e32 v32, v9
	v_cvt_f16_f32_e32 v88, v14
	s_waitcnt lgkmcnt(0)
	v_add_f32_e32 v17, v85, v7
	ds_bpermute_b32 v19, v21, v17
	v_cvt_f16_f32_e32 v25, v15
	v_cvt_f16_f32_e32 v23, v4
	v_cvt_f16_f32_e32 v69, v5
	v_cvt_f16_f32_e32 v24, v10
	v_cvt_f16_f32_e32 v12, v12
	v_cvt_f16_f32_e32 v13, v13
	v_cvt_f16_f32_e32 v78, v11
	s_waitcnt lgkmcnt(0)
	v_add_f32_e32 v19, v17, v19
	v_perm_b32 v17, v25, v88, s42
	v_perm_b32 v7, v13, v12, s42
	v_perm_b32 v12, v32, v87, s42
	v_perm_b32 v13, v86, v84, s42
	v_perm_b32 v23, v69, v23, s42
	v_perm_b32 v24, v78, v24, s42
	s_barrier
	s_and_saveexec_b64 s[12:13], s[6:7]
	s_cbranch_execz .LBB9_142
; %bb.141:                              ;   in Loop: Header=BB9_12 Depth=1
	v_lshlrev_b32_e32 v12, 2, v66
	global_load_dword v12, v12, s[78:79]
	v_cvt_pk_f16_f32 v13, v2, v3
	v_max_f32_e32 v2, v18, v18
	v_cvt_pk_f16_f32 v8, v8, v9
	v_cvt_pk_f16_f32 v9, v14, v15
	;; [unrolled: 1-line block ×4, first 2 shown]
	s_waitcnt vmcnt(0)
	v_max_f32_e32 v3, v12, v12
	v_max_f32_e32 v2, v2, v3
	v_sub_f32_e32 v3, v18, v2
	v_sub_f32_e32 v12, v12, v2
	v_mul_f32_e32 v14, 0x3fb8aa3b, v3
	v_mul_f32_e32 v15, 0x3fb8aa3b, v12
	v_fma_f32 v17, v3, s45, -v14
	v_rndne_f32_e32 v18, v14
	v_fma_f32 v23, v12, s45, -v15
	v_rndne_f32_e32 v24, v15
	v_fmac_f32_e32 v17, 0x32a5705f, v3
	v_sub_f32_e32 v14, v14, v18
	v_fmac_f32_e32 v23, 0x32a5705f, v12
	v_sub_f32_e32 v15, v15, v24
	v_add_f32_e32 v14, v14, v17
	v_cvt_i32_f32_e32 v18, v18
	v_add_f32_e32 v15, v15, v23
	v_exp_f32_e32 v14, v14
	v_cvt_i32_f32_e32 v24, v24
	v_exp_f32_e32 v15, v15
	v_cmp_ngt_f32_e32 vcc, s65, v3
	v_ldexp_f32 v10, v14, v18
	v_ldexp_f32 v11, v15, v24
	v_cndmask_b32_e32 v10, 0, v10, vcc
	v_cmp_ngt_f32_e32 vcc, s65, v12
	s_nop 1
	v_cndmask_b32_e32 v11, 0, v11, vcc
	v_cmp_nlt_f32_e32 vcc, s66, v3
	s_nop 1
	v_cndmask_b32_e32 v10, v141, v10, vcc
	v_cmp_le_f32_e32 vcc, s67, v3
	s_nop 1
	v_cndmask_b32_e32 v10, 0, v10, vcc
	v_cvt_f16_f32_e32 v14, v10
	v_cmp_nlt_f32_e32 vcc, s66, v12
	s_nop 1
	v_cndmask_b32_e32 v3, v141, v11, vcc
	v_fmac_f32_e32 v3, v19, v10
	v_mul_u32_u24_e32 v10, 0x10001, v14
	v_pk_mul_f16 v13, v13, v10
	v_pk_mul_f16 v20, v20, v10
	;; [unrolled: 1-line block ×10, first 2 shown]
	v_mov_b64_e32 v[18:19], v[2:3]
.LBB9_142:                              ;   in Loop: Header=BB9_12 Depth=1
	s_or_b64 exec, exec, s[12:13]
	s_mov_b64 s[12:13], exec
	v_readlane_b32 s6, v164, 17
	v_readlane_b32 s7, v164, 18
	s_and_b64 s[6:7], s[12:13], s[6:7]
	s_mov_b64 exec, s[6:7]
; %bb.143:                              ;   in Loop: Header=BB9_12 Depth=1
	v_add_u32_e32 v2, 0, v110
	ds_write2_b32 v2, v18, v19 offset0:40 offset1:41
; %bb.144:                              ;   in Loop: Header=BB9_12 Depth=1
	s_or_b64 exec, exec, s[12:13]
	s_waitcnt lgkmcnt(0)
	s_barrier
	s_mov_b64 s[6:7], exec
	v_readlane_b32 s8, v164, 12
	v_readlane_b32 s9, v164, 13
	s_and_b64 s[8:9], s[6:7], s[8:9]
	s_xor_b64 s[12:13], s[8:9], s[6:7]
	s_mov_b64 exec, s[8:9]
	s_cbranch_execz .LBB9_146
; %bb.145:                              ;   in Loop: Header=BB9_12 Depth=1
	s_barrier
                                        ; implicit-def: $vgpr21
.LBB9_146:                              ;   in Loop: Header=BB9_12 Depth=1
	s_andn2_saveexec_b64 s[12:13], s[12:13]
	s_cbranch_execz .LBB9_150
; %bb.147:                              ;   in Loop: Header=BB9_12 Depth=1
	v_add_u32_e32 v4, 0, v112
	ds_read_b64 v[2:3], v4 offset:160
	s_waitcnt lgkmcnt(0)
	s_barrier
	ds_bpermute_b32 v5, v21, v2
	v_max_f32_e32 v8, v2, v2
	s_waitcnt lgkmcnt(0)
	v_max_f32_e32 v5, v5, v5
	v_max_f32_e32 v5, v8, v5
	v_sub_f32_e32 v2, v2, v5
	v_mul_f32_e32 v5, 0x3fb8aa3b, v2
	v_fma_f32 v8, v2, s45, -v5
	v_rndne_f32_e32 v9, v5
	v_fmac_f32_e32 v8, 0x32a5705f, v2
	v_sub_f32_e32 v5, v5, v9
	v_add_f32_e32 v5, v5, v8
	v_cvt_i32_f32_e32 v9, v9
	v_exp_f32_e32 v5, v5
	v_cmp_ngt_f32_e32 vcc, s65, v2
	v_ldexp_f32 v5, v5, v9
	s_nop 0
	v_cndmask_b32_e32 v5, 0, v5, vcc
	v_cmp_nlt_f32_e32 vcc, s66, v2
	s_nop 1
	v_cndmask_b32_e32 v2, v141, v5, vcc
	v_mul_f32_e32 v3, v3, v2
	ds_bpermute_b32 v5, v21, v3
	s_mov_b64 s[78:79], exec
	v_readlane_b32 s6, v164, 19
	v_readlane_b32 s7, v164, 20
	s_and_b64 s[6:7], s[78:79], s[6:7]
	s_mov_b64 exec, s[6:7]
	s_cbranch_execz .LBB9_149
; %bb.148:                              ;   in Loop: Header=BB9_12 Depth=1
	s_waitcnt lgkmcnt(0)
	v_add_f32_e32 v3, v3, v5
	ds_write_b64 v4, v[2:3] offset:160
.LBB9_149:                              ;   in Loop: Header=BB9_12 Depth=1
	s_or_b64 exec, exec, s[78:79]
.LBB9_150:                              ;   in Loop: Header=BB9_12 Depth=1
	s_or_b64 exec, exec, s[12:13]
	v_add_u32_e32 v2, v101, v113
	ds_write2_b32 v2, v13, v20 offset1:1
	ds_write2_b32 v2, v12, v22 offset0:8 offset1:9
	ds_write2_b32 v2, v17, v16 offset0:16 offset1:17
	;; [unrolled: 1-line block ×4, first 2 shown]
	s_waitcnt lgkmcnt(0)
	s_barrier
	s_and_saveexec_b64 s[78:79], s[0:1]
	s_cbranch_execz .LBB9_10
; %bb.151:                              ;   in Loop: Header=BB9_12 Depth=1
	v_add_u32_e32 v2, s86, v136
	v_or_b32_e32 v3, s69, v64
	v_cmp_gt_i32_e32 vcc, s36, v2
	v_cmp_gt_i32_e64 s[12:13], s3, v3
	s_and_b64 s[6:7], vcc, s[12:13]
	v_mov_b32_e32 v3, 0x47
	s_and_saveexec_b64 s[80:81], s[6:7]
	s_cbranch_execz .LBB9_153
; %bb.152:                              ;   in Loop: Header=BB9_12 Depth=1
	v_add_u32_e32 v3, v133, v114
	ds_read2st64_b32 v[4:5], v3 offset1:11
	v_add_u32_e32 v3, 0, v114
	ds_read2_b32 v[6:7], v3 offset0:40 offset1:41
	ds_read_b32 v8, v3 offset:2976
	v_mad_u64_u32 v[2:3], s[6:7], v2, s37, v[64:65]
	s_waitcnt lgkmcnt(2)
	v_cvt_f32_f16_e32 v10, v4
	v_cvt_f32_f16_sdwa v11, v4 dst_sel:DWORD dst_unused:UNUSED_PAD src0_sel:WORD_1
	v_cvt_f32_f16_e32 v4, v5
	v_cvt_f32_f16_sdwa v5, v5 dst_sel:DWORD dst_unused:UNUSED_PAD src0_sel:WORD_1
	v_mad_u64_u32 v[2:3], s[6:7], v2, 40, v[26:27]
	s_waitcnt lgkmcnt(1)
	v_pk_fma_f32 v[10:11], v[6:7], v[10:11], 0 op_sel_hi:[0,1,0]
	s_waitcnt lgkmcnt(0)
	v_pk_fma_f32 v[4:5], v[8:9], v[4:5], v[10:11] op_sel_hi:[0,1,1]
	v_div_scale_f32 v6, s[6:7], v7, v7, v5
	v_rcp_f32_e32 v8, v6
	v_ashrrev_i32_e32 v3, 31, v2
	v_lshl_add_u64 v[2:3], v[2:3], 3, s[76:77]
	v_fma_f32 v9, -v6, v8, 1.0
	v_fmac_f32_e32 v8, v9, v8
	v_div_scale_f32 v9, vcc, v5, v7, v5
	v_mul_f32_e32 v10, v9, v8
	v_fma_f32 v11, -v6, v10, v9
	v_fmac_f32_e32 v10, v11, v8
	v_fma_f32 v6, -v6, v10, v9
	v_div_scale_f32 v9, s[6:7], v7, v7, v4
	v_rcp_f32_e32 v11, v9
	v_div_fmas_f32 v6, v6, v8, v10
	v_div_fixup_f32 v5, v6, v7, v5
	v_fma_f32 v6, -v9, v11, 1.0
	v_fmac_f32_e32 v11, v6, v11
	v_div_scale_f32 v6, vcc, v4, v7, v4
	v_mul_f32_e32 v8, v6, v11
	v_fma_f32 v10, -v9, v8, v6
	v_fmac_f32_e32 v8, v10, v11
	v_fma_f32 v6, -v9, v8, v6
	v_div_fmas_f32 v6, v6, v11, v8
	v_div_fixup_f32 v4, v6, v7, v4
	global_store_dwordx2 v[2:3], v[4:5], off
	v_mov_b32_e32 v3, 0
.LBB9_153:                              ;   in Loop: Header=BB9_12 Depth=1
	s_or_b64 exec, exec, s[80:81]
	s_movk_i32 s2, 0x47
	v_cmp_gt_i32_e32 vcc, s2, v3
	s_mov_b64 s[82:83], -1
	s_and_saveexec_b64 s[80:81], vcc
; %bb.154:                              ;   in Loop: Header=BB9_12 Depth=1
	v_cmp_eq_u32_e32 vcc, 0, v3
	s_orn2_b64 s[82:83], vcc, exec
; %bb.155:                              ;   in Loop: Header=BB9_12 Depth=1
	s_or_b64 exec, exec, s[80:81]
	s_and_saveexec_b64 s[80:81], s[82:83]
	s_cbranch_execz .LBB9_188
; %bb.156:                              ;   in Loop: Header=BB9_12 Depth=1
	v_add_u32_e32 v2, s86, v115
	v_cmp_gt_i32_e32 vcc, s36, v2
	s_and_b64 s[6:7], vcc, s[12:13]
	v_mov_b32_e32 v3, 0x47
	s_and_saveexec_b64 s[82:83], s[6:7]
	s_cbranch_execz .LBB9_158
; %bb.157:                              ;   in Loop: Header=BB9_12 Depth=1
	v_add_u32_e32 v3, v133, v116
	ds_read2st64_b32 v[4:5], v3 offset1:11
	v_add_u32_e32 v3, 0, v116
	ds_read2_b32 v[6:7], v3 offset0:40 offset1:41
	ds_read_b32 v8, v3 offset:2976
	v_mad_u64_u32 v[2:3], s[6:7], v2, s37, v[64:65]
	s_waitcnt lgkmcnt(2)
	v_cvt_f32_f16_e32 v10, v4
	v_cvt_f32_f16_sdwa v11, v4 dst_sel:DWORD dst_unused:UNUSED_PAD src0_sel:WORD_1
	v_cvt_f32_f16_e32 v4, v5
	v_cvt_f32_f16_sdwa v5, v5 dst_sel:DWORD dst_unused:UNUSED_PAD src0_sel:WORD_1
	v_mad_u64_u32 v[2:3], s[6:7], v2, 40, v[26:27]
	s_waitcnt lgkmcnt(1)
	v_pk_fma_f32 v[10:11], v[6:7], v[10:11], 0 op_sel_hi:[0,1,0]
	s_waitcnt lgkmcnt(0)
	v_pk_fma_f32 v[4:5], v[8:9], v[4:5], v[10:11] op_sel_hi:[0,1,1]
	v_div_scale_f32 v6, s[6:7], v7, v7, v5
	v_rcp_f32_e32 v8, v6
	v_ashrrev_i32_e32 v3, 31, v2
	v_lshl_add_u64 v[2:3], v[2:3], 3, s[76:77]
	v_fma_f32 v9, -v6, v8, 1.0
	v_fmac_f32_e32 v8, v9, v8
	v_div_scale_f32 v9, vcc, v5, v7, v5
	v_mul_f32_e32 v10, v9, v8
	v_fma_f32 v11, -v6, v10, v9
	v_fmac_f32_e32 v10, v11, v8
	v_fma_f32 v6, -v6, v10, v9
	v_div_scale_f32 v9, s[6:7], v7, v7, v4
	v_rcp_f32_e32 v11, v9
	v_div_fmas_f32 v6, v6, v8, v10
	v_div_fixup_f32 v5, v6, v7, v5
	v_fma_f32 v6, -v9, v11, 1.0
	v_fmac_f32_e32 v11, v6, v11
	v_div_scale_f32 v6, vcc, v4, v7, v4
	v_mul_f32_e32 v8, v6, v11
	v_fma_f32 v10, -v9, v8, v6
	v_fmac_f32_e32 v8, v10, v11
	v_fma_f32 v6, -v9, v8, v6
	v_div_fmas_f32 v6, v6, v11, v8
	v_div_fixup_f32 v4, v6, v7, v4
	global_store_dwordx2 v[2:3], v[4:5], off
	v_mov_b32_e32 v3, 0
.LBB9_158:                              ;   in Loop: Header=BB9_12 Depth=1
	s_or_b64 exec, exec, s[82:83]
	v_cmp_gt_i32_e32 vcc, s2, v3
	s_mov_b64 s[82:83], -1
	s_and_saveexec_b64 s[84:85], vcc
; %bb.159:                              ;   in Loop: Header=BB9_12 Depth=1
	v_cmp_eq_u32_e32 vcc, 0, v3
	s_orn2_b64 s[82:83], vcc, exec
; %bb.160:                              ;   in Loop: Header=BB9_12 Depth=1
	s_or_b64 exec, exec, s[84:85]
	s_and_b64 exec, exec, s[82:83]
	s_cbranch_execz .LBB9_188
; %bb.161:                              ;   in Loop: Header=BB9_12 Depth=1
	v_add_u32_e32 v2, s86, v117
	v_cmp_gt_i32_e32 vcc, s36, v2
	s_and_b64 s[6:7], vcc, s[12:13]
	v_mov_b32_e32 v3, 0x47
	s_and_saveexec_b64 s[82:83], s[6:7]
	s_cbranch_execz .LBB9_163
; %bb.162:                              ;   in Loop: Header=BB9_12 Depth=1
	v_add_u32_e32 v3, v133, v118
	ds_read2st64_b32 v[4:5], v3 offset1:11
	v_add_u32_e32 v3, 0, v118
	ds_read2_b32 v[6:7], v3 offset0:40 offset1:41
	ds_read_b32 v8, v3 offset:2976
	v_mad_u64_u32 v[2:3], s[6:7], v2, s37, v[64:65]
	s_waitcnt lgkmcnt(2)
	v_cvt_f32_f16_e32 v10, v4
	v_cvt_f32_f16_sdwa v11, v4 dst_sel:DWORD dst_unused:UNUSED_PAD src0_sel:WORD_1
	v_cvt_f32_f16_e32 v4, v5
	v_cvt_f32_f16_sdwa v5, v5 dst_sel:DWORD dst_unused:UNUSED_PAD src0_sel:WORD_1
	v_mad_u64_u32 v[2:3], s[6:7], v2, 40, v[26:27]
	s_waitcnt lgkmcnt(1)
	v_pk_fma_f32 v[10:11], v[6:7], v[10:11], 0 op_sel_hi:[0,1,0]
	s_waitcnt lgkmcnt(0)
	v_pk_fma_f32 v[4:5], v[8:9], v[4:5], v[10:11] op_sel_hi:[0,1,1]
	v_div_scale_f32 v6, s[6:7], v7, v7, v5
	v_rcp_f32_e32 v8, v6
	v_ashrrev_i32_e32 v3, 31, v2
	v_lshl_add_u64 v[2:3], v[2:3], 3, s[76:77]
	v_fma_f32 v9, -v6, v8, 1.0
	v_fmac_f32_e32 v8, v9, v8
	v_div_scale_f32 v9, vcc, v5, v7, v5
	v_mul_f32_e32 v10, v9, v8
	v_fma_f32 v11, -v6, v10, v9
	v_fmac_f32_e32 v10, v11, v8
	v_fma_f32 v6, -v6, v10, v9
	v_div_scale_f32 v9, s[6:7], v7, v7, v4
	v_rcp_f32_e32 v11, v9
	v_div_fmas_f32 v6, v6, v8, v10
	v_div_fixup_f32 v5, v6, v7, v5
	v_fma_f32 v6, -v9, v11, 1.0
	v_fmac_f32_e32 v11, v6, v11
	v_div_scale_f32 v6, vcc, v4, v7, v4
	v_mul_f32_e32 v8, v6, v11
	v_fma_f32 v10, -v9, v8, v6
	v_fmac_f32_e32 v8, v10, v11
	v_fma_f32 v6, -v9, v8, v6
	v_div_fmas_f32 v6, v6, v11, v8
	v_div_fixup_f32 v4, v6, v7, v4
	global_store_dwordx2 v[2:3], v[4:5], off
	v_mov_b32_e32 v3, 0
.LBB9_163:                              ;   in Loop: Header=BB9_12 Depth=1
	s_or_b64 exec, exec, s[82:83]
	v_cmp_gt_i32_e32 vcc, s2, v3
	s_mov_b64 s[82:83], -1
	s_and_saveexec_b64 s[84:85], vcc
; %bb.164:                              ;   in Loop: Header=BB9_12 Depth=1
	v_cmp_eq_u32_e32 vcc, 0, v3
	s_orn2_b64 s[82:83], vcc, exec
; %bb.165:                              ;   in Loop: Header=BB9_12 Depth=1
	s_or_b64 exec, exec, s[84:85]
	s_and_b64 exec, exec, s[82:83]
	;; [unrolled: 62-line block ×6, first 2 shown]
	s_cbranch_execz .LBB9_188
; %bb.186:                              ;   in Loop: Header=BB9_12 Depth=1
	v_add_u32_e32 v2, s86, v127
	v_cmp_gt_i32_e32 vcc, s36, v2
	s_and_b64 s[6:7], vcc, s[12:13]
	s_and_b64 exec, exec, s[6:7]
	s_cbranch_execz .LBB9_188
; %bb.187:                              ;   in Loop: Header=BB9_12 Depth=1
	v_add_u32_e32 v3, v133, v128
	ds_read2st64_b32 v[4:5], v3 offset1:11
	v_add_u32_e32 v3, 0, v128
	ds_read2_b32 v[6:7], v3 offset0:40 offset1:41
	ds_read_b32 v8, v3 offset:2976
	v_mad_u64_u32 v[2:3], s[6:7], v2, s37, v[64:65]
	s_waitcnt lgkmcnt(2)
	v_cvt_f32_f16_e32 v10, v4
	v_cvt_f32_f16_sdwa v11, v4 dst_sel:DWORD dst_unused:UNUSED_PAD src0_sel:WORD_1
	v_cvt_f32_f16_e32 v4, v5
	v_cvt_f32_f16_sdwa v5, v5 dst_sel:DWORD dst_unused:UNUSED_PAD src0_sel:WORD_1
	v_mad_u64_u32 v[2:3], s[6:7], v2, 40, v[26:27]
	s_waitcnt lgkmcnt(1)
	v_pk_fma_f32 v[10:11], v[6:7], v[10:11], 0 op_sel_hi:[0,1,0]
	s_waitcnt lgkmcnt(0)
	v_pk_fma_f32 v[4:5], v[8:9], v[4:5], v[10:11] op_sel_hi:[0,1,1]
	v_div_scale_f32 v6, s[6:7], v7, v7, v5
	v_rcp_f32_e32 v8, v6
	v_ashrrev_i32_e32 v3, 31, v2
	v_lshl_add_u64 v[2:3], v[2:3], 3, s[76:77]
	v_fma_f32 v9, -v6, v8, 1.0
	v_fmac_f32_e32 v8, v9, v8
	v_div_scale_f32 v9, vcc, v5, v7, v5
	v_mul_f32_e32 v10, v9, v8
	v_fma_f32 v11, -v6, v10, v9
	v_fmac_f32_e32 v10, v11, v8
	v_fma_f32 v6, -v6, v10, v9
	v_div_scale_f32 v9, s[6:7], v7, v7, v4
	v_rcp_f32_e32 v11, v9
	v_div_fmas_f32 v6, v6, v8, v10
	v_div_fixup_f32 v5, v6, v7, v5
	v_fma_f32 v6, -v9, v11, 1.0
	v_fmac_f32_e32 v11, v6, v11
	v_div_scale_f32 v6, vcc, v4, v7, v4
	v_mul_f32_e32 v8, v6, v11
	v_fma_f32 v10, -v9, v8, v6
	v_fmac_f32_e32 v8, v10, v11
	v_fma_f32 v6, -v9, v8, v6
	v_div_fmas_f32 v6, v6, v11, v8
	v_div_fixup_f32 v4, v6, v7, v4
	global_store_dwordx2 v[2:3], v[4:5], off
.LBB9_188:                              ;   in Loop: Header=BB9_12 Depth=1
	s_or_b64 exec, exec, s[80:81]
	v_add_u32_e32 v2, s86, v129
	v_cmp_gt_i32_e32 vcc, s36, v2
	s_and_b64 s[6:7], vcc, s[10:11]
	v_mov_b32_e32 v3, 0x47
	s_and_saveexec_b64 s[12:13], s[6:7]
	s_cbranch_execz .LBB9_190
; %bb.189:                              ;   in Loop: Header=BB9_12 Depth=1
	v_add_u32_e32 v3, v106, v130
	v_add_u32_e32 v3, 0x80, v3
	ds_read2st64_b32 v[4:5], v3 offset1:11
	v_add_u32_e32 v3, 0, v130
	ds_read2_b32 v[6:7], v3 offset0:40 offset1:41
	ds_read_b32 v8, v3 offset:2976
	v_mad_u64_u32 v[2:3], s[6:7], v2, s37, v[60:61]
	s_waitcnt lgkmcnt(2)
	v_cvt_f32_f16_e32 v10, v4
	v_cvt_f32_f16_sdwa v11, v4 dst_sel:DWORD dst_unused:UNUSED_PAD src0_sel:WORD_1
	v_cvt_f32_f16_e32 v4, v5
	v_cvt_f32_f16_sdwa v5, v5 dst_sel:DWORD dst_unused:UNUSED_PAD src0_sel:WORD_1
	v_mul_lo_u32 v9, v2, 40
	s_waitcnt lgkmcnt(1)
	v_pk_fma_f32 v[2:3], v[6:7], v[10:11], 0 op_sel_hi:[0,1,0]
	s_waitcnt lgkmcnt(0)
	v_pk_fma_f32 v[2:3], v[8:9], v[4:5], v[2:3] op_sel_hi:[0,1,1]
	v_div_scale_f32 v6, s[6:7], v7, v7, v3
	v_rcp_f32_e32 v8, v6
	v_ashrrev_i32_e32 v5, 31, v9
	v_or_b32_e32 v4, v9, v28
	v_lshl_add_u64 v[4:5], v[4:5], 3, s[76:77]
	v_fma_f32 v9, -v6, v8, 1.0
	v_fmac_f32_e32 v8, v9, v8
	v_div_scale_f32 v9, vcc, v3, v7, v3
	v_mul_f32_e32 v10, v9, v8
	v_fma_f32 v11, -v6, v10, v9
	v_fmac_f32_e32 v10, v11, v8
	v_fma_f32 v6, -v6, v10, v9
	v_div_scale_f32 v9, s[6:7], v7, v7, v2
	v_rcp_f32_e32 v11, v9
	v_div_fmas_f32 v6, v6, v8, v10
	v_div_fixup_f32 v3, v6, v7, v3
	v_fma_f32 v6, -v9, v11, 1.0
	v_fmac_f32_e32 v11, v6, v11
	v_div_scale_f32 v6, vcc, v2, v7, v2
	v_mul_f32_e32 v8, v6, v11
	v_fma_f32 v10, -v9, v8, v6
	v_fmac_f32_e32 v8, v10, v11
	v_fma_f32 v6, -v9, v8, v6
	v_div_fmas_f32 v6, v6, v11, v8
	v_div_fixup_f32 v2, v6, v7, v2
	global_store_dwordx2 v[4:5], v[2:3], off offset:256
	v_mov_b32_e32 v3, 0
.LBB9_190:                              ;   in Loop: Header=BB9_12 Depth=1
	s_or_b64 exec, exec, s[12:13]
	v_cmp_gt_i32_e32 vcc, s2, v3
	s_mov_b64 s[12:13], -1
	s_and_saveexec_b64 s[80:81], vcc
; %bb.191:                              ;   in Loop: Header=BB9_12 Depth=1
	v_cmp_eq_u32_e32 vcc, 0, v3
	s_orn2_b64 s[12:13], vcc, exec
; %bb.192:                              ;   in Loop: Header=BB9_12 Depth=1
	s_or_b64 exec, exec, s[80:81]
	s_and_b64 exec, exec, s[12:13]
	s_cbranch_execz .LBB9_10
; %bb.193:                              ;   in Loop: Header=BB9_12 Depth=1
	v_add_u32_e32 v2, s86, v131
	v_cmp_gt_i32_e32 vcc, s36, v2
	s_and_b64 s[6:7], vcc, s[10:11]
	s_and_b64 exec, exec, s[6:7]
	s_cbranch_execz .LBB9_10
; %bb.194:                              ;   in Loop: Header=BB9_12 Depth=1
	v_add_u32_e32 v3, v106, v132
	v_add_u32_e32 v3, 0x80, v3
	ds_read2st64_b32 v[4:5], v3 offset1:11
	v_add_u32_e32 v3, 0, v132
	ds_read2_b32 v[6:7], v3 offset0:40 offset1:41
	ds_read_b32 v8, v3 offset:2976
	v_mad_u64_u32 v[2:3], s[6:7], v2, s37, v[60:61]
	s_waitcnt lgkmcnt(2)
	v_cvt_f32_f16_e32 v10, v4
	v_cvt_f32_f16_sdwa v11, v4 dst_sel:DWORD dst_unused:UNUSED_PAD src0_sel:WORD_1
	v_cvt_f32_f16_e32 v4, v5
	v_cvt_f32_f16_sdwa v5, v5 dst_sel:DWORD dst_unused:UNUSED_PAD src0_sel:WORD_1
	v_mul_lo_u32 v9, v2, 40
	s_waitcnt lgkmcnt(1)
	v_pk_fma_f32 v[2:3], v[6:7], v[10:11], 0 op_sel_hi:[0,1,0]
	s_waitcnt lgkmcnt(0)
	v_pk_fma_f32 v[2:3], v[8:9], v[4:5], v[2:3] op_sel_hi:[0,1,1]
	v_div_scale_f32 v6, s[6:7], v7, v7, v3
	v_rcp_f32_e32 v8, v6
	v_ashrrev_i32_e32 v5, 31, v9
	v_or_b32_e32 v4, v9, v28
	v_lshl_add_u64 v[4:5], v[4:5], 3, s[76:77]
	v_fma_f32 v9, -v6, v8, 1.0
	v_fmac_f32_e32 v8, v9, v8
	v_div_scale_f32 v9, vcc, v3, v7, v3
	v_mul_f32_e32 v10, v9, v8
	v_fma_f32 v11, -v6, v10, v9
	v_fmac_f32_e32 v10, v11, v8
	v_fma_f32 v6, -v6, v10, v9
	v_div_scale_f32 v9, s[6:7], v7, v7, v2
	v_rcp_f32_e32 v11, v9
	v_div_fmas_f32 v6, v6, v8, v10
	v_div_fixup_f32 v3, v6, v7, v3
	v_fma_f32 v6, -v9, v11, 1.0
	v_fmac_f32_e32 v11, v6, v11
	v_div_scale_f32 v6, vcc, v2, v7, v2
	v_mul_f32_e32 v8, v6, v11
	v_fma_f32 v10, -v9, v8, v6
	v_fmac_f32_e32 v8, v10, v11
	v_fma_f32 v6, -v9, v8, v6
	v_div_fmas_f32 v6, v6, v11, v8
	v_div_fixup_f32 v2, v6, v7, v2
	global_store_dwordx2 v[4:5], v[2:3], off offset:256
	s_branch .LBB9_10
.LBB9_195:
	v_readlane_b32 s33, v164, 14
	v_readlane_b32 s35, v164, 7
	;; [unrolled: 1-line block ×7, first 2 shown]
	s_andn2_b64 vcc, exec, s[10:11]
	s_cbranch_vccnz .LBB9_8
.LBB9_196:
	v_readlane_b32 s9, v164, 3
	s_abs_i32 s0, s9
	v_cvt_f32_u32_e32 v2, s0
	s_sub_i32 s5, 0, s0
	s_abs_i32 s4, s56
	s_xor_b32 s1, s56, s9
	v_rcp_iflag_f32_e32 v2, v2
	s_ashr_i32 s1, s1, 31
	v_readlane_b32 s10, v164, 2
	v_readlane_b32 s11, v164, 1
	v_mul_f32_e32 v2, 0x4f7ffffe, v2
	v_cvt_u32_f32_e32 v2, v2
	v_mov_b32_e32 v8, s2
	v_readfirstlane_b32 s6, v2
	s_mul_i32 s5, s5, s6
	s_mul_hi_u32 s5, s6, s5
	s_add_i32 s6, s6, s5
	s_mul_hi_u32 s5, s4, s6
	s_mul_i32 s6, s5, s0
	s_sub_i32 s4, s4, s6
	s_add_i32 s7, s5, 1
	s_sub_i32 s6, s4, s0
	s_cmp_ge_u32 s4, s0
	s_cselect_b32 s5, s7, s5
	s_cselect_b32 s4, s6, s4
	s_add_i32 s6, s5, 1
	s_cmp_ge_u32 s4, s0
	s_cselect_b32 s0, s6, s5
	s_abs_i32 s4, s10
	v_cvt_f32_u32_e32 v2, s4
	s_xor_b32 s0, s0, s1
	s_sub_i32 s5, 0, s4
	s_sub_i32 s8, s0, s1
	v_rcp_iflag_f32_e32 v2, v2
	s_mul_i32 s0, s8, s9
	s_sub_i32 s0, s56, s0
	s_abs_i32 s6, s0
	v_mul_f32_e32 v2, 0x4f7ffffe, v2
	v_cvt_u32_f32_e32 v2, v2
	s_xor_b32 s1, s0, s10
	s_ashr_i32 s1, s1, 31
	v_readfirstlane_b32 s7, v2
	s_mul_i32 s5, s5, s7
	s_mul_hi_u32 s5, s7, s5
	s_add_i32 s7, s7, s5
	s_mul_hi_u32 s5, s6, s7
	s_mul_i32 s7, s5, s4
	s_sub_i32 s6, s6, s7
	s_add_i32 s9, s5, 1
	s_sub_i32 s7, s6, s4
	s_cmp_ge_u32 s6, s4
	s_cselect_b32 s5, s9, s5
	s_cselect_b32 s6, s7, s6
	s_add_i32 s7, s5, 1
	s_cmp_ge_u32 s6, s4
	s_cselect_b32 s4, s7, s5
	s_abs_i32 s5, s11
	v_cvt_f32_u32_e32 v2, s5
	s_xor_b32 s4, s4, s1
	s_sub_i32 s6, 0, s5
	s_sub_i32 s9, s4, s1
	v_rcp_iflag_f32_e32 v2, v2
	s_mul_i32 s1, s9, s10
	s_sub_i32 s1, s0, s1
	s_abs_i32 s4, s1
	v_mul_f32_e32 v2, 0x4f7ffffe, v2
	v_cvt_u32_f32_e32 v2, v2
	s_xor_b32 s0, s1, s11
	s_ashr_i32 s0, s0, 31
	v_readfirstlane_b32 s7, v2
	s_mul_i32 s6, s6, s7
	s_mul_hi_u32 s6, s7, s6
	s_add_i32 s7, s7, s6
	s_mul_hi_u32 s6, s4, s7
	s_mul_i32 s7, s6, s5
	s_sub_i32 s4, s4, s7
	s_add_i32 s10, s6, 1
	s_sub_i32 s7, s4, s5
	s_cmp_ge_u32 s4, s5
	s_cselect_b32 s6, s10, s6
	s_cselect_b32 s4, s7, s4
	s_add_i32 s7, s6, 1
	s_cmp_ge_u32 s4, s5
	s_cselect_b32 s4, s7, s6
	s_xor_b32 s4, s4, s0
	s_sub_i32 s0, s4, s0
	s_mul_i32 s4, s0, s11
	s_sub_i32 s1, s1, s4
	s_ashr_i32 s4, s1, 31
	v_readlane_b32 s5, v164, 6
	s_abs_i32 s1, s1
	s_xor_b32 s4, s4, s5
	s_mul_hi_u32 s5, s1, s52
	s_mul_i32 s6, s5, s99
	s_sub_i32 s1, s1, s6
	s_add_i32 s6, s5, 1
	s_sub_i32 s7, s1, s99
	s_cmp_ge_u32 s1, s99
	s_cselect_b32 s5, s6, s5
	s_cselect_b32 s1, s7, s1
	s_add_i32 s6, s5, 1
	s_cmp_ge_u32 s1, s99
	s_cselect_b32 s1, s6, s5
	s_abs_i32 s10, s64
	v_cvt_f32_u32_e32 v2, s10
	s_xor_b32 s1, s1, s4
	s_sub_i32 s1, s1, s4
	s_cmp_eq_u64 s[26:27], 0
	v_rcp_iflag_f32_e32 v2, v2
	s_nop 0
	v_mul_f32_e32 v2, 0x4f7ffffe, v2
	v_cvt_u32_f32_e32 v2, v2
	s_nop 0
	v_readfirstlane_b32 s12, v2
	s_cbranch_scc1 .LBB9_198
; %bb.197:
	v_readlane_b32 s4, v164, 0
	s_mul_i32 s4, s8, s4
	s_add_i32 s4, s1, s4
	s_ashr_i32 s5, s4, 31
	s_lshl_b64 s[4:5], s[4:5], 2
	s_add_u32 s4, s26, s4
	s_addc_u32 s5, s27, s5
	v_mov_b32_e32 v2, 0
	global_load_dword v2, v2, s[4:5]
	s_waitcnt vmcnt(0)
	v_ashrrev_i32_e32 v3, 31, v2
	v_lshrrev_b32_e32 v3, 26, v3
	v_add_u32_e32 v2, v2, v3
	v_ashrrev_i32_e32 v2, 6, v2
	v_min_i32_e32 v8, s2, v2
.LBB9_198:
	s_mul_i32 s4, s9, s3
	s_lshl_b32 s2, s0, 2
	s_add_i32 s0, s2, s4
	s_mul_i32 s4, s8, s55
	s_ashr_i32 s5, s4, 31
	s_add_u32 s4, s16, s4
	s_mul_i32 s0, s0, s54
	s_addc_u32 s5, s17, s5
	s_ashr_i32 s7, s0, 31
	s_add_u32 s6, s4, s0
	s_addc_u32 s7, s5, s7
	s_lshl_b32 s11, s1, 3
	v_lshrrev_b32_e32 v3, 2, v31
	v_and_b32_e32 v2, 3, v31
	v_add_u32_e32 v3, s11, v3
	v_or_b32_e32 v4, s2, v2
	v_cmp_le_i32_e64 s[0:1], s36, v3
	v_cmp_le_i32_e64 s[4:5], s3, v4
	s_mov_b32 s13, 0x10001
	v_lshl_add_u32 v36, v26, 2, 0
	v_cmp_gt_i32_e32 vcc, s3, v4
	s_or_b64 s[0:1], s[0:1], s[4:5]
	s_and_saveexec_b64 s[4:5], s[0:1]
	s_xor_b64 s[0:1], exec, s[4:5]
; %bb.199:
	s_movk_i32 s4, 0xb0
	v_mad_u32_u24 v3, v31, s4, v36
	v_mov_b32_e32 v4, 0
	ds_write_b32 v3, v4
                                        ; implicit-def: $vgpr3
; %bb.200:
	s_or_saveexec_b64 s[0:1], s[0:1]
	v_mul_lo_u32 v1, v1, s13
	s_xor_b64 exec, exec, s[0:1]
	s_cbranch_execz .LBB9_202
; %bb.201:
	v_mul_lo_u32 v3, v3, s57
	v_mul_lo_u32 v4, v2, s39
	v_add3_u32 v4, v4, v26, v3
	v_ashrrev_i32_e32 v5, 31, v4
	v_lshl_add_u64 v[4:5], v[4:5], 3, s[6:7]
	global_load_dwordx2 v[4:5], v[4:5], off
	s_movk_i32 s4, 0xb0
	s_waitcnt vmcnt(0)
	v_cvt_pk_f16_f32 v3, v4, v5
	v_pk_mul_f16 v3, v3, v1
	v_mad_u32_u24 v4, v31, s4, v36
	ds_write_b32 v4, v3
.LBB9_202:
	s_or_b64 exec, exec, s[0:1]
	v_add_u32_e32 v3, 8, v31
	v_lshrrev_b32_e32 v4, 2, v3
	v_add_u32_e32 v4, s11, v4
	v_cmp_le_i32_e64 s[0:1], s36, v4
	s_xor_b64 s[4:5], vcc, -1
	s_or_b64 s[0:1], s[0:1], s[4:5]
	s_and_saveexec_b64 s[14:15], s[0:1]
	s_xor_b64 s[0:1], exec, s[14:15]
; %bb.203:
	s_movk_i32 s13, 0xb0
	v_mad_u32_u24 v3, v3, s13, v36
	v_mov_b32_e32 v4, 0
	ds_write_b32 v3, v4
                                        ; implicit-def: $vgpr4
                                        ; implicit-def: $vgpr3
; %bb.204:
	s_andn2_saveexec_b64 s[0:1], s[0:1]
	s_cbranch_execz .LBB9_206
; %bb.205:
	v_mul_lo_u32 v4, v4, s57
	v_mul_lo_u32 v5, v2, s39
	v_add3_u32 v4, v5, v26, v4
	v_ashrrev_i32_e32 v5, 31, v4
	v_lshl_add_u64 v[4:5], v[4:5], 3, s[6:7]
	global_load_dwordx2 v[4:5], v[4:5], off
	s_movk_i32 s13, 0xb0
	v_mad_u32_u24 v3, v3, s13, v36
	s_waitcnt vmcnt(0)
	v_cvt_pk_f16_f32 v4, v4, v5
	v_pk_mul_f16 v4, v4, v1
	ds_write_b32 v3, v4
.LBB9_206:
	s_or_b64 exec, exec, s[0:1]
	v_add_u32_e32 v3, 16, v31
	v_lshrrev_b32_e32 v4, 2, v3
	v_add_u32_e32 v4, s11, v4
	v_cmp_le_i32_e32 vcc, s36, v4
	s_sub_i32 s13, 0, s10
	s_or_b64 s[0:1], vcc, s[4:5]
	s_and_saveexec_b64 s[14:15], s[0:1]
	s_xor_b64 s[0:1], exec, s[14:15]
; %bb.207:
	s_movk_i32 s14, 0xb0
	v_mad_u32_u24 v3, v3, s14, v36
	v_mov_b32_e32 v4, 0
	ds_write_b32 v3, v4
                                        ; implicit-def: $vgpr4
                                        ; implicit-def: $vgpr3
; %bb.208:
	s_or_saveexec_b64 s[0:1], s[0:1]
	s_mul_i32 s13, s13, s12
	s_xor_b64 exec, exec, s[0:1]
	s_cbranch_execz .LBB9_210
; %bb.209:
	v_mul_lo_u32 v4, v4, s57
	v_mul_lo_u32 v5, v2, s39
	v_add3_u32 v4, v5, v26, v4
	v_ashrrev_i32_e32 v5, 31, v4
	v_lshl_add_u64 v[4:5], v[4:5], 3, s[6:7]
	global_load_dwordx2 v[4:5], v[4:5], off
	s_movk_i32 s14, 0xb0
	v_mad_u32_u24 v3, v3, s14, v36
	s_waitcnt vmcnt(0)
	v_cvt_pk_f16_f32 v4, v4, v5
	v_pk_mul_f16 v4, v4, v1
	ds_write_b32 v3, v4
.LBB9_210:
	s_or_b64 exec, exec, s[0:1]
	v_add_u32_e32 v3, 24, v31
	v_lshrrev_b32_e32 v4, 2, v3
	v_add_u32_e32 v4, s11, v4
	v_cmp_le_i32_e32 vcc, s36, v4
	s_mul_hi_u32 s14, s12, s13
	s_or_b64 s[0:1], vcc, s[4:5]
	s_and_saveexec_b64 s[4:5], s[0:1]
	s_xor_b64 s[0:1], exec, s[4:5]
; %bb.211:
	s_movk_i32 s4, 0xb0
	v_mad_u32_u24 v2, v3, s4, v36
	v_mov_b32_e32 v3, 0
	ds_write_b32 v2, v3
                                        ; implicit-def: $vgpr4
                                        ; implicit-def: $vgpr2
                                        ; implicit-def: $vgpr3
; %bb.212:
	s_or_saveexec_b64 s[0:1], s[0:1]
	s_abs_i32 s13, s8
	s_add_i32 s12, s12, s14
	v_and_b32_e32 v38, 0x3ff, v0
	s_xor_b64 exec, exec, s[0:1]
	s_cbranch_execz .LBB9_214
; %bb.213:
	v_mul_lo_u32 v0, v4, s57
	v_mul_lo_u32 v2, v2, s39
	v_add3_u32 v4, v2, v26, v0
	v_ashrrev_i32_e32 v5, 31, v4
	v_lshl_add_u64 v[4:5], v[4:5], 3, s[6:7]
	global_load_dwordx2 v[4:5], v[4:5], off
	s_movk_i32 s4, 0xb0
	v_mad_u32_u24 v2, v3, s4, v36
	s_waitcnt vmcnt(0)
	v_cvt_pk_f16_f32 v0, v4, v5
	v_pk_mul_f16 v0, v0, v1
	ds_write_b32 v2, v0
.LBB9_214:
	s_or_b64 exec, exec, s[0:1]
	v_lshrrev_b32_e32 v39, 3, v38
	v_add_u32_e32 v28, v37, v39
	v_lshrrev_b32_e32 v2, 2, v28
	v_and_b32_e32 v0, 3, v39
	v_add_u32_e32 v2, s11, v2
	v_or_b32_e32 v3, s2, v0
	v_cmp_le_i32_e32 vcc, s36, v2
	v_cmp_le_i32_e64 s[0:1], s3, v3
	s_mul_hi_u32 s12, s13, s12
	s_or_b64 s[0:1], vcc, s[0:1]
	s_and_saveexec_b64 s[2:3], s[0:1]
	s_xor_b64 s[0:1], exec, s[2:3]
	s_cbranch_execz .LBB9_216
; %bb.215:
	v_and_b32_e32 v1, 7, v38
	v_mul_u32_u24_e32 v0, 0xb0, v28
	v_lshlrev_b32_e32 v1, 2, v1
	v_add3_u32 v0, 0, v0, v1
	v_mov_b32_e32 v1, 0
	ds_write_b32 v0, v1 offset:128
                                        ; implicit-def: $vgpr2
                                        ; implicit-def: $vgpr0
                                        ; implicit-def: $vgpr1
.LBB9_216:
	s_or_saveexec_b64 s[0:1], s[0:1]
	s_ashr_i32 s2, s8, 31
	s_xor_b64 exec, exec, s[0:1]
	s_cbranch_execz .LBB9_218
; %bb.217:
	v_mul_lo_u32 v3, v2, s57
	v_and_b32_e32 v2, 7, v38
	v_mad_u64_u32 v[4:5], s[4:5], s39, v0, v[2:3]
	v_add3_u32 v4, v4, v3, 32
	v_ashrrev_i32_e32 v5, 31, v4
	v_lshl_add_u64 v[4:5], v[4:5], 3, s[6:7]
	global_load_dwordx2 v[4:5], v[4:5], off
	v_mul_u32_u24_e32 v0, 0xb0, v28
	v_lshlrev_b32_e32 v2, 2, v2
	v_add3_u32 v0, 0, v0, v2
	s_waitcnt vmcnt(0)
	v_cvt_pk_f16_f32 v3, v4, v5
	v_pk_mul_f16 v1, v3, v1
	ds_write_b32 v0, v1 offset:128
.LBB9_218:
	s_or_b64 exec, exec, s[0:1]
	s_mul_hi_u32 s0, s40, s8
	s_mul_i32 s1, s40, s2
	s_add_i32 s0, s0, s1
	s_mul_i32 s1, s41, s8
	v_readlane_b32 s4, v164, 4
	s_add_i32 s0, s0, s1
	s_mul_i32 s1, s40, s8
	v_readlane_b32 s5, v164, 5
	s_add_u32 s1, s18, s1
	s_mul_i32 s3, s9, s5
	s_addc_u32 s0, s19, s0
	s_ashr_i32 s5, s3, 31
	s_add_u32 s4, s1, s3
	s_mul_i32 s12, s12, s10
	s_addc_u32 s5, s0, s5
	s_sub_i32 s0, s13, s12
	s_sub_i32 s1, s0, s10
	s_cmp_ge_u32 s0, s10
	s_cselect_b32 s0, s1, s0
	s_sub_i32 s1, s0, s10
	s_cmp_ge_u32 s0, s10
	s_cselect_b32 s0, s1, s0
	s_xor_b32 s0, s0, s2
	s_sub_i32 s0, s0, s2
	s_ashr_i32 s1, s0, 31
	s_mul_i32 s1, s50, s1
	s_mul_hi_u32 s3, s50, s0
	s_add_i32 s1, s3, s1
	s_mul_i32 s3, s51, s0
	s_add_i32 s1, s1, s3
	s_mul_i32 s0, s50, s0
	s_add_u32 s6, s22, s0
	s_addc_u32 s7, s23, s1
	s_mul_hi_u32 s0, s48, s8
	s_mul_i32 s1, s48, s2
	s_add_i32 s0, s0, s1
	s_mul_i32 s1, s49, s8
	s_add_i32 s0, s0, s1
	s_mul_i32 s1, s48, s8
	s_add_u32 s1, s20, s1
	s_mul_i32 s9, s9, s43
	s_addc_u32 s0, s21, s0
	s_ashr_i32 s3, s9, 31
	s_add_u32 s2, s1, s9
	s_addc_u32 s3, s0, s3
	v_and_b32_e32 v9, 0x1ff0, v37
	s_movk_i32 s0, 0xb0
	v_and_b32_e32 v41, 15, v38
	v_and_b32_e32 v1, 0x7e, v39
	v_mad_u32_u24 v0, v9, s0, 0
	v_mul_u32_u24_e32 v57, 0xb0, v41
	v_lshlrev_b32_e32 v40, 2, v1
	v_add3_u32 v10, v0, v57, v40
	s_waitcnt lgkmcnt(0)
	s_barrier
	ds_read2_b64 v[4:7], v10 offset1:4
	ds_read2_b64 v[0:3], v10 offset0:8 offset1:12
	ds_read_b64 v[10:11], v10 offset:128
	v_add_u32_e32 v68, -1, v8
	v_add_u32_e32 v8, s11, v31
	v_mul_hi_u32 v12, s46, v8
	v_add_u32_e32 v12, v8, v12
	v_lshrrev_b32_e32 v12, s47, v12
	v_cmp_lt_i32_e32 vcc, s88, v68
	v_mul_lo_u32 v12, v12, s36
	v_sub_u32_e32 v24, v8, v12
	s_waitcnt lgkmcnt(0)
	s_barrier
	s_cbranch_vccnz .LBB9_222
; %bb.219:
	v_lshlrev_b32_e32 v8, 1, v38
	v_and_b32_e32 v18, 62, v8
	v_lshrrev_b32_e32 v8, 1, v38
	v_mul_lo_u32 v14, s38, v28
	v_mov_b32_e32 v19, 0
	s_ashr_i32 s39, s38, 31
	v_lshl_add_u32 v56, v27, 5, v8
	v_lshlrev_b32_e32 v64, 2, v38
	v_mov_b32_e32 v8, 0x1600
	v_lshl_add_u32 v16, s38, 5, v14
	v_lshlrev_b32_e32 v42, 4, v27
	v_mad_i64_i32 v[20:21], s[8:9], v24, s44, 0
	v_mul_u32_u24_e32 v60, 0xb0, v28
	v_and_b32_e32 v12, 28, v64
	v_mov_b32_e32 v13, v19
	v_ashrrev_i32_e32 v15, 31, v14
	v_add_u32_e32 v55, 32, v28
	v_mad_u32_u24 v63, v28, s0, v8
	v_ashrrev_i32_e32 v17, 31, v16
	v_and_b32_e32 v59, 16, v42
	s_mov_b64 s[0:1], 0
	v_mov_b64_e32 v[22:23], s[38:39]
	s_branch .LBB9_223
.LBB9_220:
                                        ; implicit-def: $sgpr56_sgpr57
	s_load_dwordx2 s[54:55], s[0:1], 0x74
	v_cvt_f32_u32_e32 v1, s35
	s_branch .LBB9_2
.LBB9_221:
                                        ; implicit-def: $sgpr60_sgpr61
	s_load_dwordx2 s[46:47], s[0:1], 0x5c
	s_branch .LBB9_5
.LBB9_222:
	s_mov_b64 s[0:1], -1
                                        ; implicit-def: $vgpr18
                                        ; implicit-def: $vgpr20_vgpr21
                                        ; implicit-def: $vgpr22_vgpr23
                                        ; implicit-def: $vgpr56
                                        ; implicit-def: $vgpr60
                                        ; implicit-def: $vgpr64
                                        ; implicit-def: $vgpr12
                                        ; implicit-def: $vgpr14_vgpr15
                                        ; implicit-def: $vgpr55
                                        ; implicit-def: $vgpr63
                                        ; implicit-def: $vgpr16_vgpr17
                                        ; implicit-def: $vgpr42
                                        ; implicit-def: $vgpr59
.LBB9_223:
	v_mul_lo_u32 v8, s34, v28
	v_mul_u32_u24_e32 v67, 0x90, v31
	s_andn2_b64 vcc, exec, s[0:1]
	v_lshrrev_b32_e32 v61, 2, v38
	v_and_or_b32 v62, v38, 12, v9
	v_lshlrev_b32_e32 v52, 1, v39
	v_and_b32_e32 v51, 8, v37
	v_ashrrev_i32_e32 v9, 31, v8
	v_lshlrev_b32_e32 v50, 1, v41
	s_cbranch_vccnz .LBB9_231
; %bb.224:
	v_lshlrev_b32_e32 v12, 1, v38
	v_and_b32_e32 v18, 62, v12
	v_mad_i64_i32 v[20:21], s[0:1], v24, s44, 0
	v_mov_b32_e32 v23, 0
	v_lshlrev_b32_e32 v22, 1, v18
	v_lshl_add_u64 v[12:13], v[20:21], 1, s[6:7]
	v_lshl_add_u64 v[24:25], v[12:13], 0, v[22:23]
	v_lshrrev_b32_e32 v12, 1, v38
	v_lshlrev_b32_e32 v64, 2, v38
	v_lshl_add_u32 v56, v27, 5, v12
	v_and_b32_e32 v12, 28, v64
	s_movk_i32 s8, 0xb0
	v_mul_u32_u24_e32 v60, 0xb0, v28
	v_lshlrev_b32_e32 v14, 2, v12
	v_mov_b32_e32 v16, 0x1600
	v_add3_u32 v71, 0, v60, v14
	v_mul_lo_u32 v14, s38, v28
	v_add_u32_e32 v55, 32, v28
	v_mad_u32_u24 v63, v28, s8, v16
	v_and_b32_e32 v28, 4, v64
	v_add3_u32 v70, 0, v67, v22
	v_lshlrev_b32_e32 v42, 4, v27
	v_mad_u32_u24 v22, v56, s8, 0
	v_lshlrev_b32_e32 v32, 2, v28
	s_movk_i32 s8, 0x80
	v_and_b32_e32 v59, 16, v42
	v_add3_u32 v73, v22, v32, s8
	v_and_b32_e32 v22, 0xfc, v61
	v_add_u32_e32 v32, v22, v59
	v_lshrrev_b32_e32 v33, 2, v62
	s_movk_i32 s8, 0x90
	v_add_u16_e32 v22, v22, v59
	v_mad_u32_u24 v33, v33, s8, 0
	v_lshrrev_b16_e32 v22, 1, v22
	v_lshl_add_u32 v46, v22, 2, v33
	v_lshl_add_u32 v22, v32, 1, v33
	v_add_u32_e32 v74, 64, v22
	v_add_u32_e32 v75, 0x44, v22
	v_mbcnt_hi_u32_b32 v22, -1, v43
	v_and_b32_e32 v32, 64, v22
	v_add_u32_e32 v32, 64, v32
	v_xor_b32_e32 v33, 32, v22
	v_cmp_lt_i32_e32 vcc, v33, v32
	v_or_b32_e32 v34, 2, v52
	v_mul_u32_u24_e32 v47, 0xb0, v34
	v_cndmask_b32_e32 v33, v22, v33, vcc
	v_lshlrev_b32_e32 v76, 2, v33
	v_xor_b32_e32 v33, 16, v22
	v_cmp_lt_i32_e32 vcc, v33, v32
	v_and_b32_e32 v34, 0xfc, v52
	s_movk_i32 s8, 0x160
	v_cndmask_b32_e32 v22, v22, v33, vcc
	v_lshlrev_b32_e32 v77, 2, v22
	v_or_b32_e32 v22, 3, v52
	v_lshl_add_u32 v16, s38, 5, v14
	v_add3_u32 v44, 0, v57, v40
	v_mul_lo_u32 v30, s38, v56
	v_mul_u32_u24_e32 v45, 0xb0, v59
	v_mul_lo_u32 v32, s34, v56
	v_mul_u32_u24_e32 v22, 0xb0, v22
	v_mul_u32_u24_e32 v48, 0xb0, v34
	v_mul_lo_u32 v34, s34, v55
	v_mad_u32_u24 v49, v51, s8, 0
	v_mov_b32_e32 v19, v23
	s_ashr_i32 s39, s38, 31
	v_cmp_gt_u32_e64 s[0:1], 64, v56
	v_mov_b32_e32 v13, v23
	v_ashrrev_i32_e32 v15, 31, v14
	v_add_u32_e32 v72, 0x1600, v71
	v_ashrrev_i32_e32 v17, 31, v16
	v_ashrrev_i32_e32 v31, 31, v30
	;; [unrolled: 1-line block ×4, first 2 shown]
	v_add3_u32 v78, v49, v48, v50
	v_add3_u32 v79, v49, v47, v50
	v_add3_u32 v80, v49, v22, v50
	s_lshl_b32 s8, s88, 6
	v_mov_b32_e32 v85, 0xfeffffff
	v_lshlrev_b32_e32 v22, 2, v12
	v_add_u32_e32 v81, v44, v45
	v_add_u32_e32 v82, 0x2c00, v46
	s_mov_b32 s14, 0x3fb8aa3b
	s_mov_b32 s15, 0xc2ce8ed0
	;; [unrolled: 1-line block ×5, first 2 shown]
	v_mov_b32_e32 v83, 0x7f800000
	v_mov_b32_e32 v84, v23
	;; [unrolled: 1-line block ×12, first 2 shown]
.LBB9_225:                              ; =>This Inner Loop Header: Depth=1
	s_ashr_i32 s9, s8, 31
	v_lshl_add_u64 v[86:87], s[8:9], 1, v[24:25]
	global_load_dword v58, v[86:87], off
	s_mul_hi_i32 s11, s8, s38
	s_mul_i32 s10, s8, s38
	s_lshl_b64 s[10:11], s[10:11], 2
	s_add_u32 s10, s4, s10
	s_addc_u32 s11, s5, s11
	s_waitcnt vmcnt(0)
	ds_write_b32 v70, v58 offset:11264
	s_and_saveexec_b64 s[12:13], s[0:1]
	s_cbranch_execz .LBB9_227
; %bb.226:                              ;   in Loop: Header=BB9_225 Depth=1
	v_lshl_add_u64 v[86:87], v[30:31], 2, s[10:11]
	v_lshlrev_b32_e32 v88, 2, v28
	v_mov_b32_e32 v89, v23
	v_lshl_add_u64 v[86:87], v[86:87], 0, v[88:89]
	global_load_dwordx4 v[86:89], v[86:87], off offset:128
	s_waitcnt vmcnt(0)
	ds_write_b128 v73, v[86:89]
.LBB9_227:                              ;   in Loop: Header=BB9_225 Depth=1
	s_or_b64 exec, exec, s[12:13]
	v_lshl_add_u64 v[86:87], v[14:15], 2, s[10:11]
	v_lshl_add_u64 v[94:95], v[86:87], 0, v[22:23]
	;; [unrolled: 1-line block ×4, first 2 shown]
	global_load_dwordx4 v[86:89], v[94:95], off
	global_load_dwordx4 v[90:93], v[96:97], off
	v_add_u32_e32 v58, 0x1000, v81
	s_mul_hi_i32 s11, s8, s34
	s_mul_i32 s10, s8, s34
	s_lshl_b64 s[10:11], s[10:11], 2
	s_add_u32 s10, s2, s10
	s_addc_u32 s11, s3, s11
	s_waitcnt vmcnt(1)
	ds_write_b128 v71, v[86:89]
	s_waitcnt vmcnt(0)
	ds_write_b128 v72, v[90:93]
	s_waitcnt lgkmcnt(0)
	s_barrier
	ds_read2_b64 v[86:89], v81 offset1:4
	ds_read2_b64 v[94:97], v58 offset0:192 offset1:196
	s_waitcnt lgkmcnt(1)
	v_mfma_f32_16x16x16_f16 v[90:93], v[86:87], v[4:5], 0
	s_waitcnt lgkmcnt(0)
	v_mfma_f32_16x16x16_f16 v[98:101], v[94:95], v[4:5], 0
	v_mfma_f32_16x16x16_f16 v[86:89], v[88:89], v[6:7], v[90:93]
	s_nop 4
	ds_read2_b64 v[90:93], v81 offset0:8 offset1:12
	v_mfma_f32_16x16x16_f16 v[94:97], v[96:97], v[6:7], v[98:101]
	s_nop 2
	ds_read2_b64 v[98:101], v58 offset0:200 offset1:204
	s_waitcnt lgkmcnt(1)
	v_mfma_f32_16x16x16_f16 v[86:89], v[90:91], v[0:1], v[86:89]
	ds_read_b64 v[102:103], v81 offset:128
	ds_read_b64 v[104:105], v81 offset:5760
	s_waitcnt lgkmcnt(0)
	s_barrier
	v_mfma_f32_16x16x16_f16 v[94:97], v[98:99], v[0:1], v[94:97]
	ds_read2_b32 v[98:99], v82 offset1:1
	ds_read_b32 v58, v74 offset:11264
	ds_read_b32 v69, v75 offset:11264
	v_mfma_f32_16x16x16_f16 v[86:89], v[92:93], v[2:3], v[86:89]
	s_waitcnt lgkmcnt(2)
	v_cvt_f32_f16_e32 v106, v98
	v_mfma_f32_16x16x16_f16 v[90:93], v[100:101], v[2:3], v[94:97]
	v_cvt_f32_f16_sdwa v98, v98 dst_sel:DWORD dst_unused:UNUSED_PAD src0_sel:WORD_1
	v_cvt_f32_f16_e32 v100, v99
	v_cvt_f32_f16_sdwa v99, v99 dst_sel:DWORD dst_unused:UNUSED_PAD src0_sel:WORD_1
	v_mfma_f32_16x16x16_f16 v[86:89], v[102:103], v[10:11], v[86:89]
	s_waitcnt lgkmcnt(1)
	v_cvt_f32_f16_e32 v101, v58
	v_cvt_f32_f16_sdwa v58, v58 dst_sel:DWORD dst_unused:UNUSED_PAD src0_sel:WORD_1
	s_waitcnt lgkmcnt(0)
	v_cvt_f32_f16_e32 v102, v69
	v_mfma_f32_16x16x16_f16 v[94:97], v[104:105], v[10:11], v[90:93]
	v_cvt_f32_f16_sdwa v103, v69 dst_sel:DWORD dst_unused:UNUSED_PAD src0_sel:WORD_1
	s_nop 0
	v_add_f32_e32 v69, v87, v98
	v_add_f32_e32 v92, v86, v106
	;; [unrolled: 1-line block ×4, first 2 shown]
	s_nop 1
	v_add_f32_e32 v88, v95, v58
	v_add_f32_e32 v58, 0x40051340, v92
	;; [unrolled: 1-line block ×6, first 2 shown]
	v_max3_f32 v58, v85, v58, v93
	v_add_f32_e32 v87, v96, v102
	v_add_f32_e32 v86, v97, v103
	;; [unrolled: 1-line block ×4, first 2 shown]
	v_max3_f32 v58, v58, v94, v95
	v_add_f32_e32 v98, 0x40051340, v87
	v_add_f32_e32 v99, 0x40051340, v86
	v_max3_f32 v58, v58, v96, v97
	v_max3_f32 v58, v58, v98, v99
	ds_bpermute_b32 v93, v76, v58
	s_waitcnt lgkmcnt(0)
	v_max_f32_e32 v93, v93, v93
	v_max_f32_e32 v58, v58, v93
	ds_bpermute_b32 v93, v77, v58
	s_and_saveexec_b64 s[12:13], s[0:1]
	s_cbranch_execz .LBB9_229
; %bb.228:                              ;   in Loop: Header=BB9_225 Depth=1
	v_lshl_add_u64 v[94:95], v[32:33], 2, s[10:11]
	v_lshlrev_b32_e32 v96, 2, v28
	v_mov_b32_e32 v97, v23
	v_lshl_add_u64 v[94:95], v[94:95], 0, v[96:97]
	global_load_dwordx4 v[94:97], v[94:95], off offset:128
	s_waitcnt vmcnt(0)
	ds_write_b128 v73, v[94:97]
.LBB9_229:                              ;   in Loop: Header=BB9_225 Depth=1
	s_or_b64 exec, exec, s[12:13]
	s_waitcnt lgkmcnt(0)
	v_max_f32_e32 v93, v93, v93
	v_max_f32_e32 v58, v58, v58
	;; [unrolled: 1-line block ×3, first 2 shown]
	v_sub_f32_e32 v92, v92, v58
	v_mul_f32_e32 v93, 0x3fb8aa3b, v92
	v_fma_f32 v94, v92, s14, -v93
	v_rndne_f32_e32 v95, v93
	v_fmac_f32_e32 v94, 0x32a5705f, v92
	v_sub_f32_e32 v93, v93, v95
	v_add_f32_e32 v93, v93, v94
	v_exp_f32_e32 v93, v93
	v_cvt_i32_f32_e32 v94, v95
	v_cmp_ngt_f32_e32 vcc, s15, v92
	v_sub_f32_e32 v91, v91, v58
	v_sub_f32_e32 v102, v90, v58
	v_ldexp_f32 v93, v93, v94
	v_sub_f32_e32 v94, v69, v58
	v_mul_f32_e32 v69, 0x3fb8aa3b, v94
	v_fma_f32 v95, v94, s14, -v69
	v_rndne_f32_e32 v96, v69
	v_fmac_f32_e32 v95, 0x32a5705f, v94
	v_sub_f32_e32 v69, v69, v96
	v_add_f32_e32 v69, v69, v95
	v_exp_f32_e32 v95, v69
	v_cvt_i32_f32_e32 v96, v96
	v_cndmask_b32_e32 v69, 0, v93, vcc
	v_mul_f32_e32 v93, 0x3fb8aa3b, v91
	v_cmp_nlt_f32_e32 vcc, s16, v92
	v_ldexp_f32 v92, v95, v96
	v_fma_f32 v95, v91, s14, -v93
	v_rndne_f32_e32 v96, v93
	v_fmac_f32_e32 v95, 0x32a5705f, v91
	v_sub_f32_e32 v93, v93, v96
	v_add_f32_e32 v93, v93, v95
	v_exp_f32_e32 v93, v93
	v_cvt_i32_f32_e32 v95, v96
	v_cndmask_b32_e32 v69, v83, v69, vcc
	v_cmp_ngt_f32_e32 vcc, s15, v94
	v_mul_f32_e32 v90, 0x3fb8aa3b, v102
	v_sub_f32_e32 v89, v89, v58
	v_cndmask_b32_e32 v92, 0, v92, vcc
	v_cmp_nlt_f32_e32 vcc, s16, v94
	v_rndne_f32_e32 v94, v90
	v_mul_f32_e32 v104, 0x3fb8aa3b, v89
	v_cndmask_b32_e32 v106, v83, v92, vcc
	v_ldexp_f32 v92, v93, v95
	v_fma_f32 v93, v102, s14, -v90
	v_fmac_f32_e32 v93, 0x32a5705f, v102
	v_sub_f32_e32 v90, v90, v94
	v_add_f32_e32 v90, v90, v93
	v_exp_f32_e32 v90, v90
	v_cvt_i32_f32_e32 v93, v94
	v_cmp_ngt_f32_e32 vcc, s15, v91
	v_sub_f32_e32 v88, v88, v58
	v_sub_f32_e32 v87, v87, v58
	v_cndmask_b32_e32 v92, 0, v92, vcc
	v_cmp_nlt_f32_e32 vcc, s16, v91
	v_ldexp_f32 v103, v90, v93
	v_lshl_add_u64 v[90:91], v[8:9], 2, s[10:11]
	v_lshl_add_u64 v[98:99], v[90:91], 0, v[22:23]
	;; [unrolled: 1-line block ×3, first 2 shown]
	v_cndmask_b32_e32 v107, v83, v92, vcc
	v_lshl_add_u64 v[100:101], v[90:91], 0, v[22:23]
	global_load_dwordx4 v[90:93], v[98:99], off
	global_load_dwordx4 v[94:97], v[100:101], off
	v_fma_f32 v98, v89, s14, -v104
	v_rndne_f32_e32 v99, v104
	v_fmac_f32_e32 v98, 0x32a5705f, v89
	v_sub_f32_e32 v100, v104, v99
	v_add_f32_e32 v98, v100, v98
	v_exp_f32_e32 v98, v98
	v_cvt_i32_f32_e32 v99, v99
	v_cmp_ngt_f32_e32 vcc, s15, v102
	v_sub_f32_e32 v86, v86, v58
	v_sub_f32_e32 v85, v85, v58
	v_cndmask_b32_e32 v100, 0, v103, vcc
	v_cmp_nlt_f32_e32 vcc, s16, v102
	v_ldexp_f32 v98, v98, v99
	v_mul_f32_e32 v99, 0x3fb8aa3b, v88
	v_cndmask_b32_e32 v108, v83, v100, vcc
	v_fma_f32 v100, v88, s14, -v99
	v_rndne_f32_e32 v101, v99
	v_fmac_f32_e32 v100, 0x32a5705f, v88
	v_sub_f32_e32 v99, v99, v101
	v_add_f32_e32 v99, v99, v100
	v_exp_f32_e32 v99, v99
	v_cvt_i32_f32_e32 v100, v101
	v_cmp_ngt_f32_e32 vcc, s15, v89
	v_cvt_pk_f16_f32 v103, v107, v108
	v_cvt_pk_f16_f32 v102, v69, v106
	v_cndmask_b32_e32 v98, 0, v98, vcc
	v_cmp_nlt_f32_e32 vcc, s16, v89
	v_ldexp_f32 v89, v99, v100
	s_add_i32 s88, s88, 1
	v_cndmask_b32_e32 v109, v83, v98, vcc
	v_mul_f32_e32 v98, 0x3fb8aa3b, v87
	v_fma_f32 v99, v87, s14, -v98
	v_rndne_f32_e32 v100, v98
	v_fmac_f32_e32 v99, 0x32a5705f, v87
	v_sub_f32_e32 v98, v98, v100
	v_add_f32_e32 v98, v98, v99
	v_exp_f32_e32 v98, v98
	v_cvt_i32_f32_e32 v99, v100
	v_cmp_ngt_f32_e32 vcc, s15, v88
	s_add_i32 s8, s8, 64
	s_waitcnt vmcnt(1)
	ds_write_b128 v71, v[90:93]
	s_waitcnt vmcnt(0)
	ds_write_b128 v72, v[94:97]
	v_cndmask_b32_e32 v89, 0, v89, vcc
	v_cmp_nlt_f32_e32 vcc, s16, v88
	v_ldexp_f32 v88, v98, v99
	s_waitcnt lgkmcnt(0)
	v_cndmask_b32_e32 v110, v83, v89, vcc
	v_mul_f32_e32 v89, 0x3fb8aa3b, v86
	v_fma_f32 v98, v86, s14, -v89
	v_rndne_f32_e32 v99, v89
	v_fmac_f32_e32 v98, 0x32a5705f, v86
	v_sub_f32_e32 v89, v89, v99
	v_add_f32_e32 v89, v89, v98
	v_cvt_i32_f32_e32 v98, v99
	v_mul_f32_e32 v99, 0x3fb8aa3b, v85
	v_fma_f32 v100, v85, s14, -v99
	v_rndne_f32_e32 v101, v99
	v_fmac_f32_e32 v100, 0x32a5705f, v85
	v_sub_f32_e32 v99, v99, v101
	v_add_f32_e32 v99, v99, v100
	v_exp_f32_e32 v99, v99
	v_cvt_i32_f32_e32 v100, v101
	v_cmp_ngt_f32_e32 vcc, s15, v87
	v_exp_f32_e32 v89, v89
	s_barrier
	v_cndmask_b32_e32 v88, 0, v88, vcc
	v_cmp_nlt_f32_e32 vcc, s16, v87
	v_ldexp_f32 v87, v89, v98
	s_nop 0
	v_cndmask_b32_e32 v111, v83, v88, vcc
	v_ldexp_f32 v88, v99, v100
	v_cmp_ngt_f32_e32 vcc, s15, v85
	v_cvt_pk_f16_f32 v104, v109, v110
	s_nop 0
	v_cndmask_b32_e32 v88, 0, v88, vcc
	v_cmp_nlt_f32_e32 vcc, s16, v85
	s_nop 1
	v_cndmask_b32_e32 v88, v83, v88, vcc
	v_cmp_le_f32_e32 vcc, s17, v85
	s_nop 1
	v_cndmask_b32_e32 v85, 0, v88, vcc
	v_cvt_f16_f32_e32 v88, v85
	v_cmp_ngt_f32_e32 vcc, s15, v86
	v_mul_u32_u24_e32 v100, 0x10001, v88
	s_nop 0
	v_cndmask_b32_e32 v87, 0, v87, vcc
	v_cmp_nlt_f32_e32 vcc, s16, v86
	v_pk_mul_f16 v66, v66, v100
	v_pk_mul_f16 v65, v65, v100
	v_cndmask_b32_e32 v112, v83, v87, vcc
	v_cvt_f32_f16_e32 v86, v66
	v_cvt_f32_f16_sdwa v87, v66 dst_sel:DWORD dst_unused:UNUSED_PAD src0_sel:WORD_1
	ds_read_u16 v66, v80
	ds_read_u16 v89, v79
	ds_read_u16 v93, v79 offset:32
	ds_read_u16 v97, v79 offset:64
	;; [unrolled: 1-line block ×6, first 2 shown]
	s_waitcnt lgkmcnt(6)
	v_perm_b32 v91, v66, v89, s18
	ds_read_u16 v66, v78 offset:176
	ds_read_u16 v89, v78
	ds_read_u16 v96, v78 offset:32
	ds_read_u16 v99, v78 offset:208
	ds_read_u16 v101, v78 offset:64
	ds_read_u16 v115, v78 offset:240
	ds_read_u16 v116, v78 offset:96
	ds_read_u16 v117, v78 offset:128
	s_waitcnt lgkmcnt(6)
	v_perm_b32 v90, v66, v89, s18
	v_cvt_f32_f16_e32 v88, v65
	v_cvt_f32_f16_sdwa v89, v65 dst_sel:DWORD dst_unused:UNUSED_PAD src0_sel:WORD_1
	v_pk_mul_f16 v54, v54, v100
	v_pk_mul_f16 v53, v53, v100
	v_mfma_f32_16x16x16_f16 v[86:89], v[90:91], v[102:103], v[86:89]
	v_cvt_pk_f16_f32 v105, v111, v112
	v_perm_b32 v95, v94, v93, s18
	s_waitcnt lgkmcnt(4)
	v_perm_b32 v94, v99, v96, s18
	v_cvt_f32_f16_e32 v92, v53
	s_nop 2
	v_cvt_f16_f32_e32 v65, v86
	v_cvt_f16_f32_e32 v66, v87
	;; [unrolled: 1-line block ×4, first 2 shown]
	v_cvt_f32_f16_e32 v86, v65
	v_cvt_f32_f16_e32 v87, v66
	ds_read_u16 v65, v79 offset:5632
	ds_read_u16 v66, v79 offset:5664
	;; [unrolled: 1-line block ×11, first 2 shown]
	s_waitcnt lgkmcnt(5)
	v_perm_b32 v91, v90, v65, s18
	ds_read_u16 v65, v78 offset:5632
	ds_read_u16 v90, v78 offset:5808
	;; [unrolled: 1-line block ×7, first 2 shown]
	s_waitcnt lgkmcnt(5)
	v_perm_b32 v90, v90, v65, s18
	v_cvt_f32_f16_e32 v88, v88
	v_cvt_f32_f16_e32 v89, v89
	v_cvt_f32_f16_sdwa v93, v53 dst_sel:DWORD dst_unused:UNUSED_PAD src0_sel:WORD_1
	v_pk_mul_f16 v49, v49, v100
	v_mfma_f32_16x16x16_f16 v[86:89], v[90:91], v[104:105], v[86:89]
	v_cvt_f32_f16_e32 v90, v54
	v_cvt_f32_f16_sdwa v91, v54 dst_sel:DWORD dst_unused:UNUSED_PAD src0_sel:WORD_1
	ds_read_u16 v53, v78 offset:5840
	ds_read_u16 v54, v78 offset:5872
	;; [unrolled: 1-line block ×3, first 2 shown]
	v_mfma_f32_16x16x16_f16 v[90:93], v[94:95], v[102:103], v[90:93]
	v_perm_b32 v95, v121, v66, s18
	s_waitcnt lgkmcnt(2)
	v_perm_b32 v94, v53, v126, s18
	ds_read_u16 v53, v80 offset:64
	ds_read_u16 v66, v80 offset:96
	s_nop 2
	v_cvt_f16_f32_e32 v90, v90
	v_cvt_f16_f32_e32 v91, v91
	;; [unrolled: 1-line block ×4, first 2 shown]
	v_cvt_f32_f16_e32 v90, v90
	v_cvt_f32_f16_e32 v91, v91
	;; [unrolled: 1-line block ×4, first 2 shown]
	v_pk_mul_f16 v99, v48, v100
	v_perm_b32 v48, v115, v101, s18
	v_mfma_f32_16x16x16_f16 v[90:93], v[94:95], v[104:105], v[90:93]
	v_cvt_f32_f16_e32 v94, v49
	v_cvt_f32_f16_sdwa v95, v49 dst_sel:DWORD dst_unused:UNUSED_PAD src0_sel:WORD_1
	s_waitcnt lgkmcnt(1)
	v_perm_b32 v49, v53, v97, s18
	v_cvt_f32_f16_e32 v96, v99
	v_cvt_f32_f16_sdwa v97, v99 dst_sel:DWORD dst_unused:UNUSED_PAD src0_sel:WORD_1
	v_pk_mul_f16 v47, v47, v100
	s_waitcnt lgkmcnt(0)
	v_perm_b32 v99, v66, v98, s18
	v_mfma_f32_16x16x16_f16 v[94:97], v[48:49], v[102:103], v[94:97]
	v_pk_mul_f16 v45, v45, v100
	v_cmp_lt_i32_e32 vcc, s88, v68
	v_cvt_pk_f16_f32 v66, v86, v87
	s_and_b64 vcc, exec, vcc
	s_nop 3
	v_cvt_f16_f32_e32 v53, v96
	v_cvt_f16_f32_e32 v48, v94
	;; [unrolled: 1-line block ×4, first 2 shown]
	v_cvt_f32_f16_e32 v96, v53
	ds_read_u16 v53, v78 offset:272
	v_cvt_f32_f16_e32 v94, v48
	v_cvt_f32_f16_e32 v95, v49
	v_perm_b32 v49, v122, v118, s18
	v_perm_b32 v48, v54, v127, s18
	v_cvt_f32_f16_e32 v97, v97
	v_pk_mul_f16 v54, v46, v100
	s_waitcnt lgkmcnt(0)
	v_perm_b32 v98, v53, v116, s18
	v_mfma_f32_16x16x16_f16 v[94:97], v[48:49], v[104:105], v[94:97]
	v_cvt_f32_f16_e32 v46, v47
	v_cvt_f32_f16_sdwa v47, v47 dst_sel:DWORD dst_unused:UNUSED_PAD src0_sel:WORD_1
	v_cvt_f32_f16_e32 v48, v54
	v_cvt_f32_f16_sdwa v49, v54 dst_sel:DWORD dst_unused:UNUSED_PAD src0_sel:WORD_1
	v_pk_mul_f16 v54, v44, v100
	v_cvt_f32_f16_e32 v44, v45
	v_mfma_f32_16x16x16_f16 v[46:49], v[98:99], v[102:103], v[46:49]
	v_perm_b32 v99, v123, v119, s18
	v_perm_b32 v98, v65, v128, s18
	v_cvt_f32_f16_sdwa v45, v45 dst_sel:DWORD dst_unused:UNUSED_PAD src0_sel:WORD_1
	v_add_f32_e32 v53, v69, v106
	s_nop 3
	v_cvt_f16_f32_e32 v46, v46
	v_cvt_f16_f32_e32 v47, v47
	;; [unrolled: 1-line block ×4, first 2 shown]
	v_cvt_f32_f16_e32 v46, v46
	v_cvt_f32_f16_e32 v47, v47
	v_cvt_f32_f16_e32 v48, v48
	v_cvt_f32_f16_e32 v49, v49
	v_add_f32_e32 v53, v107, v53
	v_add_f32_e32 v53, v108, v53
	v_mfma_f32_16x16x16_f16 v[98:101], v[98:99], v[104:105], v[46:49]
	v_add_f32_e32 v53, v109, v53
	v_add_f32_e32 v53, v110, v53
	s_nop 0
	v_perm_b32 v49, v125, v120, s18
	v_perm_b32 v48, v130, v117, s18
	v_cvt_f32_f16_e32 v46, v54
	v_cvt_f32_f16_sdwa v47, v54 dst_sel:DWORD dst_unused:UNUSED_PAD src0_sel:WORD_1
	v_add_f32_e32 v53, v111, v53
	v_add_f32_e32 v69, v112, v53
	v_mfma_f32_16x16x16_f16 v[44:47], v[48:49], v[102:103], v[44:47]
	v_perm_b32 v49, v124, v114, s18
	v_perm_b32 v48, v113, v129, s18
	v_fmac_f32_e32 v69, v84, v85
	v_cvt_pk_f16_f32 v54, v90, v91
	s_nop 3
	v_cvt_f16_f32_e32 v44, v44
	v_cvt_f16_f32_e32 v45, v45
	;; [unrolled: 1-line block ×4, first 2 shown]
	v_cvt_f32_f16_e32 v44, v44
	v_cvt_f32_f16_e32 v45, v45
	;; [unrolled: 1-line block ×4, first 2 shown]
	v_cvt_pk_f16_f32 v53, v92, v93
	v_cvt_pk_f16_f32 v65, v88, v89
	v_mfma_f32_16x16x16_f16 v[102:105], v[48:49], v[104:105], v[44:47]
	v_cvt_pk_f16_f32 v49, v94, v95
	v_cvt_pk_f16_f32 v48, v96, v97
	s_nop 0
	v_cvt_pk_f16_f32 v47, v98, v99
	v_cvt_pk_f16_f32 v46, v100, v101
	s_nop 2
	v_cvt_pk_f16_f32 v45, v102, v103
	v_cvt_pk_f16_f32 v44, v104, v105
	s_barrier
	s_cbranch_vccz .LBB9_232
; %bb.230:                              ;   in Loop: Header=BB9_225 Depth=1
	v_mov_b32_e32 v84, v69
	v_mov_b32_e32 v85, v58
	s_branch .LBB9_225
.LBB9_231:
	v_mov_b32_e32 v58, 0xfeffffff
	v_mov_b32_e32 v69, 0
	;; [unrolled: 1-line block ×12, first 2 shown]
	s_branch .LBB9_233
.LBB9_232:
	v_mov_b64_e32 v[22:23], s[38:39]
.LBB9_233:
	s_lshl_b32 s8, s88, 6
	s_ashr_i32 s9, s8, 31
	s_lshl_b64 s[0:1], s[8:9], 1
	s_add_u32 s0, s6, s0
	s_addc_u32 s1, s7, s1
	v_lshl_add_u64 v[20:21], v[20:21], 1, s[0:1]
	v_lshl_add_u64 v[20:21], v[18:19], 1, v[20:21]
	global_load_dword v24, v[20:21], off
	v_mul_hi_u32 v19, v22, s8
	v_mul_lo_u32 v21, v22, s9
	v_lshlrev_b32_e32 v18, 1, v18
	v_mul_lo_u32 v20, v23, s8
	v_add_u32_e32 v19, v19, v21
	v_add3_u32 v25, 0, v67, v18
	v_mul_lo_u32 v18, v22, s8
	v_add_u32_e32 v19, v19, v20
	v_cmp_gt_u32_e32 vcc, 64, v56
	v_lshlrev_b64 v[20:21], 2, v[18:19]
	v_cmp_lt_u32_e64 s[0:1], 63, v56
                                        ; implicit-def: $vgpr22
                                        ; implicit-def: $vgpr18
	s_waitcnt vmcnt(0)
	ds_write_b32 v25, v24 offset:11264
	s_and_saveexec_b64 s[6:7], s[0:1]
	s_xor_b64 s[0:1], exec, s[6:7]
; %bb.234:
	v_mul_i32_i24_e32 v22, 0xb0, v56
	v_and_or_b32 v18, v64, 4, 32
	v_mov_b32_e32 v19, 0
                                        ; implicit-def: $vgpr64
; %bb.235:
	s_or_saveexec_b64 s[0:1], s[0:1]
	v_lshl_add_u64 v[20:21], s[4:5], 0, v[20:21]
	s_xor_b64 exec, exec, s[0:1]
	s_cbranch_execz .LBB9_237
; %bb.236:
	v_mul_lo_u32 v18, v56, s38
	v_ashrrev_i32_e32 v19, 31, v18
	v_lshl_add_u64 v[22:23], v[18:19], 2, v[20:21]
	v_and_b32_e32 v18, 4, v64
	v_mov_b32_e32 v19, 0
	v_lshlrev_b32_e32 v24, 2, v18
	v_mov_b32_e32 v25, v19
	v_lshl_add_u64 v[22:23], v[22:23], 0, v[24:25]
	global_load_dwordx4 v[30:33], v[22:23], off offset:128
	v_mul_i32_i24_e32 v22, 0xb0, v56
	v_or_b32_e32 v18, 32, v18
	v_add3_u32 v23, 0, v22, v24
	s_waitcnt vmcnt(0)
	ds_write_b128 v23, v[30:33] offset:128
.LBB9_237:
	s_or_b64 exec, exec, s[0:1]
	v_lshl_add_u64 v[24:25], v[14:15], 2, v[20:21]
	v_lshlrev_b64 v[14:15], 2, v[12:13]
	v_lshl_add_u64 v[24:25], v[24:25], 0, v[14:15]
	v_lshl_add_u64 v[16:17], v[16:17], 2, v[20:21]
	;; [unrolled: 1-line block ×3, first 2 shown]
	global_load_dwordx4 v[30:33], v[24:25], off
	global_load_dwordx4 v[70:73], v[16:17], off
	v_lshlrev_b32_e32 v13, 2, v12
	v_add_u32_e32 v16, 0, v57
	v_mul_u32_u24_e32 v17, 0xb0, v59
	v_add3_u32 v12, 0, v60, v13
	v_add3_u32 v16, v16, v40, v17
	;; [unrolled: 1-line block ×3, first 2 shown]
	v_add_u32_e32 v17, 0x1000, v16
	v_and_b32_e32 v20, 0xfc, v61
	v_lshrrev_b32_e32 v21, 2, v62
	v_mul_u32_u24_e32 v21, 0x90, v21
	v_add_lshl_u32 v20, v59, v20, 1
	v_mbcnt_hi_u32_b32 v23, -1, v43
	v_and_b32_e32 v24, 64, v23
	v_xor_b32_e32 v28, 32, v23
	v_add_u32_e32 v43, 64, v24
	v_cmp_lt_i32_e64 s[0:1], v28, v43
	s_waitcnt vmcnt(1)
	ds_write_b128 v12, v[30:33]
	s_waitcnt vmcnt(0)
	ds_write_b128 v13, v[70:73]
	s_waitcnt lgkmcnt(0)
	s_barrier
	ds_read2_b64 v[30:33], v16 offset1:4
	ds_read2_b64 v[70:73], v17 offset0:192 offset1:196
	s_waitcnt lgkmcnt(1)
	v_mfma_f32_16x16x16_f16 v[60:63], v[30:31], v[4:5], 0
	ds_read2_b64 v[78:81], v16 offset0:8 offset1:12
	v_mfma_f32_16x16x16_f16 v[30:33], v[32:33], v[6:7], v[60:63]
	s_nop 5
	ds_read2_b64 v[60:63], v17 offset0:200 offset1:204
	s_waitcnt lgkmcnt(2)
	v_mfma_f32_16x16x16_f16 v[74:77], v[70:71], v[4:5], 0
	v_add3_u32 v4, 0, v21, v20
	v_add_u32_e32 v57, 0x2c00, v4
	ds_read_b64 v[20:21], v16 offset:128
	ds_read_b64 v[24:25], v16 offset:5760
	v_mfma_f32_16x16x16_f16 v[4:7], v[72:73], v[6:7], v[74:77]
	s_waitcnt lgkmcnt(0)
	s_barrier
	v_mfma_f32_16x16x16_f16 v[30:33], v[78:79], v[0:1], v[30:33]
	ds_read2_b32 v[34:35], v57 offset1:1
	v_mfma_f32_16x16x16_f16 v[4:7], v[60:61], v[0:1], v[4:7]
	v_cndmask_b32_e64 v0, v23, v28, s[0:1]
	ds_read2_b32 v[60:61], v57 offset0:16 offset1:17
	v_lshlrev_b32_e32 v16, 2, v0
	v_mfma_f32_16x16x16_f16 v[30:33], v[80:81], v[2:3], v[30:33]
	s_waitcnt lgkmcnt(1)
	v_cvt_f32_f16_e32 v17, v34
	v_cvt_f32_f16_sdwa v28, v34 dst_sel:DWORD dst_unused:UNUSED_PAD src0_sel:WORD_1
	v_cvt_f32_f16_sdwa v34, v35 dst_sel:DWORD dst_unused:UNUSED_PAD src0_sel:WORD_1
	v_mfma_f32_16x16x16_f16 v[0:3], v[62:63], v[2:3], v[4:7]
	s_waitcnt lgkmcnt(0)
	v_cvt_f32_f16_sdwa v57, v61 dst_sel:DWORD dst_unused:UNUSED_PAD src0_sel:WORD_1
	v_mfma_f32_16x16x16_f16 v[30:33], v[20:21], v[10:11], v[30:33]
	v_cvt_f32_f16_e32 v4, v35
	v_cvt_f32_f16_e32 v35, v60
	v_cvt_f32_f16_sdwa v20, v60 dst_sel:DWORD dst_unused:UNUSED_PAD src0_sel:WORD_1
	v_cvt_f32_f16_e32 v21, v61
	v_mfma_f32_16x16x16_f16 v[60:63], v[24:25], v[10:11], v[0:3]
	s_nop 2
	v_add_f32_e32 v7, v30, v17
	v_add_f32_e32 v6, v31, v28
	;; [unrolled: 1-line block ×10, first 2 shown]
	v_max3_f32 v10, v58, v10, v11
	v_add_f32_e32 v1, v62, v21
	v_add_f32_e32 v0, v63, v57
	;; [unrolled: 1-line block ×4, first 2 shown]
	v_max3_f32 v10, v10, v17, v20
	v_add_f32_e32 v25, 0x40051340, v1
	v_add_f32_e32 v28, 0x40051340, v0
	v_max3_f32 v10, v10, v21, v24
	v_max3_f32 v10, v10, v25, v28
	ds_bpermute_b32 v11, v16, v10
	v_xor_b32_e32 v17, 16, v23
	v_cmp_lt_i32_e64 s[0:1], v17, v43
	s_waitcnt lgkmcnt(0)
	v_max_f32_e32 v11, v11, v11
	v_cndmask_b32_e64 v17, v23, v17, s[0:1]
	v_lshlrev_b32_e32 v21, 2, v17
	v_max_f32_e32 v10, v10, v11
	ds_bpermute_b32 v11, v21, v10
	s_mul_hi_i32 s1, s8, s34
	s_mul_i32 s0, s8, s34
	s_lshl_b64 s[0:1], s[0:1], 2
	s_add_u32 s0, s2, s0
	s_addc_u32 s1, s3, s1
	s_and_saveexec_b64 s[4:5], vcc
	s_cbranch_execz .LBB9_239
; %bb.238:
	v_mul_lo_u32 v24, v56, s34
	v_ashrrev_i32_e32 v25, 31, v24
	v_lshl_add_u64 v[24:25], v[24:25], 2, s[0:1]
	v_lshl_add_u64 v[24:25], v[18:19], 2, v[24:25]
	global_load_dwordx4 v[30:33], v[24:25], off
	v_lshlrev_b32_e32 v17, 2, v18
	v_add3_u32 v17, 0, v22, v17
	s_waitcnt vmcnt(0)
	ds_write_b128 v17, v[30:33]
.LBB9_239:
	s_or_b64 exec, exec, s[4:5]
	s_waitcnt lgkmcnt(0)
	v_max_f32_e32 v11, v11, v11
	v_max_f32_e32 v10, v10, v10
	;; [unrolled: 1-line block ×3, first 2 shown]
	v_sub_f32_e32 v7, v7, v20
	s_mov_b32 s4, 0x3fb8aa3b
	v_mul_f32_e32 v10, 0x3fb8aa3b, v7
	v_fma_f32 v11, v7, s4, -v10
	v_rndne_f32_e32 v17, v10
	v_fmac_f32_e32 v11, 0x32a5705f, v7
	v_sub_f32_e32 v10, v10, v17
	v_add_f32_e32 v10, v10, v11
	v_exp_f32_e32 v10, v10
	v_cvt_i32_f32_e32 v11, v17
	v_sub_f32_e32 v6, v6, v20
	s_mov_b32 s2, 0xc2ce8ed0
	v_cmp_ngt_f32_e32 vcc, s2, v7
	v_ldexp_f32 v10, v10, v11
	v_mul_f32_e32 v11, 0x3fb8aa3b, v6
	v_fma_f32 v17, v6, s4, -v11
	v_rndne_f32_e32 v18, v11
	v_fmac_f32_e32 v17, 0x32a5705f, v6
	v_sub_f32_e32 v11, v11, v18
	v_add_f32_e32 v11, v11, v17
	v_exp_f32_e32 v11, v11
	v_cvt_i32_f32_e32 v17, v18
	s_mov_b32 s3, 0x42b17218
	v_sub_f32_e32 v5, v5, v20
	v_cndmask_b32_e32 v10, 0, v10, vcc
	v_cmp_nlt_f32_e32 vcc, s3, v7
	v_ldexp_f32 v7, v11, v17
	v_mul_f32_e32 v11, 0x3fb8aa3b, v5
	v_fma_f32 v17, v5, s4, -v11
	v_rndne_f32_e32 v19, v11
	v_fmac_f32_e32 v17, 0x32a5705f, v5
	v_sub_f32_e32 v11, v11, v19
	v_add_f32_e32 v11, v11, v17
	v_exp_f32_e32 v17, v11
	v_cvt_i32_f32_e32 v19, v19
	v_mov_b32_e32 v18, 0x7f800000
	v_cndmask_b32_e32 v10, v18, v10, vcc
	v_cmp_ngt_f32_e32 vcc, s2, v6
	v_sub_f32_e32 v3, v3, v20
	v_sub_f32_e32 v2, v2, v20
	v_cndmask_b32_e32 v7, 0, v7, vcc
	v_cmp_nlt_f32_e32 vcc, s3, v6
	v_ldexp_f32 v6, v17, v19
	v_sub_f32_e32 v17, v4, v20
	v_mul_f32_e32 v4, 0x3fb8aa3b, v17
	v_cndmask_b32_e32 v11, v18, v7, vcc
	v_fma_f32 v7, v17, s4, -v4
	v_rndne_f32_e32 v19, v4
	v_fmac_f32_e32 v7, 0x32a5705f, v17
	v_sub_f32_e32 v4, v4, v19
	v_add_f32_e32 v4, v4, v7
	v_exp_f32_e32 v4, v4
	v_cvt_i32_f32_e32 v7, v19
	v_cmp_ngt_f32_e32 vcc, s2, v5
	v_sub_f32_e32 v1, v1, v20
	v_sub_f32_e32 v0, v0, v20
	v_cndmask_b32_e32 v6, 0, v6, vcc
	v_cmp_nlt_f32_e32 vcc, s3, v5
	v_ldexp_f32 v19, v4, v7
	v_mul_f32_e32 v4, 0x3fb8aa3b, v3
	v_cndmask_b32_e32 v28, v18, v6, vcc
	v_fma_f32 v5, v3, s4, -v4
	v_rndne_f32_e32 v6, v4
	v_fmac_f32_e32 v5, 0x32a5705f, v3
	v_sub_f32_e32 v4, v4, v6
	v_add_f32_e32 v4, v4, v5
	v_exp_f32_e32 v30, v4
	v_mul_lo_u32 v4, v55, s34
	v_cvt_i32_f32_e32 v31, v6
	v_ashrrev_i32_e32 v5, 31, v4
	v_lshl_add_u64 v[6:7], v[8:9], 2, s[0:1]
	v_lshl_add_u64 v[8:9], v[6:7], 0, v[14:15]
	;; [unrolled: 1-line block ×4, first 2 shown]
	global_load_dwordx4 v[4:7], v[8:9], off
	global_load_dwordx4 v[22:25], v[14:15], off
	v_mul_f32_e32 v9, 0x3fb8aa3b, v2
	v_fma_f32 v14, v2, s4, -v9
	v_rndne_f32_e32 v15, v9
	v_fmac_f32_e32 v14, 0x32a5705f, v2
	v_sub_f32_e32 v9, v9, v15
	v_cmp_ngt_f32_e32 vcc, s2, v17
	v_add_f32_e32 v9, v9, v14
	v_exp_f32_e32 v9, v9
	v_cndmask_b32_e32 v8, 0, v19, vcc
	v_cmp_nlt_f32_e32 vcc, s3, v17
	v_cvt_i32_f32_e32 v14, v15
	s_mov_b32 s0, 0xc1a00000
	v_cndmask_b32_e32 v17, v18, v8, vcc
	v_ldexp_f32 v8, v30, v31
	v_cmp_ngt_f32_e32 vcc, s2, v3
	s_waitcnt vmcnt(1)
	ds_write_b128 v12, v[4:7]
	s_waitcnt vmcnt(0)
	ds_write_b128 v13, v[22:25]
	v_cndmask_b32_e32 v8, 0, v8, vcc
	v_cmp_nlt_f32_e32 vcc, s3, v3
	v_ldexp_f32 v3, v9, v14
	s_waitcnt lgkmcnt(0)
	v_cndmask_b32_e32 v32, v18, v8, vcc
	v_mul_f32_e32 v8, 0x3fb8aa3b, v1
	v_fma_f32 v9, v1, s4, -v8
	v_rndne_f32_e32 v14, v8
	v_fmac_f32_e32 v9, 0x32a5705f, v1
	v_sub_f32_e32 v8, v8, v14
	v_add_f32_e32 v8, v8, v9
	v_exp_f32_e32 v8, v8
	v_cvt_i32_f32_e32 v9, v14
	v_cmp_ngt_f32_e32 vcc, s2, v2
	s_barrier
	s_nop 0
	v_cndmask_b32_e32 v3, 0, v3, vcc
	v_cmp_nlt_f32_e32 vcc, s3, v2
	v_ldexp_f32 v2, v8, v9
	s_nop 0
	v_cndmask_b32_e32 v33, v18, v3, vcc
	v_mul_f32_e32 v3, 0x3fb8aa3b, v0
	v_fma_f32 v8, v0, s4, -v3
	v_rndne_f32_e32 v9, v3
	v_fmac_f32_e32 v8, 0x32a5705f, v0
	v_sub_f32_e32 v3, v3, v9
	v_add_f32_e32 v3, v3, v8
	v_cvt_i32_f32_e32 v8, v9
	v_sub_f32_e32 v9, v58, v20
	v_mul_f32_e32 v14, 0x3fb8aa3b, v9
	v_fma_f32 v15, v9, s4, -v14
	v_rndne_f32_e32 v19, v14
	v_fmac_f32_e32 v15, 0x32a5705f, v9
	v_sub_f32_e32 v14, v14, v19
	v_add_f32_e32 v14, v14, v15
	v_exp_f32_e32 v14, v14
	v_cvt_i32_f32_e32 v15, v19
	v_cmp_ngt_f32_e32 vcc, s2, v1
	v_exp_f32_e32 v3, v3
	v_cvt_pk_f16_f32 v19, v28, v17
	v_cndmask_b32_e32 v2, 0, v2, vcc
	v_cmp_nlt_f32_e32 vcc, s3, v1
	v_ldexp_f32 v1, v3, v8
	v_and_b32_e32 v8, 0xfc, v52
	v_cndmask_b32_e32 v34, v18, v2, vcc
	v_ldexp_f32 v2, v14, v15
	v_cmp_ngt_f32_e32 vcc, s2, v9
	v_mul_u32_u24_e32 v8, 0xb0, v8
	v_cvt_pk_f16_f32 v30, v32, v33
	v_cndmask_b32_e32 v2, 0, v2, vcc
	v_cmp_nlt_f32_e32 vcc, s3, v9
	s_nop 1
	v_cndmask_b32_e32 v2, v18, v2, vcc
	v_cmp_le_f32_e32 vcc, s0, v9
	s_movk_i32 s0, 0x160
	v_mad_u32_u24 v4, v51, s0, 0
	v_cndmask_b32_e32 v35, 0, v2, vcc
	v_cvt_f16_f32_e32 v2, v35
	v_cmp_ngt_f32_e32 vcc, s2, v0
	v_add3_u32 v22, v4, v8, v50
	s_mov_b32 s0, 0x5040100
	v_cndmask_b32_e32 v1, 0, v1, vcc
	v_cmp_nlt_f32_e32 vcc, s3, v0
	v_or_b32_e32 v0, 3, v52
	v_mul_u32_u24_e32 v55, 0x10001, v2
	v_mul_u32_u24_e32 v0, 0xb0, v0
	v_or_b32_e32 v2, 2, v52
	v_mul_u32_u24_e32 v2, 0xb0, v2
	v_add3_u32 v12, v4, v0, v50
	v_add3_u32 v6, v4, v2, v50
	ds_read_u16 v4, v12
	ds_read_u16 v5, v6
	ds_read_u16 v7, v6 offset:32
	ds_read_u16 v15, v6 offset:64
	;; [unrolled: 1-line block ×6, first 2 shown]
	s_waitcnt lgkmcnt(6)
	v_perm_b32 v5, v4, v5, s0
	ds_read_u16 v4, v22 offset:176
	ds_read_u16 v9, v22
	ds_read_u16 v13, v22 offset:32
	ds_read_u16 v14, v22 offset:208
	;; [unrolled: 1-line block ×6, first 2 shown]
	v_cndmask_b32_e32 v43, v18, v1, vcc
	v_pk_mul_f16 v1, v66, v55
	v_pk_mul_f16 v3, v65, v55
	s_waitcnt lgkmcnt(6)
	v_perm_b32 v4, v4, v9, s0
	v_cvt_f32_f16_e32 v0, v1
	v_cvt_f32_f16_sdwa v1, v1 dst_sel:DWORD dst_unused:UNUSED_PAD src0_sel:WORD_1
	v_cvt_f32_f16_e32 v2, v3
	v_cvt_f32_f16_sdwa v3, v3 dst_sel:DWORD dst_unused:UNUSED_PAD src0_sel:WORD_1
	v_cvt_pk_f16_f32 v18, v10, v11
	v_pk_mul_f16 v9, v54, v55
	v_cvt_pk_f16_f32 v31, v34, v43
	v_mfma_f32_16x16x16_f16 v[0:3], v[4:5], v[18:19], v[0:3]
	ds_read_u16 v4, v6 offset:5632
	ds_read_u16 v54, v6 offset:5664
	;; [unrolled: 1-line block ×11, first 2 shown]
	s_waitcnt lgkmcnt(5)
	v_perm_b32 v5, v5, v4, s0
	ds_read_u16 v4, v22 offset:5632
	ds_read_u16 v6, v22 offset:5808
	;; [unrolled: 1-line block ×7, first 2 shown]
	v_cvt_f16_f32_e32 v0, v0
	v_cvt_f16_f32_e32 v1, v1
	;; [unrolled: 1-line block ×4, first 2 shown]
	s_waitcnt lgkmcnt(5)
	v_perm_b32 v4, v6, v4, s0
	v_cvt_f32_f16_e32 v0, v0
	v_cvt_f32_f16_e32 v1, v1
	;; [unrolled: 1-line block ×4, first 2 shown]
	v_pk_mul_f16 v53, v53, v55
	v_pk_mul_f16 v48, v48, v55
	v_mfma_f32_16x16x16_f16 v[0:3], v[4:5], v[30:31], v[0:3]
	v_cvt_f32_f16_e32 v4, v9
	v_cvt_f32_f16_sdwa v5, v9 dst_sel:DWORD dst_unused:UNUSED_PAD src0_sel:WORD_1
	v_perm_b32 v9, v8, v7, s0
	v_perm_b32 v8, v14, v13, s0
	v_cvt_f32_f16_e32 v6, v53
	v_cvt_f32_f16_sdwa v7, v53 dst_sel:DWORD dst_unused:UNUSED_PAD src0_sel:WORD_1
	ds_read_u16 v13, v22 offset:5840
	ds_read_u16 v53, v22 offset:5872
	;; [unrolled: 1-line block ×3, first 2 shown]
	v_mfma_f32_16x16x16_f16 v[4:7], v[8:9], v[18:19], v[4:7]
	v_perm_b32 v9, v60, v54, s0
	s_waitcnt lgkmcnt(2)
	v_perm_b32 v8, v13, v65, s0
	ds_read_u16 v54, v12 offset:64
	ds_read_u16 v60, v12 offset:96
	s_nop 2
	v_cvt_f16_f32_e32 v4, v4
	v_cvt_f16_f32_e32 v5, v5
	;; [unrolled: 1-line block ×4, first 2 shown]
	v_cvt_f32_f16_e32 v4, v4
	v_cvt_f32_f16_e32 v5, v5
	;; [unrolled: 1-line block ×4, first 2 shown]
	v_pk_mul_f16 v13, v49, v55
	v_cvt_f32_f16_e32 v14, v48
	v_mfma_f32_16x16x16_f16 v[4:7], v[8:9], v[30:31], v[4:7]
	s_waitcnt lgkmcnt(1)
	v_perm_b32 v9, v54, v15, s0
	v_perm_b32 v8, v25, v24, s0
	v_cvt_f32_f16_e32 v12, v13
	v_cvt_f32_f16_sdwa v13, v13 dst_sel:DWORD dst_unused:UNUSED_PAD src0_sel:WORD_1
	v_cvt_f32_f16_sdwa v15, v48 dst_sel:DWORD dst_unused:UNUSED_PAD src0_sel:WORD_1
	ds_read_u16 v22, v22 offset:272
	v_pk_mul_f16 v25, v47, v55
	v_mfma_f32_16x16x16_f16 v[12:15], v[8:9], v[18:19], v[12:15]
	v_pk_mul_f16 v46, v46, v55
	s_waitcnt lgkmcnt(1)
	v_perm_b32 v23, v60, v23, s0
	s_waitcnt lgkmcnt(0)
	v_perm_b32 v22, v22, v52, s0
	v_add_f32_e32 v24, v10, v11
	s_nop 1
	v_cvt_f16_f32_e32 v8, v12
	v_cvt_f16_f32_e32 v9, v13
	;; [unrolled: 1-line block ×4, first 2 shown]
	v_cvt_f32_f16_e32 v12, v8
	v_cvt_f32_f16_e32 v13, v9
	v_perm_b32 v9, v61, v57, s0
	v_perm_b32 v8, v53, v66, s0
	v_cvt_f32_f16_e32 v14, v14
	v_cvt_f32_f16_e32 v15, v15
	v_add_f32_e32 v24, v28, v24
	v_add_f32_e32 v17, v17, v24
	v_mfma_f32_16x16x16_f16 v[8:11], v[8:9], v[30:31], v[12:15]
	v_add_f32_e32 v17, v32, v17
	v_add_f32_e32 v17, v33, v17
	s_nop 0
	v_cvt_f32_f16_e32 v12, v25
	v_cvt_f32_f16_sdwa v13, v25 dst_sel:DWORD dst_unused:UNUSED_PAD src0_sel:WORD_1
	v_cvt_f32_f16_e32 v14, v46
	v_cvt_f32_f16_sdwa v15, v46 dst_sel:DWORD dst_unused:UNUSED_PAD src0_sel:WORD_1
	v_pk_mul_f16 v24, v45, v55
	v_pk_mul_f16 v25, v44, v55
	v_mfma_f32_16x16x16_f16 v[12:15], v[22:23], v[18:19], v[12:15]
	v_perm_b32 v23, v62, v58, s0
	v_perm_b32 v22, v71, v67, s0
	;; [unrolled: 1-line block ×4, first 2 shown]
	s_nop 3
	v_cvt_f16_f32_e32 v12, v12
	v_cvt_f16_f32_e32 v13, v13
	;; [unrolled: 1-line block ×4, first 2 shown]
	v_cvt_f32_f16_e32 v12, v12
	v_cvt_f32_f16_e32 v13, v13
	;; [unrolled: 1-line block ×4, first 2 shown]
	v_add_f32_e32 v17, v34, v17
	v_add_f32_e32 v28, v43, v17
	v_mfma_f32_16x16x16_f16 v[12:15], v[22:23], v[30:31], v[12:15]
	v_cvt_f32_f16_e32 v22, v24
	v_cvt_f32_f16_sdwa v23, v24 dst_sel:DWORD dst_unused:UNUSED_PAD src0_sel:WORD_1
	v_cvt_f32_f16_e32 v24, v25
	v_cvt_f32_f16_sdwa v25, v25 dst_sel:DWORD dst_unused:UNUSED_PAD src0_sel:WORD_1
	v_fmac_f32_e32 v28, v69, v35
	s_nop 0
	v_mfma_f32_16x16x16_f16 v[22:25], v[32:33], v[18:19], v[22:25]
	ds_bpermute_b32 v32, v16, v28
	s_barrier
	s_waitcnt lgkmcnt(0)
	s_nop 4
	v_cvt_f16_f32_e32 v18, v23
	v_cvt_f16_f32_e32 v19, v24
	;; [unrolled: 1-line block ×4, first 2 shown]
	v_cvt_f32_f16_e32 v23, v18
	v_cvt_f32_f16_e32 v24, v19
	v_perm_b32 v19, v63, v51, s0
	v_perm_b32 v18, v50, v68, s0
	v_cvt_f32_f16_e32 v22, v17
	v_cvt_f32_f16_e32 v25, v25
	v_cmp_gt_u32_e64 s[0:1], 16, v38
	s_nop 0
	v_mfma_f32_16x16x16_f16 v[16:19], v[18:19], v[30:31], v[22:25]
	s_nop 2
	v_add_f32_e32 v22, v28, v32
	ds_bpermute_b32 v23, v21, v22
	s_and_saveexec_b64 s[4:5], s[0:1]
	s_cbranch_execz .LBB9_241
; %bb.240:
	s_waitcnt lgkmcnt(0)
	v_add_f32_e32 v22, v22, v23
	v_or_b32_e32 v23, v42, v38
	s_movk_i32 s2, 0xb0
	v_mad_i32_i24 v23, v23, s2, 0
	ds_write2_b32 v23, v20, v22 offset0:40 offset1:41
.LBB9_241:
	s_or_b64 exec, exec, s[4:5]
	v_and_b32_e32 v20, 1, v27
	v_cmp_eq_u32_e32 vcc, 0, v20
	v_cmp_eq_u32_e64 s[4:5], 1, v20
	s_waitcnt lgkmcnt(0)
	s_barrier
	s_and_saveexec_b64 s[2:3], s[4:5]
	s_xor_b64 s[4:5], exec, s[2:3]
	s_cbranch_execz .LBB9_243
; %bb.242:
	s_barrier
                                        ; implicit-def: $vgpr37
                                        ; implicit-def: $vgpr21
.LBB9_243:
	s_andn2_saveexec_b64 s[6:7], s[4:5]
	s_cbranch_execz .LBB9_249
; %bb.244:
	v_add_u32_e32 v24, v42, v26
	s_movk_i32 s2, 0xb0
	v_mad_i32_i24 v20, v24, s2, 0
	ds_read_b64 v[30:31], v20 offset:160
	s_mov_b32 s2, 0x3fb8aa3b
	s_mov_b32 s3, 0x42b17218
	s_waitcnt lgkmcnt(0)
	s_barrier
	ds_bpermute_b32 v20, v21, v30
	v_max_f32_e32 v22, v30, v30
	s_waitcnt lgkmcnt(0)
	v_max_f32_e32 v20, v20, v20
	v_max_f32_e32 v20, v22, v20
	v_sub_f32_e32 v22, v30, v20
	v_mul_f32_e32 v23, 0x3fb8aa3b, v22
	v_fma_f32 v25, v22, s2, -v23
	v_rndne_f32_e32 v28, v23
	v_fmamk_f32 v25, v22, 0x32a5705f, v25
	v_sub_f32_e32 v23, v23, v28
	v_add_f32_e32 v23, v23, v25
	v_cvt_i32_f32_e32 v28, v28
	v_exp_f32_e32 v23, v23
	s_mov_b32 s2, 0xc2ce8ed0
	v_cmp_ngt_f32_e64 s[4:5], s2, v22
	v_mov_b32_e32 v25, 0x7f800000
	v_ldexp_f32 v23, v23, v28
	v_cndmask_b32_e64 v23, 0, v23, s[4:5]
	v_cmp_nlt_f32_e64 s[4:5], s3, v22
	s_nop 1
	v_cndmask_b32_e64 v22, v25, v23, s[4:5]
	v_mul_f32_e32 v23, v31, v22
	ds_bpermute_b32 v23, v21, v23
	v_cmp_gt_u32_e64 s[4:5], 32, v38
	s_waitcnt lgkmcnt(0)
	v_fmac_f32_e32 v23, v31, v22
	s_and_saveexec_b64 s[8:9], s[4:5]
; %bb.245:
	v_mul_i32_i24_e32 v21, 0xb0, v24
	v_add_u32_e32 v21, 0, v21
	ds_write_b64 v21, v[22:23] offset:160
; %bb.246:
	s_or_b64 exec, exec, s[8:9]
	s_and_saveexec_b64 s[4:5], s[0:1]
	s_cbranch_execz .LBB9_248
; %bb.247:
	s_add_i32 s0, s35, s33
	s_lshl_b32 s0, s0, 5
	s_mov_b32 s1, 0
	s_lshl_b64 s[0:1], s[0:1], 3
	s_add_u32 s0, s30, s0
	v_or_b32_e32 v21, v37, v38
	s_addc_u32 s1, s31, s1
	v_lshlrev_b32_e32 v22, 3, v21
	v_mov_b32_e32 v21, v23
	global_store_dwordx2 v22, v[20:21], s[0:1]
.LBB9_248:
	s_or_b64 exec, exec, s[4:5]
.LBB9_249:
	s_or_b64 exec, exec, s[6:7]
	v_cvt_pk_f16_f32 v2, v2, v3
	v_cvt_pk_f16_f32 v3, v4, v5
	;; [unrolled: 1-line block ×3, first 2 shown]
	v_or_b32_e32 v10, v42, v41
	v_mul_i32_i24_e32 v10, 0xb0, v10
	v_cvt_pk_f16_f32 v0, v0, v1
	s_movk_i32 s4, 0xb0
	s_mov_b32 s3, 0
	v_add3_u32 v10, 0, v10, v40
	v_cvt_pk_f16_f32 v1, v6, v7
	v_cvt_pk_f16_f32 v5, v8, v9
	;; [unrolled: 1-line block ×6, first 2 shown]
	ds_write2_b32 v10, v0, v2 offset1:1
	ds_write2_b32 v10, v3, v1 offset0:8 offset1:9
	ds_write2_b32 v10, v5, v4 offset0:16 offset1:17
	ds_write2_b32 v10, v7, v6 offset0:24 offset1:25
	ds_write2_b32 v10, v9, v8 offset0:32 offset1:33
	s_waitcnt lgkmcnt(0)
	s_barrier
	s_and_saveexec_b64 s[0:1], vcc
	s_cbranch_execz .LBB9_251
; %bb.250:
	s_mul_i32 s2, s33, 0x500
	s_lshl_b64 s[6:7], s[2:3], 3
	s_add_u32 s5, s30, s6
	s_addc_u32 s6, s31, s7
	s_lshl_b32 s2, s35, 6
	s_lshl_b64 s[2:3], s[2:3], 3
	v_add_u32_e32 v8, v29, v27
	s_add_u32 s2, s5, s2
	v_lshlrev_b32_e32 v9, 1, v8
	v_and_b32_e32 v10, 15, v8
	s_movk_i32 s5, 0xfe0
	v_and_or_b32 v2, v9, s5, v10
	v_mad_u32_u24 v0, v2, s4, v36
	ds_read2st64_b32 v[0:1], v0 offset1:11
	v_mad_u32_u24 v2, v2, s4, 0
	v_add_u32_e32 v2, 0xa0, v2
	ds_read2st64_b32 v[2:3], v2 offset1:11
	s_movk_i32 s5, 0x1fe0
	s_waitcnt lgkmcnt(1)
	v_cvt_f32_f16_e32 v4, v0
	v_cvt_f32_f16_sdwa v5, v0 dst_sel:DWORD dst_unused:UNUSED_PAD src0_sel:WORD_1
	v_cvt_f32_f16_e32 v0, v1
	v_cvt_f32_f16_sdwa v1, v1 dst_sel:DWORD dst_unused:UNUSED_PAD src0_sel:WORD_1
	v_mul_u32_u24_e32 v6, 40, v8
	s_waitcnt lgkmcnt(0)
	v_pk_fma_f32 v[4:5], v[2:3], v[4:5], 0 op_sel_hi:[0,1,0]
	v_mov_b32_e32 v2, v3
	v_pk_fma_f32 v[0:1], v[2:3], v[0:1], v[4:5] op_sel_hi:[0,1,1]
	v_add_u32_e32 v2, 4, v8
	v_lshlrev_b32_e32 v3, 1, v2
	v_and_b32_e32 v2, 15, v2
	v_and_or_b32 v4, v3, s5, v2
	v_mad_u32_u24 v2, v4, s4, v36
	ds_read2st64_b32 v[2:3], v2 offset1:11
	v_mad_u32_u24 v4, v4, s4, 0
	v_add_u32_e32 v4, 0xa0, v4
	ds_read2st64_b32 v[4:5], v4 offset1:11
	v_add_lshl_u32 v11, v6, v26, 3
	s_waitcnt lgkmcnt(1)
	v_cvt_f32_f16_e32 v6, v2
	v_cvt_f32_f16_sdwa v7, v2 dst_sel:DWORD dst_unused:UNUSED_PAD src0_sel:WORD_1
	v_cvt_f32_f16_e32 v2, v3
	v_cvt_f32_f16_sdwa v3, v3 dst_sel:DWORD dst_unused:UNUSED_PAD src0_sel:WORD_1
	s_addc_u32 s3, s6, s3
	global_store_dwordx2 v11, v[0:1], s[2:3]
	s_waitcnt lgkmcnt(0)
	v_pk_fma_f32 v[0:1], v[4:5], v[6:7], 0 op_sel_hi:[0,1,0]
	v_mov_b32_e32 v4, v5
	v_pk_fma_f32 v[0:1], v[4:5], v[2:3], v[0:1] op_sel_hi:[0,1,1]
	v_add_u32_e32 v2, 8, v8
	v_lshlrev_b32_e32 v3, 1, v2
	v_and_b32_e32 v2, 15, v2
	v_and_or_b32 v4, v3, s5, v2
	v_mad_u32_u24 v2, v4, s4, v36
	ds_read2st64_b32 v[2:3], v2 offset1:11
	global_store_dwordx2 v11, v[0:1], s[2:3] offset:1280
	v_mad_u32_u24 v0, v4, s4, 0
	v_add_u32_e32 v0, 0xa0, v0
	ds_read2st64_b32 v[0:1], v0 offset1:11
	s_waitcnt lgkmcnt(1)
	v_cvt_f32_f16_e32 v4, v2
	v_cvt_f32_f16_sdwa v5, v2 dst_sel:DWORD dst_unused:UNUSED_PAD src0_sel:WORD_1
	v_cvt_f32_f16_e32 v2, v3
	v_cvt_f32_f16_sdwa v3, v3 dst_sel:DWORD dst_unused:UNUSED_PAD src0_sel:WORD_1
	v_add_u32_e32 v6, 0xa00, v11
	s_waitcnt lgkmcnt(0)
	v_pk_fma_f32 v[4:5], v[0:1], v[4:5], 0 op_sel_hi:[0,1,0]
	v_mov_b32_e32 v0, v1
	v_pk_fma_f32 v[0:1], v[0:1], v[2:3], v[4:5] op_sel_hi:[0,1,1]
	v_add_u32_e32 v2, 12, v8
	v_lshlrev_b32_e32 v3, 1, v2
	v_and_b32_e32 v2, 15, v2
	v_and_or_b32 v4, v3, s5, v2
	v_mad_u32_u24 v2, v4, s4, v36
	ds_read2st64_b32 v[2:3], v2 offset1:11
	global_store_dwordx2 v6, v[0:1], s[2:3]
	v_mad_u32_u24 v0, v4, s4, 0
	v_add_u32_e32 v0, 0xa0, v0
	ds_read2st64_b32 v[0:1], v0 offset1:11
	s_waitcnt lgkmcnt(1)
	v_cvt_f32_f16_e32 v4, v2
	v_cvt_f32_f16_sdwa v5, v2 dst_sel:DWORD dst_unused:UNUSED_PAD src0_sel:WORD_1
	v_cvt_f32_f16_e32 v2, v3
	v_cvt_f32_f16_sdwa v3, v3 dst_sel:DWORD dst_unused:UNUSED_PAD src0_sel:WORD_1
	v_add_u32_e32 v6, 0xf00, v11
	s_waitcnt lgkmcnt(0)
	v_pk_fma_f32 v[4:5], v[0:1], v[4:5], 0 op_sel_hi:[0,1,0]
	v_mov_b32_e32 v0, v1
	v_pk_fma_f32 v[0:1], v[0:1], v[2:3], v[4:5] op_sel_hi:[0,1,1]
	v_add_u32_e32 v2, 32, v9
	v_and_or_b32 v4, v2, s5, v10
	v_mad_u32_u24 v2, v4, s4, v36
	ds_read2st64_b32 v[2:3], v2 offset1:11
	global_store_dwordx2 v6, v[0:1], s[2:3]
	v_mad_u32_u24 v0, v4, s4, 0
	v_add_u32_e32 v0, 0xa0, v0
	ds_read2st64_b32 v[0:1], v0 offset1:11
	s_waitcnt lgkmcnt(1)
	v_cvt_f32_f16_e32 v4, v2
	v_cvt_f32_f16_sdwa v5, v2 dst_sel:DWORD dst_unused:UNUSED_PAD src0_sel:WORD_1
	v_cvt_f32_f16_e32 v2, v3
	v_cvt_f32_f16_sdwa v3, v3 dst_sel:DWORD dst_unused:UNUSED_PAD src0_sel:WORD_1
	v_add_u32_e32 v6, 0x1400, v11
	s_waitcnt lgkmcnt(0)
	v_pk_fma_f32 v[4:5], v[0:1], v[4:5], 0 op_sel_hi:[0,1,0]
	v_mov_b32_e32 v0, v1
	v_pk_fma_f32 v[0:1], v[0:1], v[2:3], v[4:5] op_sel_hi:[0,1,1]
	v_add_u32_e32 v2, 20, v8
	v_lshlrev_b32_e32 v3, 1, v2
	v_and_b32_e32 v2, 15, v2
	v_and_or_b32 v4, v3, s5, v2
	v_mad_u32_u24 v2, v4, s4, v36
	ds_read2st64_b32 v[2:3], v2 offset1:11
	global_store_dwordx2 v6, v[0:1], s[2:3]
	v_mad_u32_u24 v0, v4, s4, 0
	v_add_u32_e32 v0, 0xa0, v0
	ds_read2st64_b32 v[0:1], v0 offset1:11
	s_waitcnt lgkmcnt(1)
	v_cvt_f32_f16_e32 v4, v2
	v_cvt_f32_f16_sdwa v5, v2 dst_sel:DWORD dst_unused:UNUSED_PAD src0_sel:WORD_1
	v_cvt_f32_f16_e32 v2, v3
	v_cvt_f32_f16_sdwa v3, v3 dst_sel:DWORD dst_unused:UNUSED_PAD src0_sel:WORD_1
	v_add_u32_e32 v6, 0x1900, v11
	s_waitcnt lgkmcnt(0)
	v_pk_fma_f32 v[4:5], v[0:1], v[4:5], 0 op_sel_hi:[0,1,0]
	v_mov_b32_e32 v0, v1
	v_pk_fma_f32 v[0:1], v[0:1], v[2:3], v[4:5] op_sel_hi:[0,1,1]
	v_add_u32_e32 v2, 24, v8
	v_lshlrev_b32_e32 v3, 1, v2
	v_and_b32_e32 v2, 15, v2
	;; [unrolled: 20-line block ×3, first 2 shown]
	v_and_or_b32 v4, v3, s5, v2
	v_mad_u32_u24 v2, v4, s4, v36
	ds_read2st64_b32 v[2:3], v2 offset1:11
	global_store_dwordx2 v6, v[0:1], s[2:3]
	v_mad_u32_u24 v0, v4, s4, 0
	v_add_u32_e32 v0, 0xa0, v0
	ds_read2st64_b32 v[0:1], v0 offset1:11
	s_waitcnt lgkmcnt(1)
	v_cvt_f32_f16_e32 v4, v2
	v_cvt_f32_f16_sdwa v5, v2 dst_sel:DWORD dst_unused:UNUSED_PAD src0_sel:WORD_1
	v_cvt_f32_f16_e32 v2, v3
	v_cvt_f32_f16_sdwa v3, v3 dst_sel:DWORD dst_unused:UNUSED_PAD src0_sel:WORD_1
	v_add_u32_e32 v6, 0x2300, v11
	s_waitcnt lgkmcnt(0)
	v_pk_fma_f32 v[4:5], v[0:1], v[4:5], 0 op_sel_hi:[0,1,0]
	v_mov_b32_e32 v0, v1
	v_pk_fma_f32 v[0:1], v[0:1], v[2:3], v[4:5] op_sel_hi:[0,1,1]
	global_store_dwordx2 v6, v[0:1], s[2:3]
	v_lshl_add_u32 v0, v27, 2, v39
	v_and_b32_e32 v4, 7, v38
	v_and_b32_e32 v11, 15, v0
	v_lshlrev_b32_e32 v12, 1, v0
	s_movk_i32 s5, 0x3fe0
	v_lshl_add_u32 v10, v4, 2, 0
	v_and_or_b32 v1, v12, s5, v11
	v_mul_u32_u24_e32 v5, 40, v0
	v_mad_u32_u24 v0, v1, s4, v10
	v_add_u32_e32 v0, 0x80, v0
	v_mad_u32_u24 v2, v1, s4, 0
	ds_read2st64_b32 v[0:1], v0 offset1:11
	v_add_u32_e32 v2, 0xa0, v2
	ds_read2st64_b32 v[2:3], v2 offset1:11
	v_or_b32_e32 v4, v5, v4
	v_mov_b32_e32 v5, 0
	s_waitcnt lgkmcnt(1)
	v_cvt_f32_f16_e32 v6, v0
	v_cvt_f32_f16_sdwa v7, v0 dst_sel:DWORD dst_unused:UNUSED_PAD src0_sel:WORD_1
	v_cvt_f32_f16_e32 v0, v1
	v_cvt_f32_f16_sdwa v1, v1 dst_sel:DWORD dst_unused:UNUSED_PAD src0_sel:WORD_1
	v_lshl_add_u64 v[8:9], v[4:5], 3, s[2:3]
	s_waitcnt lgkmcnt(0)
	v_pk_fma_f32 v[6:7], v[2:3], v[6:7], 0 op_sel_hi:[0,1,0]
	v_mov_b32_e32 v2, v3
	v_pk_fma_f32 v[0:1], v[2:3], v[0:1], v[6:7] op_sel_hi:[0,1,1]
	global_store_dwordx2 v[8:9], v[0:1], off offset:256
	v_add_u32_e32 v0, 32, v12
	s_movk_i32 s5, 0x7fe0
	v_and_or_b32 v2, v0, s5, v11
	v_mad_u32_u24 v0, v2, s4, v10
	v_add_u32_e32 v0, 0x80, v0
	ds_read2st64_b32 v[0:1], v0 offset1:11
	v_mad_u32_u24 v2, v2, s4, 0
	v_add_u32_e32 v2, 0xa0, v2
	ds_read2st64_b32 v[2:3], v2 offset1:11
	v_add_u32_e32 v4, 0x280, v4
	s_waitcnt lgkmcnt(1)
	v_cvt_f32_f16_e32 v6, v0
	v_cvt_f32_f16_sdwa v7, v0 dst_sel:DWORD dst_unused:UNUSED_PAD src0_sel:WORD_1
	v_cvt_f32_f16_e32 v0, v1
	v_cvt_f32_f16_sdwa v1, v1 dst_sel:DWORD dst_unused:UNUSED_PAD src0_sel:WORD_1
	v_lshl_add_u64 v[4:5], v[4:5], 3, s[2:3]
	s_waitcnt lgkmcnt(0)
	v_pk_fma_f32 v[6:7], v[2:3], v[6:7], 0 op_sel_hi:[0,1,0]
	v_mov_b32_e32 v2, v3
	v_pk_fma_f32 v[0:1], v[2:3], v[0:1], v[6:7] op_sel_hi:[0,1,1]
	global_store_dwordx2 v[4:5], v[0:1], off offset:256
.LBB9_251:
	s_or_b64 exec, exec, s[0:1]
	s_barrier
	s_endpgm
	.section	.rodata,"a",@progbits
	.p2align	6, 0x0
	.amdhsa_kernel _ZL18flash_attn_ext_f16ILi80ELi80ELi8ELi4ELb0ELb0EEvPKcS1_S1_S1_S1_PKiPfP15HIP_vector_typeIfLj2EEffffjfiS5_IjLj3EEiiiiiiiiiiiliiliiiiil
		.amdhsa_group_segment_fixed_size 0
		.amdhsa_private_segment_fixed_size 0
		.amdhsa_kernarg_size 464
		.amdhsa_user_sgpr_count 2
		.amdhsa_user_sgpr_dispatch_ptr 0
		.amdhsa_user_sgpr_queue_ptr 0
		.amdhsa_user_sgpr_kernarg_segment_ptr 1
		.amdhsa_user_sgpr_dispatch_id 0
		.amdhsa_user_sgpr_kernarg_preload_length 0
		.amdhsa_user_sgpr_kernarg_preload_offset 0
		.amdhsa_user_sgpr_private_segment_size 0
		.amdhsa_uses_dynamic_stack 0
		.amdhsa_enable_private_segment 0
		.amdhsa_system_sgpr_workgroup_id_x 1
		.amdhsa_system_sgpr_workgroup_id_y 0
		.amdhsa_system_sgpr_workgroup_id_z 0
		.amdhsa_system_sgpr_workgroup_info 0
		.amdhsa_system_vgpr_workitem_id 1
		.amdhsa_next_free_vgpr 165
		.amdhsa_next_free_sgpr 100
		.amdhsa_accum_offset 168
		.amdhsa_reserve_vcc 1
		.amdhsa_float_round_mode_32 0
		.amdhsa_float_round_mode_16_64 0
		.amdhsa_float_denorm_mode_32 3
		.amdhsa_float_denorm_mode_16_64 3
		.amdhsa_dx10_clamp 1
		.amdhsa_ieee_mode 1
		.amdhsa_fp16_overflow 0
		.amdhsa_tg_split 0
		.amdhsa_exception_fp_ieee_invalid_op 0
		.amdhsa_exception_fp_denorm_src 0
		.amdhsa_exception_fp_ieee_div_zero 0
		.amdhsa_exception_fp_ieee_overflow 0
		.amdhsa_exception_fp_ieee_underflow 0
		.amdhsa_exception_fp_ieee_inexact 0
		.amdhsa_exception_int_div_zero 0
	.end_amdhsa_kernel
	.section	.text._ZL18flash_attn_ext_f16ILi80ELi80ELi8ELi4ELb0ELb0EEvPKcS1_S1_S1_S1_PKiPfP15HIP_vector_typeIfLj2EEffffjfiS5_IjLj3EEiiiiiiiiiiiliiliiiiil,"axG",@progbits,_ZL18flash_attn_ext_f16ILi80ELi80ELi8ELi4ELb0ELb0EEvPKcS1_S1_S1_S1_PKiPfP15HIP_vector_typeIfLj2EEffffjfiS5_IjLj3EEiiiiiiiiiiiliiliiiiil,comdat
.Lfunc_end9:
	.size	_ZL18flash_attn_ext_f16ILi80ELi80ELi8ELi4ELb0ELb0EEvPKcS1_S1_S1_S1_PKiPfP15HIP_vector_typeIfLj2EEffffjfiS5_IjLj3EEiiiiiiiiiiiliiliiiiil, .Lfunc_end9-_ZL18flash_attn_ext_f16ILi80ELi80ELi8ELi4ELb0ELb0EEvPKcS1_S1_S1_S1_PKiPfP15HIP_vector_typeIfLj2EEffffjfiS5_IjLj3EEiiiiiiiiiiiliiliiiiil
                                        ; -- End function
	.set _ZL18flash_attn_ext_f16ILi80ELi80ELi8ELi4ELb0ELb0EEvPKcS1_S1_S1_S1_PKiPfP15HIP_vector_typeIfLj2EEffffjfiS5_IjLj3EEiiiiiiiiiiiliiliiiiil.num_vgpr, 165
	.set _ZL18flash_attn_ext_f16ILi80ELi80ELi8ELi4ELb0ELb0EEvPKcS1_S1_S1_S1_PKiPfP15HIP_vector_typeIfLj2EEffffjfiS5_IjLj3EEiiiiiiiiiiiliiliiiiil.num_agpr, 0
	.set _ZL18flash_attn_ext_f16ILi80ELi80ELi8ELi4ELb0ELb0EEvPKcS1_S1_S1_S1_PKiPfP15HIP_vector_typeIfLj2EEffffjfiS5_IjLj3EEiiiiiiiiiiiliiliiiiil.numbered_sgpr, 100
	.set _ZL18flash_attn_ext_f16ILi80ELi80ELi8ELi4ELb0ELb0EEvPKcS1_S1_S1_S1_PKiPfP15HIP_vector_typeIfLj2EEffffjfiS5_IjLj3EEiiiiiiiiiiiliiliiiiil.num_named_barrier, 0
	.set _ZL18flash_attn_ext_f16ILi80ELi80ELi8ELi4ELb0ELb0EEvPKcS1_S1_S1_S1_PKiPfP15HIP_vector_typeIfLj2EEffffjfiS5_IjLj3EEiiiiiiiiiiiliiliiiiil.private_seg_size, 0
	.set _ZL18flash_attn_ext_f16ILi80ELi80ELi8ELi4ELb0ELb0EEvPKcS1_S1_S1_S1_PKiPfP15HIP_vector_typeIfLj2EEffffjfiS5_IjLj3EEiiiiiiiiiiiliiliiiiil.uses_vcc, 1
	.set _ZL18flash_attn_ext_f16ILi80ELi80ELi8ELi4ELb0ELb0EEvPKcS1_S1_S1_S1_PKiPfP15HIP_vector_typeIfLj2EEffffjfiS5_IjLj3EEiiiiiiiiiiiliiliiiiil.uses_flat_scratch, 0
	.set _ZL18flash_attn_ext_f16ILi80ELi80ELi8ELi4ELb0ELb0EEvPKcS1_S1_S1_S1_PKiPfP15HIP_vector_typeIfLj2EEffffjfiS5_IjLj3EEiiiiiiiiiiiliiliiiiil.has_dyn_sized_stack, 0
	.set _ZL18flash_attn_ext_f16ILi80ELi80ELi8ELi4ELb0ELb0EEvPKcS1_S1_S1_S1_PKiPfP15HIP_vector_typeIfLj2EEffffjfiS5_IjLj3EEiiiiiiiiiiiliiliiiiil.has_recursion, 0
	.set _ZL18flash_attn_ext_f16ILi80ELi80ELi8ELi4ELb0ELb0EEvPKcS1_S1_S1_S1_PKiPfP15HIP_vector_typeIfLj2EEffffjfiS5_IjLj3EEiiiiiiiiiiiliiliiiiil.has_indirect_call, 0
	.section	.AMDGPU.csdata,"",@progbits
; Kernel info:
; codeLenInByte = 34420
; TotalNumSgprs: 106
; NumVgprs: 165
; NumAgprs: 0
; TotalNumVgprs: 165
; ScratchSize: 0
; MemoryBound: 0
; FloatMode: 240
; IeeeMode: 1
; LDSByteSize: 0 bytes/workgroup (compile time only)
; SGPRBlocks: 13
; VGPRBlocks: 20
; NumSGPRsForWavesPerEU: 106
; NumVGPRsForWavesPerEU: 165
; AccumOffset: 168
; Occupancy: 3
; WaveLimiterHint : 1
; COMPUTE_PGM_RSRC2:SCRATCH_EN: 0
; COMPUTE_PGM_RSRC2:USER_SGPR: 2
; COMPUTE_PGM_RSRC2:TRAP_HANDLER: 0
; COMPUTE_PGM_RSRC2:TGID_X_EN: 1
; COMPUTE_PGM_RSRC2:TGID_Y_EN: 0
; COMPUTE_PGM_RSRC2:TGID_Z_EN: 0
; COMPUTE_PGM_RSRC2:TIDIG_COMP_CNT: 1
; COMPUTE_PGM_RSRC3_GFX90A:ACCUM_OFFSET: 41
; COMPUTE_PGM_RSRC3_GFX90A:TG_SPLIT: 0
	.section	.text._ZL18flash_attn_ext_f16ILi80ELi80ELi8ELi4ELb1ELb0EEvPKcS1_S1_S1_S1_PKiPfP15HIP_vector_typeIfLj2EEffffjfiS5_IjLj3EEiiiiiiiiiiiliiliiiiil,"axG",@progbits,_ZL18flash_attn_ext_f16ILi80ELi80ELi8ELi4ELb1ELb0EEvPKcS1_S1_S1_S1_PKiPfP15HIP_vector_typeIfLj2EEffffjfiS5_IjLj3EEiiiiiiiiiiiliiliiiiil,comdat
	.globl	_ZL18flash_attn_ext_f16ILi80ELi80ELi8ELi4ELb1ELb0EEvPKcS1_S1_S1_S1_PKiPfP15HIP_vector_typeIfLj2EEffffjfiS5_IjLj3EEiiiiiiiiiiiliiliiiiil ; -- Begin function _ZL18flash_attn_ext_f16ILi80ELi80ELi8ELi4ELb1ELb0EEvPKcS1_S1_S1_S1_PKiPfP15HIP_vector_typeIfLj2EEffffjfiS5_IjLj3EEiiiiiiiiiiiliiliiiiil
	.p2align	8
	.type	_ZL18flash_attn_ext_f16ILi80ELi80ELi8ELi4ELb1ELb0EEvPKcS1_S1_S1_S1_PKiPfP15HIP_vector_typeIfLj2EEffffjfiS5_IjLj3EEiiiiiiiiiiiliiliiiiil,@function
_ZL18flash_attn_ext_f16ILi80ELi80ELi8ELi4ELb1ELb0EEvPKcS1_S1_S1_S1_PKiPfP15HIP_vector_typeIfLj2EEffffjfiS5_IjLj3EEiiiiiiiiiiiliiliiiiil: ; @_ZL18flash_attn_ext_f16ILi80ELi80ELi8ELi4ELb1ELb0EEvPKcS1_S1_S1_S1_PKiPfP15HIP_vector_typeIfLj2EEffffjfiS5_IjLj3EEiiiiiiiiiiiliiliiiiil
; %bb.0:
	s_add_u32 s8, s0, 0xd0
	s_addc_u32 s9, s1, 0
	s_getpc_b64 s[0:1]
	s_add_u32 s0, s0, _ZL14no_device_codePKciS0_iS0_@rel32@lo+4
	s_addc_u32 s1, s1, _ZL14no_device_codePKciS0_iS0_@rel32@hi+12
	v_mov_b32_e32 v0, 0x6cc
	s_mov_b32 s32, 0
	s_swappc_b64 s[30:31], s[0:1]
	.section	.rodata,"a",@progbits
	.p2align	6, 0x0
	.amdhsa_kernel _ZL18flash_attn_ext_f16ILi80ELi80ELi8ELi4ELb1ELb0EEvPKcS1_S1_S1_S1_PKiPfP15HIP_vector_typeIfLj2EEffffjfiS5_IjLj3EEiiiiiiiiiiiliiliiiiil
		.amdhsa_group_segment_fixed_size 0
		.amdhsa_private_segment_fixed_size 16
		.amdhsa_kernarg_size 464
		.amdhsa_user_sgpr_count 2
		.amdhsa_user_sgpr_dispatch_ptr 0
		.amdhsa_user_sgpr_queue_ptr 0
		.amdhsa_user_sgpr_kernarg_segment_ptr 1
		.amdhsa_user_sgpr_dispatch_id 0
		.amdhsa_user_sgpr_kernarg_preload_length 0
		.amdhsa_user_sgpr_kernarg_preload_offset 0
		.amdhsa_user_sgpr_private_segment_size 0
		.amdhsa_uses_dynamic_stack 0
		.amdhsa_enable_private_segment 1
		.amdhsa_system_sgpr_workgroup_id_x 1
		.amdhsa_system_sgpr_workgroup_id_y 0
		.amdhsa_system_sgpr_workgroup_id_z 0
		.amdhsa_system_sgpr_workgroup_info 0
		.amdhsa_system_vgpr_workitem_id 0
		.amdhsa_next_free_vgpr 52
		.amdhsa_next_free_sgpr 34
		.amdhsa_accum_offset 52
		.amdhsa_reserve_vcc 1
		.amdhsa_float_round_mode_32 0
		.amdhsa_float_round_mode_16_64 0
		.amdhsa_float_denorm_mode_32 3
		.amdhsa_float_denorm_mode_16_64 3
		.amdhsa_dx10_clamp 1
		.amdhsa_ieee_mode 1
		.amdhsa_fp16_overflow 0
		.amdhsa_tg_split 0
		.amdhsa_exception_fp_ieee_invalid_op 0
		.amdhsa_exception_fp_denorm_src 0
		.amdhsa_exception_fp_ieee_div_zero 0
		.amdhsa_exception_fp_ieee_overflow 0
		.amdhsa_exception_fp_ieee_underflow 0
		.amdhsa_exception_fp_ieee_inexact 0
		.amdhsa_exception_int_div_zero 0
	.end_amdhsa_kernel
	.section	.text._ZL18flash_attn_ext_f16ILi80ELi80ELi8ELi4ELb1ELb0EEvPKcS1_S1_S1_S1_PKiPfP15HIP_vector_typeIfLj2EEffffjfiS5_IjLj3EEiiiiiiiiiiiliiliiiiil,"axG",@progbits,_ZL18flash_attn_ext_f16ILi80ELi80ELi8ELi4ELb1ELb0EEvPKcS1_S1_S1_S1_PKiPfP15HIP_vector_typeIfLj2EEffffjfiS5_IjLj3EEiiiiiiiiiiiliiliiiiil,comdat
.Lfunc_end10:
	.size	_ZL18flash_attn_ext_f16ILi80ELi80ELi8ELi4ELb1ELb0EEvPKcS1_S1_S1_S1_PKiPfP15HIP_vector_typeIfLj2EEffffjfiS5_IjLj3EEiiiiiiiiiiiliiliiiiil, .Lfunc_end10-_ZL18flash_attn_ext_f16ILi80ELi80ELi8ELi4ELb1ELb0EEvPKcS1_S1_S1_S1_PKiPfP15HIP_vector_typeIfLj2EEffffjfiS5_IjLj3EEiiiiiiiiiiiliiliiiiil
                                        ; -- End function
	.set _ZL18flash_attn_ext_f16ILi80ELi80ELi8ELi4ELb1ELb0EEvPKcS1_S1_S1_S1_PKiPfP15HIP_vector_typeIfLj2EEffffjfiS5_IjLj3EEiiiiiiiiiiiliiliiiiil.num_vgpr, max(1, .L_ZL14no_device_codePKciS0_iS0_.num_vgpr)
	.set _ZL18flash_attn_ext_f16ILi80ELi80ELi8ELi4ELb1ELb0EEvPKcS1_S1_S1_S1_PKiPfP15HIP_vector_typeIfLj2EEffffjfiS5_IjLj3EEiiiiiiiiiiiliiliiiiil.num_agpr, max(0, .L_ZL14no_device_codePKciS0_iS0_.num_agpr)
	.set _ZL18flash_attn_ext_f16ILi80ELi80ELi8ELi4ELb1ELb0EEvPKcS1_S1_S1_S1_PKiPfP15HIP_vector_typeIfLj2EEffffjfiS5_IjLj3EEiiiiiiiiiiiliiliiiiil.numbered_sgpr, max(33, .L_ZL14no_device_codePKciS0_iS0_.numbered_sgpr)
	.set _ZL18flash_attn_ext_f16ILi80ELi80ELi8ELi4ELb1ELb0EEvPKcS1_S1_S1_S1_PKiPfP15HIP_vector_typeIfLj2EEffffjfiS5_IjLj3EEiiiiiiiiiiiliiliiiiil.num_named_barrier, max(0, .L_ZL14no_device_codePKciS0_iS0_.num_named_barrier)
	.set _ZL18flash_attn_ext_f16ILi80ELi80ELi8ELi4ELb1ELb0EEvPKcS1_S1_S1_S1_PKiPfP15HIP_vector_typeIfLj2EEffffjfiS5_IjLj3EEiiiiiiiiiiiliiliiiiil.private_seg_size, 0+max(.L_ZL14no_device_codePKciS0_iS0_.private_seg_size)
	.set _ZL18flash_attn_ext_f16ILi80ELi80ELi8ELi4ELb1ELb0EEvPKcS1_S1_S1_S1_PKiPfP15HIP_vector_typeIfLj2EEffffjfiS5_IjLj3EEiiiiiiiiiiiliiliiiiil.uses_vcc, or(1, .L_ZL14no_device_codePKciS0_iS0_.uses_vcc)
	.set _ZL18flash_attn_ext_f16ILi80ELi80ELi8ELi4ELb1ELb0EEvPKcS1_S1_S1_S1_PKiPfP15HIP_vector_typeIfLj2EEffffjfiS5_IjLj3EEiiiiiiiiiiiliiliiiiil.uses_flat_scratch, or(0, .L_ZL14no_device_codePKciS0_iS0_.uses_flat_scratch)
	.set _ZL18flash_attn_ext_f16ILi80ELi80ELi8ELi4ELb1ELb0EEvPKcS1_S1_S1_S1_PKiPfP15HIP_vector_typeIfLj2EEffffjfiS5_IjLj3EEiiiiiiiiiiiliiliiiiil.has_dyn_sized_stack, or(0, .L_ZL14no_device_codePKciS0_iS0_.has_dyn_sized_stack)
	.set _ZL18flash_attn_ext_f16ILi80ELi80ELi8ELi4ELb1ELb0EEvPKcS1_S1_S1_S1_PKiPfP15HIP_vector_typeIfLj2EEffffjfiS5_IjLj3EEiiiiiiiiiiiliiliiiiil.has_recursion, or(0, .L_ZL14no_device_codePKciS0_iS0_.has_recursion)
	.set _ZL18flash_attn_ext_f16ILi80ELi80ELi8ELi4ELb1ELb0EEvPKcS1_S1_S1_S1_PKiPfP15HIP_vector_typeIfLj2EEffffjfiS5_IjLj3EEiiiiiiiiiiiliiliiiiil.has_indirect_call, or(0, .L_ZL14no_device_codePKciS0_iS0_.has_indirect_call)
	.section	.AMDGPU.csdata,"",@progbits
; Kernel info:
; codeLenInByte = 48
; TotalNumSgprs: 40
; NumVgprs: 52
; NumAgprs: 0
; TotalNumVgprs: 52
; ScratchSize: 16
; MemoryBound: 0
; FloatMode: 240
; IeeeMode: 1
; LDSByteSize: 0 bytes/workgroup (compile time only)
; SGPRBlocks: 4
; VGPRBlocks: 6
; NumSGPRsForWavesPerEU: 40
; NumVGPRsForWavesPerEU: 52
; AccumOffset: 52
; Occupancy: 8
; WaveLimiterHint : 1
; COMPUTE_PGM_RSRC2:SCRATCH_EN: 1
; COMPUTE_PGM_RSRC2:USER_SGPR: 2
; COMPUTE_PGM_RSRC2:TRAP_HANDLER: 0
; COMPUTE_PGM_RSRC2:TGID_X_EN: 1
; COMPUTE_PGM_RSRC2:TGID_Y_EN: 0
; COMPUTE_PGM_RSRC2:TGID_Z_EN: 0
; COMPUTE_PGM_RSRC2:TIDIG_COMP_CNT: 0
; COMPUTE_PGM_RSRC3_GFX90A:ACCUM_OFFSET: 12
; COMPUTE_PGM_RSRC3_GFX90A:TG_SPLIT: 0
	.section	.text._ZL33flash_attn_stream_k_fixup_uniformILi80ELi8ELi4EEvPfPK15HIP_vector_typeIfLj2EEiiiiiiS1_IjLj3EES5_S5_,"axG",@progbits,_ZL33flash_attn_stream_k_fixup_uniformILi80ELi8ELi4EEvPfPK15HIP_vector_typeIfLj2EEiiiiiiS1_IjLj3EES5_S5_,comdat
	.globl	_ZL33flash_attn_stream_k_fixup_uniformILi80ELi8ELi4EEvPfPK15HIP_vector_typeIfLj2EEiiiiiiS1_IjLj3EES5_S5_ ; -- Begin function _ZL33flash_attn_stream_k_fixup_uniformILi80ELi8ELi4EEvPfPK15HIP_vector_typeIfLj2EEiiiiiiS1_IjLj3EES5_S5_
	.p2align	8
	.type	_ZL33flash_attn_stream_k_fixup_uniformILi80ELi8ELi4EEvPfPK15HIP_vector_typeIfLj2EEiiiiiiS1_IjLj3EES5_S5_,@function
_ZL33flash_attn_stream_k_fixup_uniformILi80ELi8ELi4EEvPfPK15HIP_vector_typeIfLj2EEiiiiiiS1_IjLj3EES5_S5_: ; @_ZL33flash_attn_stream_k_fixup_uniformILi80ELi8ELi4EEvPfPK15HIP_vector_typeIfLj2EEiiiiiiS1_IjLj3EES5_S5_
; %bb.0:
	s_load_dwordx8 s[8:15], s[0:1], 0x1c
	s_load_dwordx2 s[6:7], s[0:1], 0x10
	s_load_dwordx4 s[16:19], s[0:1], 0x3c
	s_waitcnt lgkmcnt(0)
	s_mul_hi_u32 s5, s11, s2
	s_add_i32 s5, s2, s5
	s_lshr_b32 s5, s5, s12
	s_mul_i32 s11, s5, s13
	s_sub_i32 s12, s2, s11
	s_mul_hi_u32 s11, s12, s14
	s_add_i32 s11, s12, s11
	s_lshr_b32 s11, s11, s15
	s_mul_i32 s13, s11, s16
	s_sub_i32 s12, s12, s13
	;; [unrolled: 5-line block ×3, first 2 shown]
	s_lshl_b32 s12, s16, 3
	s_lshl_b32 s17, s13, 2
	s_add_i32 s12, s12, s3
	s_cmp_lt_i32 s12, s6
	s_cselect_b64 s[12:13], -1, 0
	s_add_i32 s17, s17, s4
	s_cmp_lt_i32 s17, s9
	s_cselect_b64 s[14:15], -1, 0
	s_and_b64 s[12:13], s[12:13], s[14:15]
	s_andn2_b64 vcc, exec, s[12:13]
	s_cbranch_vccnz .LBB11_6
; %bb.1:
	s_load_dwordx4 s[12:15], s[0:1], 0x0
	s_mul_i32 s0, s5, s6
	s_mul_i32 s11, s11, s9
	s_add_i32 s0, s0, s3
	s_mul_i32 s0, s0, s7
	s_add_i32 s5, s17, s11
	;; [unrolled: 2-line block ×3, first 2 shown]
	s_mulk_i32 s1, 0x280
	s_mulk_i32 s0, 0x50
	s_add_i32 s0, s0, s1
	v_add_u32_e32 v4, s0, v0
	s_waitcnt lgkmcnt(0)
	v_mov_b32_e32 v2, s12
	v_mov_b32_e32 v3, s13
	v_ashrrev_i32_e32 v5, 31, v4
	v_lshl_add_u64 v[2:3], v[4:5], 2, v[2:3]
	global_load_dword v5, v[2:3], off
	s_mul_i32 s5, s10, s2
	s_lshl_b32 s11, s3, 2
	s_add_i32 s9, s5, s10
	s_add_i32 s0, s11, s4
	s_lshl_b32 s1, s9, 5
	s_add_i32 s0, s0, s1
	s_sub_i32 s0, s0, 32
	s_ashr_i32 s1, s0, 31
	s_lshl_b64 s[0:1], s[0:1], 3
	s_add_u32 s0, s14, s0
	s_addc_u32 s1, s15, s1
	s_load_dword s12, s[0:1], 0x4
	s_add_i32 s6, s9, -2
	s_cmp_lt_i32 s6, s5
	s_cbranch_scc1 .LBB11_4
; %bb.2:
	s_lshl_b32 s6, s8, 7
	s_ashr_i32 s7, s6, 31
	s_lshl_b64 s[6:7], s[6:7], 2
	s_add_u32 s6, s14, s6
	s_addc_u32 s7, s15, s7
	s_add_i32 s2, s2, 1
	s_load_dword s0, s[0:1], 0x0
	s_mul_i32 s1, s10, s2
	s_lshl_b32 s2, s1, 5
	s_add_i32 s2, s4, s2
	s_mulk_i32 s3, 0x140
	s_mulk_i32 s4, 0x50
	s_lshl_b32 s8, s8, 5
	s_mulk_i32 s1, 0xa00
	s_add_i32 s3, s4, s3
	s_add_i32 s2, s2, s8
	;; [unrolled: 1-line block ×4, first 2 shown]
	v_add_u32_e32 v0, s3, v0
	s_add_i32 s9, s9, -1
	s_sub_i32 s2, s2, 64
	v_add_u32_e32 v0, 0xffffec00, v0
	s_waitcnt lgkmcnt(0)
	v_mov_b32_e32 v7, s0
	v_mov_b32_e32 v4, s12
	s_mov_b32 s4, 0x3fb8aa3b
	s_mov_b32 s8, 0xc2ce8ed0
	;; [unrolled: 1-line block ×3, first 2 shown]
	v_mov_b32_e32 v6, 0x7f800000
	s_mov_b32 s11, 0xc1a00000
.LBB11_3:                               ; =>This Inner Loop Header: Depth=1
	v_ashrrev_i32_e32 v1, 31, v0
	v_lshl_add_u64 v[8:9], v[0:1], 2, s[6:7]
	global_load_dword v9, v[8:9], off
	s_ashr_i32 s3, s2, 31
	s_lshl_b64 s[0:1], s[2:3], 3
	s_add_u32 s0, s14, s0
	s_addc_u32 s1, s15, s1
	s_load_dwordx2 s[0:1], s[0:1], 0x0
	v_max_f32_e32 v1, v7, v7
	s_add_i32 s9, s9, -1
	s_sub_i32 s2, s2, 32
	v_add_u32_e32 v0, 0xfffff600, v0
	s_waitcnt lgkmcnt(0)
	v_max_f32_e64 v10, s0, s0
	v_max_f32_e32 v1, v1, v10
	v_sub_f32_e32 v11, s0, v1
	v_sub_f32_e32 v10, v7, v1
	v_mul_f32_e32 v12, 0x3fb8aa3b, v11
	v_mov_b32_e32 v7, v1
	v_mul_f32_e32 v1, 0x3fb8aa3b, v10
	v_fma_f32 v15, v11, s4, -v12
	v_rndne_f32_e32 v16, v12
	v_fma_f32 v13, v10, s4, -v1
	v_rndne_f32_e32 v14, v1
	v_fmac_f32_e32 v15, 0x32a5705f, v11
	v_sub_f32_e32 v12, v12, v16
	v_fmac_f32_e32 v13, 0x32a5705f, v10
	v_sub_f32_e32 v1, v1, v14
	v_add_f32_e32 v12, v12, v15
	v_cvt_i32_f32_e32 v16, v16
	v_add_f32_e32 v1, v1, v13
	v_exp_f32_e32 v12, v12
	v_cvt_i32_f32_e32 v14, v14
	v_exp_f32_e32 v1, v1
	v_cmp_ngt_f32_e32 vcc, s8, v11
	v_ldexp_f32 v12, v12, v16
	v_mov_b32_e32 v8, s1
	v_ldexp_f32 v1, v1, v14
	v_cmp_ngt_f32_e64 s[0:1], s8, v10
	v_cndmask_b32_e32 v12, 0, v12, vcc
	v_cmp_nlt_f32_e32 vcc, s10, v11
	v_cndmask_b32_e64 v1, 0, v1, s[0:1]
	v_cmp_nlt_f32_e64 s[0:1], s10, v10
	v_cndmask_b32_e32 v12, v6, v12, vcc
	v_cmp_le_f32_e32 vcc, s11, v11
	v_cndmask_b32_e64 v1, v6, v1, s[0:1]
	v_cmp_le_f32_e64 s[0:1], s11, v10
	v_cndmask_b32_e32 v12, 0, v12, vcc
	s_cmp_le_i32 s9, s5
	v_cndmask_b32_e64 v10, 0, v1, s[0:1]
	s_waitcnt vmcnt(0)
	v_pk_mul_f32 v[8:9], v[8:9], v[12:13] op_sel_hi:[1,0]
	s_nop 0
	v_pk_fma_f32 v[4:5], v[4:5], v[10:11], v[8:9] op_sel_hi:[1,0,1]
	s_cbranch_scc0 .LBB11_3
	s_branch .LBB11_5
.LBB11_4:
	s_waitcnt lgkmcnt(0)
	v_mov_b32_e32 v4, s12
.LBB11_5:
	s_waitcnt vmcnt(0)
	v_div_scale_f32 v0, s[0:1], v4, v4, v5
	v_rcp_f32_e32 v1, v0
	v_div_scale_f32 v6, vcc, v5, v4, v5
	v_fma_f32 v7, -v0, v1, 1.0
	v_fmac_f32_e32 v1, v7, v1
	v_mul_f32_e32 v7, v6, v1
	v_fma_f32 v8, -v0, v7, v6
	v_fmac_f32_e32 v7, v8, v1
	v_fma_f32 v0, -v0, v7, v6
	v_div_fmas_f32 v0, v0, v1, v7
	v_div_fixup_f32 v0, v0, v4, v5
	global_store_dword v[2:3], v0, off
.LBB11_6:
	s_endpgm
	.section	.rodata,"a",@progbits
	.p2align	6, 0x0
	.amdhsa_kernel _ZL33flash_attn_stream_k_fixup_uniformILi80ELi8ELi4EEvPfPK15HIP_vector_typeIfLj2EEiiiiiiS1_IjLj3EES5_S5_
		.amdhsa_group_segment_fixed_size 0
		.amdhsa_private_segment_fixed_size 0
		.amdhsa_kernarg_size 76
		.amdhsa_user_sgpr_count 2
		.amdhsa_user_sgpr_dispatch_ptr 0
		.amdhsa_user_sgpr_queue_ptr 0
		.amdhsa_user_sgpr_kernarg_segment_ptr 1
		.amdhsa_user_sgpr_dispatch_id 0
		.amdhsa_user_sgpr_kernarg_preload_length 0
		.amdhsa_user_sgpr_kernarg_preload_offset 0
		.amdhsa_user_sgpr_private_segment_size 0
		.amdhsa_uses_dynamic_stack 0
		.amdhsa_enable_private_segment 0
		.amdhsa_system_sgpr_workgroup_id_x 1
		.amdhsa_system_sgpr_workgroup_id_y 1
		.amdhsa_system_sgpr_workgroup_id_z 1
		.amdhsa_system_sgpr_workgroup_info 0
		.amdhsa_system_vgpr_workitem_id 0
		.amdhsa_next_free_vgpr 17
		.amdhsa_next_free_sgpr 20
		.amdhsa_accum_offset 20
		.amdhsa_reserve_vcc 1
		.amdhsa_float_round_mode_32 0
		.amdhsa_float_round_mode_16_64 0
		.amdhsa_float_denorm_mode_32 3
		.amdhsa_float_denorm_mode_16_64 3
		.amdhsa_dx10_clamp 1
		.amdhsa_ieee_mode 1
		.amdhsa_fp16_overflow 0
		.amdhsa_tg_split 0
		.amdhsa_exception_fp_ieee_invalid_op 0
		.amdhsa_exception_fp_denorm_src 0
		.amdhsa_exception_fp_ieee_div_zero 0
		.amdhsa_exception_fp_ieee_overflow 0
		.amdhsa_exception_fp_ieee_underflow 0
		.amdhsa_exception_fp_ieee_inexact 0
		.amdhsa_exception_int_div_zero 0
	.end_amdhsa_kernel
	.section	.text._ZL33flash_attn_stream_k_fixup_uniformILi80ELi8ELi4EEvPfPK15HIP_vector_typeIfLj2EEiiiiiiS1_IjLj3EES5_S5_,"axG",@progbits,_ZL33flash_attn_stream_k_fixup_uniformILi80ELi8ELi4EEvPfPK15HIP_vector_typeIfLj2EEiiiiiiS1_IjLj3EES5_S5_,comdat
.Lfunc_end11:
	.size	_ZL33flash_attn_stream_k_fixup_uniformILi80ELi8ELi4EEvPfPK15HIP_vector_typeIfLj2EEiiiiiiS1_IjLj3EES5_S5_, .Lfunc_end11-_ZL33flash_attn_stream_k_fixup_uniformILi80ELi8ELi4EEvPfPK15HIP_vector_typeIfLj2EEiiiiiiS1_IjLj3EES5_S5_
                                        ; -- End function
	.set _ZL33flash_attn_stream_k_fixup_uniformILi80ELi8ELi4EEvPfPK15HIP_vector_typeIfLj2EEiiiiiiS1_IjLj3EES5_S5_.num_vgpr, 17
	.set _ZL33flash_attn_stream_k_fixup_uniformILi80ELi8ELi4EEvPfPK15HIP_vector_typeIfLj2EEiiiiiiS1_IjLj3EES5_S5_.num_agpr, 0
	.set _ZL33flash_attn_stream_k_fixup_uniformILi80ELi8ELi4EEvPfPK15HIP_vector_typeIfLj2EEiiiiiiS1_IjLj3EES5_S5_.numbered_sgpr, 20
	.set _ZL33flash_attn_stream_k_fixup_uniformILi80ELi8ELi4EEvPfPK15HIP_vector_typeIfLj2EEiiiiiiS1_IjLj3EES5_S5_.num_named_barrier, 0
	.set _ZL33flash_attn_stream_k_fixup_uniformILi80ELi8ELi4EEvPfPK15HIP_vector_typeIfLj2EEiiiiiiS1_IjLj3EES5_S5_.private_seg_size, 0
	.set _ZL33flash_attn_stream_k_fixup_uniformILi80ELi8ELi4EEvPfPK15HIP_vector_typeIfLj2EEiiiiiiS1_IjLj3EES5_S5_.uses_vcc, 1
	.set _ZL33flash_attn_stream_k_fixup_uniformILi80ELi8ELi4EEvPfPK15HIP_vector_typeIfLj2EEiiiiiiS1_IjLj3EES5_S5_.uses_flat_scratch, 0
	.set _ZL33flash_attn_stream_k_fixup_uniformILi80ELi8ELi4EEvPfPK15HIP_vector_typeIfLj2EEiiiiiiS1_IjLj3EES5_S5_.has_dyn_sized_stack, 0
	.set _ZL33flash_attn_stream_k_fixup_uniformILi80ELi8ELi4EEvPfPK15HIP_vector_typeIfLj2EEiiiiiiS1_IjLj3EES5_S5_.has_recursion, 0
	.set _ZL33flash_attn_stream_k_fixup_uniformILi80ELi8ELi4EEvPfPK15HIP_vector_typeIfLj2EEiiiiiiS1_IjLj3EES5_S5_.has_indirect_call, 0
	.section	.AMDGPU.csdata,"",@progbits
; Kernel info:
; codeLenInByte = 832
; TotalNumSgprs: 26
; NumVgprs: 17
; NumAgprs: 0
; TotalNumVgprs: 17
; ScratchSize: 0
; MemoryBound: 0
; FloatMode: 240
; IeeeMode: 1
; LDSByteSize: 0 bytes/workgroup (compile time only)
; SGPRBlocks: 3
; VGPRBlocks: 2
; NumSGPRsForWavesPerEU: 26
; NumVGPRsForWavesPerEU: 17
; AccumOffset: 20
; Occupancy: 8
; WaveLimiterHint : 0
; COMPUTE_PGM_RSRC2:SCRATCH_EN: 0
; COMPUTE_PGM_RSRC2:USER_SGPR: 2
; COMPUTE_PGM_RSRC2:TRAP_HANDLER: 0
; COMPUTE_PGM_RSRC2:TGID_X_EN: 1
; COMPUTE_PGM_RSRC2:TGID_Y_EN: 1
; COMPUTE_PGM_RSRC2:TGID_Z_EN: 1
; COMPUTE_PGM_RSRC2:TIDIG_COMP_CNT: 0
; COMPUTE_PGM_RSRC3_GFX90A:ACCUM_OFFSET: 4
; COMPUTE_PGM_RSRC3_GFX90A:TG_SPLIT: 0
	.section	.text._ZL33flash_attn_stream_k_fixup_generalILi80ELi8ELi4EEvPfPK15HIP_vector_typeIfLj2EEiiiiS1_IjLj3EES5_S5_S5_,"axG",@progbits,_ZL33flash_attn_stream_k_fixup_generalILi80ELi8ELi4EEvPfPK15HIP_vector_typeIfLj2EEiiiiS1_IjLj3EES5_S5_S5_,comdat
	.globl	_ZL33flash_attn_stream_k_fixup_generalILi80ELi8ELi4EEvPfPK15HIP_vector_typeIfLj2EEiiiiS1_IjLj3EES5_S5_S5_ ; -- Begin function _ZL33flash_attn_stream_k_fixup_generalILi80ELi8ELi4EEvPfPK15HIP_vector_typeIfLj2EEiiiiS1_IjLj3EES5_S5_S5_
	.p2align	8
	.type	_ZL33flash_attn_stream_k_fixup_generalILi80ELi8ELi4EEvPfPK15HIP_vector_typeIfLj2EEiiiiS1_IjLj3EES5_S5_S5_,@function
_ZL33flash_attn_stream_k_fixup_generalILi80ELi8ELi4EEvPfPK15HIP_vector_typeIfLj2EEiiiiS1_IjLj3EES5_S5_S5_: ; @_ZL33flash_attn_stream_k_fixup_generalILi80ELi8ELi4EEvPfPK15HIP_vector_typeIfLj2EEiiiiS1_IjLj3EES5_S5_S5_
; %bb.0:
	s_load_dwordx4 s[8:11], s[0:1], 0x10
	s_load_dword s22, s[0:1], 0x50
	s_mov_b32 s12, 0
	s_waitcnt lgkmcnt(0)
	s_mul_hi_i32 s13, s11, s2
	s_cmp_lg_u64 s[12:13], 0
	s_mul_i32 s5, s11, s2
	s_cbranch_scc0 .LBB12_20
; %bb.1:
	s_add_u32 s6, s22, 0
	s_addc_u32 s7, 0, 0
	s_xor_b64 s[6:7], s[6:7], 0
	v_cvt_f32_u32_e32 v1, s6
	v_cvt_f32_u32_e32 v2, s7
	s_sub_u32 s12, 0, s6
	s_subb_u32 s18, 0, s7
	v_fmamk_f32 v1, v2, 0x4f800000, v1
	v_rcp_f32_e32 v1, v1
	s_nop 0
	v_mul_f32_e32 v1, 0x5f7ffffc, v1
	v_mul_f32_e32 v2, 0x2f800000, v1
	v_trunc_f32_e32 v2, v2
	v_fmamk_f32 v1, v2, 0xcf800000, v1
	v_cvt_u32_f32_e32 v2, v2
	v_cvt_u32_f32_e32 v1, v1
	v_readfirstlane_b32 s19, v2
	v_readfirstlane_b32 s14, v1
	s_mul_i32 s15, s12, s19
	s_mul_hi_u32 s21, s12, s14
	s_mul_i32 s20, s18, s14
	s_add_i32 s15, s21, s15
	s_add_i32 s15, s15, s20
	s_mul_i32 s23, s12, s14
	s_mul_i32 s21, s14, s15
	s_mul_hi_u32 s24, s14, s23
	s_mul_hi_u32 s20, s14, s15
	s_add_u32 s21, s24, s21
	s_addc_u32 s20, 0, s20
	s_mul_hi_u32 s25, s19, s23
	s_mul_i32 s23, s19, s23
	s_add_u32 s21, s21, s23
	s_mul_hi_u32 s24, s19, s15
	s_addc_u32 s20, s20, s25
	s_addc_u32 s21, s24, 0
	s_mul_i32 s15, s19, s15
	s_add_u32 s15, s20, s15
	s_addc_u32 s20, 0, s21
	s_add_u32 s21, s14, s15
	s_cselect_b64 s[14:15], -1, 0
	s_cmp_lg_u64 s[14:15], 0
	s_addc_u32 s19, s19, s20
	s_mul_i32 s14, s12, s19
	s_mul_hi_u32 s15, s12, s21
	s_add_i32 s14, s15, s14
	s_mul_i32 s18, s18, s21
	s_add_i32 s14, s14, s18
	s_mul_i32 s12, s12, s21
	s_mul_hi_u32 s18, s19, s12
	s_mul_i32 s20, s19, s12
	s_mul_i32 s24, s21, s14
	s_mul_hi_u32 s12, s21, s12
	s_mul_hi_u32 s23, s21, s14
	s_add_u32 s12, s12, s24
	s_addc_u32 s23, 0, s23
	s_add_u32 s12, s12, s20
	s_mul_hi_u32 s15, s19, s14
	s_addc_u32 s12, s23, s18
	s_addc_u32 s15, s15, 0
	s_mul_i32 s14, s19, s14
	s_add_u32 s12, s12, s14
	s_addc_u32 s18, 0, s15
	s_add_u32 s20, s21, s12
	s_cselect_b64 s[14:15], -1, 0
	s_cmp_lg_u64 s[14:15], 0
	s_addc_u32 s18, s19, s18
	s_ashr_i32 s14, s13, 31
	s_add_u32 s12, s5, s14
	s_mov_b32 s15, s14
	s_addc_u32 s13, s13, s14
	s_xor_b64 s[12:13], s[12:13], s[14:15]
	s_mul_i32 s21, s12, s18
	s_mul_hi_u32 s23, s12, s20
	s_mul_hi_u32 s19, s12, s18
	s_add_u32 s21, s23, s21
	s_addc_u32 s19, 0, s19
	s_mul_hi_u32 s24, s13, s20
	s_mul_i32 s20, s13, s20
	s_add_u32 s20, s21, s20
	s_mul_hi_u32 s23, s13, s18
	s_addc_u32 s19, s19, s24
	s_addc_u32 s20, s23, 0
	s_mul_i32 s18, s13, s18
	s_add_u32 s23, s19, s18
	s_addc_u32 s24, 0, s20
	s_mul_i32 s18, s6, s24
	s_mul_hi_u32 s19, s6, s23
	s_add_i32 s18, s19, s18
	s_mul_i32 s19, s7, s23
	s_add_i32 s25, s18, s19
	s_sub_i32 s20, s13, s25
	s_mul_i32 s18, s6, s23
	s_sub_u32 s12, s12, s18
	s_cselect_b64 s[18:19], -1, 0
	s_cmp_lg_u64 s[18:19], 0
	s_subb_u32 s26, s20, s7
	s_sub_u32 s27, s12, s6
	s_cselect_b64 s[20:21], -1, 0
	s_cmp_lg_u64 s[20:21], 0
	s_subb_u32 s20, s26, 0
	s_cmp_ge_u32 s20, s7
	s_cselect_b32 s21, -1, 0
	s_cmp_ge_u32 s27, s6
	s_cselect_b32 s26, -1, 0
	s_cmp_eq_u32 s20, s7
	s_cselect_b32 s20, s26, s21
	s_add_u32 s21, s23, 1
	s_addc_u32 s26, s24, 0
	s_add_u32 s27, s23, 2
	s_addc_u32 s28, s24, 0
	s_cmp_lg_u32 s20, 0
	s_cselect_b32 s20, s27, s21
	s_cselect_b32 s21, s28, s26
	s_cmp_lg_u64 s[18:19], 0
	s_subb_u32 s13, s13, s25
	s_cmp_ge_u32 s13, s7
	s_cselect_b32 s18, -1, 0
	s_cmp_ge_u32 s12, s6
	s_cselect_b32 s6, -1, 0
	s_cmp_eq_u32 s13, s7
	s_cselect_b32 s6, s6, s18
	s_cmp_lg_u32 s6, 0
	s_cselect_b32 s7, s21, s24
	s_cselect_b32 s6, s20, s23
	s_xor_b64 s[12:13], s[14:15], 0
	s_xor_b64 s[6:7], s[6:7], s[12:13]
	s_sub_u32 s6, s6, s12
	s_load_dwordx4 s[12:15], s[0:1], 0x44
	s_cbranch_execnz .LBB12_3
.LBB12_2:
	v_cvt_f32_u32_e32 v1, s22
	s_sub_i32 s6, 0, s22
	v_rcp_iflag_f32_e32 v1, v1
	s_nop 0
	v_mul_f32_e32 v1, 0x4f7ffffe, v1
	v_cvt_u32_f32_e32 v1, v1
	s_nop 0
	v_readfirstlane_b32 s7, v1
	s_mul_i32 s6, s6, s7
	s_mul_hi_u32 s6, s7, s6
	s_add_i32 s7, s7, s6
	s_mul_hi_u32 s6, s5, s7
	s_waitcnt lgkmcnt(0)
	s_mul_i32 s15, s6, s22
	s_sub_i32 s5, s5, s15
	s_add_i32 s7, s6, 1
	s_sub_i32 s15, s5, s22
	s_cmp_ge_u32 s5, s22
	s_cselect_b32 s6, s7, s6
	s_cselect_b32 s5, s15, s5
	s_add_i32 s7, s6, 1
	s_cmp_ge_u32 s5, s22
	s_cselect_b32 s6, s7, s6
.LBB12_3:
	s_add_i32 s5, s2, 1
	s_mul_hi_i32 s21, s11, s5
	s_mov_b32 s20, 0
	s_cmp_lg_u64 s[20:21], 0
	s_mul_i32 s5, s11, s5
	s_cbranch_scc0 .LBB12_21
; %bb.4:
	s_add_u32 s16, s22, 0
	s_addc_u32 s17, 0, 0
	s_xor_b64 s[18:19], s[16:17], 0
	v_cvt_f32_u32_e32 v1, s18
	v_cvt_f32_u32_e32 v2, s19
	s_sub_u32 s7, 0, s18
	s_waitcnt lgkmcnt(0)
	s_subb_u32 s15, 0, s19
	v_fmamk_f32 v1, v2, 0x4f800000, v1
	v_rcp_f32_e32 v1, v1
	s_nop 0
	v_mul_f32_e32 v1, 0x5f7ffffc, v1
	v_mul_f32_e32 v2, 0x2f800000, v1
	v_trunc_f32_e32 v2, v2
	v_fmamk_f32 v1, v2, 0xcf800000, v1
	v_cvt_u32_f32_e32 v2, v2
	v_cvt_u32_f32_e32 v1, v1
	v_readfirstlane_b32 s20, v2
	v_readfirstlane_b32 s23, v1
	s_mul_i32 s24, s7, s20
	s_mul_hi_u32 s26, s7, s23
	s_mul_i32 s25, s15, s23
	s_add_i32 s24, s26, s24
	s_add_i32 s24, s24, s25
	s_mul_i32 s27, s7, s23
	s_mul_i32 s26, s23, s24
	s_mul_hi_u32 s28, s23, s27
	s_mul_hi_u32 s25, s23, s24
	s_add_u32 s26, s28, s26
	s_addc_u32 s25, 0, s25
	s_mul_hi_u32 s29, s20, s27
	s_mul_i32 s27, s20, s27
	s_add_u32 s26, s26, s27
	s_mul_hi_u32 s28, s20, s24
	s_addc_u32 s25, s25, s29
	s_addc_u32 s26, s28, 0
	s_mul_i32 s24, s20, s24
	s_add_u32 s24, s25, s24
	s_addc_u32 s26, 0, s26
	s_add_u32 s23, s23, s24
	s_cselect_b64 s[24:25], -1, 0
	s_cmp_lg_u64 s[24:25], 0
	s_addc_u32 s20, s20, s26
	s_mul_i32 s24, s7, s20
	s_mul_hi_u32 s25, s7, s23
	s_add_i32 s24, s25, s24
	s_mul_i32 s15, s15, s23
	s_add_i32 s24, s24, s15
	s_mul_i32 s7, s7, s23
	s_mul_hi_u32 s25, s20, s7
	s_mul_i32 s26, s20, s7
	s_mul_i32 s28, s23, s24
	s_mul_hi_u32 s7, s23, s7
	s_mul_hi_u32 s27, s23, s24
	s_add_u32 s7, s7, s28
	s_addc_u32 s27, 0, s27
	s_add_u32 s7, s7, s26
	s_mul_hi_u32 s15, s20, s24
	s_addc_u32 s7, s27, s25
	s_addc_u32 s15, s15, 0
	s_mul_i32 s24, s20, s24
	s_add_u32 s7, s7, s24
	s_addc_u32 s15, 0, s15
	s_add_u32 s7, s23, s7
	s_cselect_b64 s[24:25], -1, 0
	s_cmp_lg_u64 s[24:25], 0
	s_addc_u32 s15, s20, s15
	s_ashr_i32 s24, s21, 31
	s_add_u32 s20, s5, s24
	s_mov_b32 s25, s24
	s_addc_u32 s21, s21, s24
	s_xor_b64 s[20:21], s[20:21], s[24:25]
	s_mul_i32 s26, s20, s15
	s_mul_hi_u32 s27, s20, s7
	s_mul_hi_u32 s23, s20, s15
	s_add_u32 s26, s27, s26
	s_addc_u32 s23, 0, s23
	s_mul_hi_u32 s28, s21, s7
	s_mul_i32 s7, s21, s7
	s_add_u32 s7, s26, s7
	s_mul_hi_u32 s27, s21, s15
	s_addc_u32 s7, s23, s28
	s_addc_u32 s23, s27, 0
	s_mul_i32 s15, s21, s15
	s_add_u32 s7, s7, s15
	s_addc_u32 s15, 0, s23
	s_mul_i32 s23, s18, s15
	s_mul_hi_u32 s26, s18, s7
	s_add_i32 s23, s26, s23
	s_mul_i32 s26, s19, s7
	s_add_i32 s23, s23, s26
	s_sub_i32 s28, s21, s23
	s_mul_i32 s26, s18, s7
	s_sub_u32 s20, s20, s26
	s_cselect_b64 s[26:27], -1, 0
	s_cmp_lg_u64 s[26:27], 0
	s_subb_u32 s30, s28, s19
	s_sub_u32 s31, s20, s18
	s_cselect_b64 s[28:29], -1, 0
	s_cmp_lg_u64 s[28:29], 0
	s_subb_u32 s28, s30, 0
	s_cmp_ge_u32 s28, s19
	s_cselect_b32 s29, -1, 0
	s_cmp_ge_u32 s31, s18
	s_cselect_b32 s30, -1, 0
	s_cmp_eq_u32 s28, s19
	s_cselect_b32 s28, s30, s29
	s_add_u32 s29, s7, 1
	s_addc_u32 s30, s15, 0
	s_add_u32 s31, s7, 2
	s_addc_u32 s33, s15, 0
	s_cmp_lg_u32 s28, 0
	s_cselect_b32 s28, s31, s29
	s_cselect_b32 s29, s33, s30
	s_cmp_lg_u64 s[26:27], 0
	s_subb_u32 s21, s21, s23
	s_cmp_ge_u32 s21, s19
	s_cselect_b32 s23, -1, 0
	s_cmp_ge_u32 s20, s18
	s_cselect_b32 s18, -1, 0
	s_cmp_eq_u32 s21, s19
	s_cselect_b32 s18, s18, s23
	s_cmp_lg_u32 s18, 0
	s_cselect_b32 s19, s29, s15
	s_cselect_b32 s18, s28, s7
	s_xor_b64 s[20:21], s[24:25], 0
	s_xor_b64 s[18:19], s[18:19], s[20:21]
	s_sub_u32 s18, s18, s20
	s_cbranch_execnz .LBB12_6
.LBB12_5:
	v_cvt_f32_u32_e32 v1, s22
	s_sub_i32 s7, 0, s22
	v_rcp_iflag_f32_e32 v1, v1
	s_nop 0
	v_mul_f32_e32 v1, 0x4f7ffffe, v1
	v_cvt_u32_f32_e32 v1, v1
	s_waitcnt lgkmcnt(0)
	v_readfirstlane_b32 s15, v1
	s_mul_i32 s7, s7, s15
	s_mul_hi_u32 s7, s15, s7
	s_add_i32 s15, s15, s7
	s_mul_hi_u32 s7, s5, s15
	s_mul_i32 s16, s7, s22
	s_sub_i32 s5, s5, s16
	s_add_i32 s15, s7, 1
	s_sub_i32 s16, s5, s22
	s_cmp_ge_u32 s5, s22
	s_cselect_b32 s7, s15, s7
	s_cselect_b32 s5, s16, s5
	s_add_i32 s15, s7, 1
	s_cmp_ge_u32 s5, s22
	s_cselect_b32 s18, s15, s7
.LBB12_6:
	s_cmp_eq_u32 s6, s18
	s_waitcnt lgkmcnt(0)
	s_mul_hi_u32 s5, s6, s12
	s_cselect_b64 s[16:17], -1, 0
	s_add_i32 s5, s5, s6
	s_lshr_b32 s7, s5, s13
	s_mul_i32 s5, s7, s14
	s_cmp_eq_u32 s5, s6
	s_mul_hi_u32 s5, s18, s12
	s_cselect_b64 s[20:21], -1, 0
	s_add_i32 s5, s5, s18
	s_lshr_b32 s5, s5, s13
	s_cmp_eq_u32 s7, s5
	s_mul_i32 s5, s5, s14
	s_cselect_b64 s[24:25], -1, 0
	s_cmp_lg_u32 s5, s18
	s_cselect_b64 s[18:19], -1, 0
	s_and_b64 s[18:19], s[24:25], s[18:19]
	s_or_b64 s[16:17], s[16:17], s[20:21]
	s_or_b64 s[16:17], s[16:17], s[18:19]
	s_and_b64 vcc, exec, s[16:17]
	s_cbranch_vccnz .LBB12_23
; %bb.7:
	s_load_dwordx8 s[24:31], s[0:1], 0x20
	s_load_dword s5, s[0:1], 0x40
	s_waitcnt lgkmcnt(0)
	s_mul_hi_u32 s15, s6, s24
	s_add_i32 s15, s15, s6
	s_lshr_b32 s20, s15, s25
	s_mul_i32 s15, s20, s26
	s_sub_i32 s15, s6, s15
	s_mul_hi_u32 s16, s15, s27
	s_add_i32 s16, s15, s16
	s_lshr_b32 s21, s16, s28
	s_mul_i32 s16, s21, s29
	s_sub_i32 s15, s15, s16
	;; [unrolled: 5-line block ×3, first 2 shown]
	s_mul_hi_u32 s15, s5, s12
	s_add_i32 s5, s5, s15
	s_lshr_b32 s23, s5, s13
	s_lshl_b32 s5, s23, 3
	s_lshl_b32 s24, s16, 2
	s_add_i32 s5, s5, s3
	s_cmp_lt_i32 s5, s8
	s_cselect_b64 s[16:17], -1, 0
	s_add_i32 s24, s24, s4
	s_cmp_lt_i32 s24, s10
	s_cselect_b64 s[18:19], -1, 0
	s_and_b64 s[16:17], s[16:17], s[18:19]
	s_andn2_b64 vcc, exec, s[16:17]
	s_cbranch_vccnz .LBB12_23
; %bb.8:
	s_load_dwordx4 s[16:19], s[0:1], 0x0
	s_mov_b32 s0, 0
	s_lshl_b32 s15, s3, 2
	s_lshl_b32 s26, s22, 7
	s_mov_b32 s27, s0
	s_add_i32 s15, s15, s4
	s_lshl_b64 s[4:5], s[26:27], 2
	s_waitcnt lgkmcnt(0)
	s_add_u32 s4, s18, s4
	s_mul_i32 s1, s20, s8
	s_addc_u32 s5, s19, s5
	s_mul_i32 s21, s21, s10
	s_add_i32 s1, s1, s3
	s_mul_i32 s1, s1, s9
	s_add_i32 s3, s24, s21
	;; [unrolled: 2-line block ×3, first 2 shown]
	s_mulk_i32 s8, 0x280
	s_mulk_i32 s1, 0x50
	s_add_i32 s8, s8, s1
	v_add_u32_e32 v4, s8, v0
	v_mov_b32_e32 v2, s16
	v_mov_b32_e32 v3, s17
	v_ashrrev_i32_e32 v5, 31, v4
	v_lshl_add_u64 v[2:3], v[4:5], 2, v[2:3]
	global_load_dword v1, v[2:3], off
	v_cvt_f32_u32_e32 v4, s22
	s_lshl_b32 s1, s2, 5
	s_add_i32 s8, s15, s1
	s_ashr_i32 s9, s8, 31
	s_lshl_b64 s[8:9], s[8:9], 3
	v_rcp_iflag_f32_e32 v4, v4
	s_add_u32 s8, s18, s8
	s_addc_u32 s9, s19, s9
	s_load_dwordx2 s[8:9], s[8:9], 0x0
	v_mul_f32_e32 v4, 0x4f7ffffe, v4
	v_cvt_u32_f32_e32 v7, v4
	s_mul_i32 s1, s15, 0x50
	s_add_i32 s21, s2, -1
	v_add_u32_e32 v6, s1, v0
	s_waitcnt lgkmcnt(0)
	v_mov_b32_e32 v0, s9
	v_mov_b32_e32 v9, s8
	s_mov_b32 s10, 0x3fb8aa3b
	s_mov_b32 s20, 0xc2ce8ed0
	s_mov_b32 s23, 0x42b17218
	s_mov_b32 s24, 0xc1a00000
	v_mov_b32_e32 v8, 0x7f800000
	s_mul_hi_i32 s1, s21, s11
	s_cmp_lg_u64 s[0:1], 0
	s_mul_i32 s16, s21, s11
	s_cbranch_scc0 .LBB12_19
.LBB12_9:
	s_add_u32 s2, s22, 0
	s_addc_u32 s3, 0, 0
	s_xor_b64 s[2:3], s[2:3], 0
	v_cvt_f32_u32_e32 v4, s2
	v_cvt_f32_u32_e32 v5, s3
	s_sub_u32 s17, 0, s2
	s_subb_u32 s25, 0, s3
	v_fmac_f32_e32 v4, 0x4f800000, v5
	v_rcp_f32_e32 v4, v4
	s_nop 0
	v_mul_f32_e32 v4, 0x5f7ffffc, v4
	v_mul_f32_e32 v5, 0x2f800000, v4
	v_trunc_f32_e32 v5, v5
	v_fmac_f32_e32 v4, 0xcf800000, v5
	v_cvt_u32_f32_e32 v5, v5
	v_cvt_u32_f32_e32 v4, v4
	v_readfirstlane_b32 s26, v5
	v_readfirstlane_b32 s8, v4
	s_mul_i32 s9, s17, s26
	s_mul_hi_u32 s28, s17, s8
	s_mul_i32 s27, s25, s8
	s_add_i32 s9, s28, s9
	s_mul_i32 s29, s17, s8
	s_add_i32 s9, s9, s27
	s_mul_i32 s28, s8, s9
	s_mul_hi_u32 s30, s8, s29
	s_mul_hi_u32 s27, s8, s9
	s_add_u32 s28, s30, s28
	s_addc_u32 s27, 0, s27
	s_mul_hi_u32 s31, s26, s29
	s_mul_i32 s29, s26, s29
	s_add_u32 s28, s28, s29
	s_mul_hi_u32 s30, s26, s9
	s_addc_u32 s27, s27, s31
	s_addc_u32 s28, s30, 0
	s_mul_i32 s9, s26, s9
	s_add_u32 s9, s27, s9
	s_addc_u32 s27, 0, s28
	s_add_u32 s28, s8, s9
	s_cselect_b64 s[8:9], -1, 0
	s_cmp_lg_u64 s[8:9], 0
	s_addc_u32 s26, s26, s27
	s_mul_i32 s8, s17, s26
	s_mul_hi_u32 s9, s17, s28
	s_add_i32 s8, s9, s8
	s_mul_i32 s25, s25, s28
	s_add_i32 s8, s8, s25
	s_mul_i32 s17, s17, s28
	s_mul_hi_u32 s25, s26, s17
	s_mul_i32 s27, s26, s17
	s_mul_i32 s30, s28, s8
	s_mul_hi_u32 s17, s28, s17
	s_mul_hi_u32 s29, s28, s8
	s_add_u32 s17, s17, s30
	s_addc_u32 s29, 0, s29
	s_add_u32 s17, s17, s27
	s_mul_hi_u32 s9, s26, s8
	s_addc_u32 s17, s29, s25
	s_addc_u32 s9, s9, 0
	s_mul_i32 s8, s26, s8
	s_add_u32 s8, s17, s8
	s_addc_u32 s17, 0, s9
	s_add_u32 s25, s28, s8
	s_cselect_b64 s[8:9], -1, 0
	s_cmp_lg_u64 s[8:9], 0
	s_addc_u32 s17, s26, s17
	s_ashr_i32 s8, s1, 31
	s_add_u32 s26, s16, s8
	s_mov_b32 s9, s8
	s_addc_u32 s27, s1, s8
	s_xor_b64 s[26:27], s[26:27], s[8:9]
	s_mul_i32 s28, s26, s17
	s_mul_hi_u32 s29, s26, s25
	s_mul_hi_u32 s1, s26, s17
	s_add_u32 s28, s29, s28
	s_addc_u32 s1, 0, s1
	s_mul_hi_u32 s30, s27, s25
	s_mul_i32 s25, s27, s25
	s_add_u32 s25, s28, s25
	s_mul_hi_u32 s29, s27, s17
	s_addc_u32 s1, s1, s30
	s_addc_u32 s25, s29, 0
	s_mul_i32 s17, s27, s17
	s_add_u32 s1, s1, s17
	s_addc_u32 s17, 0, s25
	s_mul_i32 s25, s2, s17
	s_mul_hi_u32 s28, s2, s1
	s_add_i32 s25, s28, s25
	s_mul_i32 s28, s3, s1
	s_add_i32 s25, s25, s28
	s_sub_i32 s30, s27, s25
	s_mul_i32 s28, s2, s1
	s_sub_u32 s26, s26, s28
	s_cselect_b64 s[28:29], -1, 0
	s_cmp_lg_u64 s[28:29], 0
	s_subb_u32 s33, s30, s3
	s_sub_u32 s34, s26, s2
	s_cselect_b64 s[30:31], -1, 0
	s_cmp_lg_u64 s[30:31], 0
	s_subb_u32 s30, s33, 0
	s_cmp_ge_u32 s30, s3
	s_cselect_b32 s31, -1, 0
	s_cmp_ge_u32 s34, s2
	s_cselect_b32 s33, -1, 0
	s_cmp_eq_u32 s30, s3
	s_cselect_b32 s30, s33, s31
	s_add_u32 s31, s1, 1
	s_addc_u32 s33, s17, 0
	s_add_u32 s34, s1, 2
	s_addc_u32 s35, s17, 0
	s_cmp_lg_u32 s30, 0
	s_cselect_b32 s30, s34, s31
	s_cselect_b32 s31, s35, s33
	s_cmp_lg_u64 s[28:29], 0
	s_subb_u32 s25, s27, s25
	s_cmp_ge_u32 s25, s3
	s_cselect_b32 s27, -1, 0
	s_cmp_ge_u32 s26, s2
	s_cselect_b32 s2, -1, 0
	s_cmp_eq_u32 s25, s3
	s_cselect_b32 s2, s2, s27
	s_cmp_lg_u32 s2, 0
	s_cselect_b32 s3, s31, s17
	s_cselect_b32 s2, s30, s1
	s_xor_b64 s[8:9], s[8:9], 0
	s_xor_b64 s[2:3], s[2:3], s[8:9]
	s_sub_u32 s8, s2, s8
	s_cbranch_execnz .LBB12_11
.LBB12_10:
	s_sub_i32 s1, 0, s22
	v_readfirstlane_b32 s2, v7
	s_mul_i32 s1, s1, s2
	s_mul_hi_u32 s1, s2, s1
	s_add_i32 s2, s2, s1
	s_mul_hi_u32 s1, s16, s2
	s_mul_i32 s3, s1, s22
	s_sub_i32 s3, s16, s3
	s_add_i32 s2, s1, 1
	s_sub_i32 s8, s3, s22
	s_cmp_ge_u32 s3, s22
	s_cselect_b32 s1, s2, s1
	s_cselect_b32 s3, s8, s3
	s_add_i32 s2, s1, 1
	s_cmp_ge_u32 s3, s22
	s_cselect_b32 s8, s2, s1
.LBB12_11:
	s_cmp_lg_u32 s6, s8
	s_cbranch_scc0 .LBB12_15
; %bb.12:
	s_add_i32 s1, s21, s22
	s_lshl_b32 s1, s1, 5
	s_add_i32 s2, s1, s15
	s_mov_b32 s3, s0
	s_lshl_b64 s[2:3], s[2:3], 3
	s_add_u32 s16, s18, s2
	s_mul_hi_u32 s1, s8, s12
	s_addc_u32 s17, s19, s3
	s_add_i32 s1, s1, s8
	s_lshr_b32 s1, s1, s13
	s_mul_i32 s2, s1, s14
	s_cmp_eq_u32 s2, s8
	s_cselect_b64 s[2:3], -1, 0
	s_cmp_lt_u32 s1, s7
	s_cselect_b64 s[26:27], -1, 0
	s_or_b64 s[26:27], s[26:27], s[2:3]
	s_mov_b64 s[2:3], -1
	s_and_b64 vcc, exec, s[26:27]
	s_mov_b32 s1, s21
	s_mov_b32 s25, s6
	s_cbranch_vccnz .LBB12_14
; %bb.13:
	s_add_i32 s1, s21, -1
	s_mov_b64 s[2:3], 0
	s_mov_b32 s25, s8
.LBB12_14:
	s_mul_i32 s8, s21, 0xa00
	v_add_u32_e32 v4, s8, v6
	v_ashrrev_i32_e32 v5, 31, v4
	v_lshl_add_u64 v[4:5], v[4:5], 2, s[4:5]
	global_load_dword v5, v[4:5], off
	s_load_dwordx2 s[8:9], s[16:17], 0x0
	v_max_f32_e32 v4, v9, v9
	s_waitcnt lgkmcnt(0)
	v_max_f32_e64 v10, s8, s8
	v_max_f32_e32 v10, v4, v10
	v_sub_f32_e32 v11, v9, v10
	v_sub_f32_e32 v13, s8, v10
	v_mul_f32_e32 v4, 0x3fb8aa3b, v11
	v_mul_f32_e32 v12, 0x3fb8aa3b, v13
	v_fma_f32 v14, v11, s10, -v4
	v_rndne_f32_e32 v15, v4
	v_fma_f32 v16, v13, s10, -v12
	v_rndne_f32_e32 v17, v12
	v_fmac_f32_e32 v14, 0x32a5705f, v11
	v_sub_f32_e32 v4, v4, v15
	v_fmac_f32_e32 v16, 0x32a5705f, v13
	v_sub_f32_e32 v12, v12, v17
	v_add_f32_e32 v4, v4, v14
	v_cvt_i32_f32_e32 v15, v15
	v_add_f32_e32 v12, v12, v16
	v_exp_f32_e32 v14, v4
	v_cvt_i32_f32_e32 v17, v17
	v_exp_f32_e32 v12, v12
	v_cmp_ngt_f32_e32 vcc, s20, v11
	v_ldexp_f32 v14, v14, v15
	v_mov_b32_e32 v4, s9
	v_ldexp_f32 v12, v12, v17
	v_cndmask_b32_e32 v14, 0, v14, vcc
	v_cmp_ngt_f32_e32 vcc, s20, v13
	s_nop 1
	v_cndmask_b32_e32 v12, 0, v12, vcc
	v_cmp_nlt_f32_e32 vcc, s23, v11
	s_nop 1
	v_cndmask_b32_e32 v14, v8, v14, vcc
	v_cmp_nlt_f32_e32 vcc, s23, v13
	s_nop 1
	v_cndmask_b32_e32 v15, v8, v12, vcc
	v_cmp_le_f32_e32 vcc, s24, v11
	s_nop 1
	v_cndmask_b32_e32 v12, 0, v14, vcc
	v_cmp_le_f32_e32 vcc, s24, v13
	s_nop 1
	v_cndmask_b32_e32 v14, 0, v15, vcc
	s_waitcnt vmcnt(0)
	v_pk_mul_f32 v[4:5], v[4:5], v[14:15] op_sel_hi:[1,0]
	s_nop 0
	v_pk_fma_f32 v[4:5], v[0:1], v[12:13], v[4:5] op_sel_hi:[1,0,1]
	s_cbranch_execz .LBB12_16
	s_branch .LBB12_17
.LBB12_15:
                                        ; implicit-def: $vgpr4_vgpr5
                                        ; implicit-def: $sgpr2_sgpr3
                                        ; implicit-def: $vgpr10
                                        ; implicit-def: $sgpr1
                                        ; implicit-def: $sgpr25
.LBB12_16:
	s_add_i32 s1, s21, -1
	s_mov_b64 s[2:3], 0
	s_mov_b32 s25, s6
	v_mov_b32_e32 v10, v9
	s_waitcnt vmcnt(0)
	v_mov_b64_e32 v[4:5], v[0:1]
.LBB12_17:
	s_andn2_b64 vcc, exec, s[2:3]
	s_cbranch_vccz .LBB12_22
; %bb.18:
	s_mov_b32 s6, s25
	s_mov_b32 s21, s1
	v_mov_b32_e32 v9, v10
	s_waitcnt vmcnt(0)
	v_mov_b64_e32 v[0:1], v[4:5]
	s_mul_hi_i32 s1, s21, s11
	s_cmp_lg_u64 s[0:1], 0
	s_mul_i32 s16, s21, s11
	s_cbranch_scc1 .LBB12_9
.LBB12_19:
                                        ; implicit-def: $sgpr8_sgpr9
	s_branch .LBB12_10
.LBB12_20:
                                        ; implicit-def: $sgpr6_sgpr7
	s_load_dwordx4 s[12:15], s[0:1], 0x44
	s_branch .LBB12_2
.LBB12_21:
                                        ; implicit-def: $sgpr18_sgpr19
	s_branch .LBB12_5
.LBB12_22:
	v_div_scale_f32 v0, s[0:1], v4, v4, v5
	s_waitcnt vmcnt(0)
	v_rcp_f32_e32 v1, v0
	v_div_scale_f32 v6, vcc, v5, v4, v5
	v_fma_f32 v7, -v0, v1, 1.0
	v_fmac_f32_e32 v1, v7, v1
	v_mul_f32_e32 v7, v6, v1
	v_fma_f32 v8, -v0, v7, v6
	v_fmac_f32_e32 v7, v8, v1
	v_fma_f32 v0, -v0, v7, v6
	v_div_fmas_f32 v0, v0, v1, v7
	v_div_fixup_f32 v0, v0, v4, v5
	global_store_dword v[2:3], v0, off
.LBB12_23:
	s_endpgm
	.section	.rodata,"a",@progbits
	.p2align	6, 0x0
	.amdhsa_kernel _ZL33flash_attn_stream_k_fixup_generalILi80ELi8ELi4EEvPfPK15HIP_vector_typeIfLj2EEiiiiS1_IjLj3EES5_S5_S5_
		.amdhsa_group_segment_fixed_size 0
		.amdhsa_private_segment_fixed_size 0
		.amdhsa_kernarg_size 336
		.amdhsa_user_sgpr_count 2
		.amdhsa_user_sgpr_dispatch_ptr 0
		.amdhsa_user_sgpr_queue_ptr 0
		.amdhsa_user_sgpr_kernarg_segment_ptr 1
		.amdhsa_user_sgpr_dispatch_id 0
		.amdhsa_user_sgpr_kernarg_preload_length 0
		.amdhsa_user_sgpr_kernarg_preload_offset 0
		.amdhsa_user_sgpr_private_segment_size 0
		.amdhsa_uses_dynamic_stack 0
		.amdhsa_enable_private_segment 0
		.amdhsa_system_sgpr_workgroup_id_x 1
		.amdhsa_system_sgpr_workgroup_id_y 1
		.amdhsa_system_sgpr_workgroup_id_z 1
		.amdhsa_system_sgpr_workgroup_info 0
		.amdhsa_system_vgpr_workitem_id 0
		.amdhsa_next_free_vgpr 18
		.amdhsa_next_free_sgpr 36
		.amdhsa_accum_offset 20
		.amdhsa_reserve_vcc 1
		.amdhsa_float_round_mode_32 0
		.amdhsa_float_round_mode_16_64 0
		.amdhsa_float_denorm_mode_32 3
		.amdhsa_float_denorm_mode_16_64 3
		.amdhsa_dx10_clamp 1
		.amdhsa_ieee_mode 1
		.amdhsa_fp16_overflow 0
		.amdhsa_tg_split 0
		.amdhsa_exception_fp_ieee_invalid_op 0
		.amdhsa_exception_fp_denorm_src 0
		.amdhsa_exception_fp_ieee_div_zero 0
		.amdhsa_exception_fp_ieee_overflow 0
		.amdhsa_exception_fp_ieee_underflow 0
		.amdhsa_exception_fp_ieee_inexact 0
		.amdhsa_exception_int_div_zero 0
	.end_amdhsa_kernel
	.section	.text._ZL33flash_attn_stream_k_fixup_generalILi80ELi8ELi4EEvPfPK15HIP_vector_typeIfLj2EEiiiiS1_IjLj3EES5_S5_S5_,"axG",@progbits,_ZL33flash_attn_stream_k_fixup_generalILi80ELi8ELi4EEvPfPK15HIP_vector_typeIfLj2EEiiiiS1_IjLj3EES5_S5_S5_,comdat
.Lfunc_end12:
	.size	_ZL33flash_attn_stream_k_fixup_generalILi80ELi8ELi4EEvPfPK15HIP_vector_typeIfLj2EEiiiiS1_IjLj3EES5_S5_S5_, .Lfunc_end12-_ZL33flash_attn_stream_k_fixup_generalILi80ELi8ELi4EEvPfPK15HIP_vector_typeIfLj2EEiiiiS1_IjLj3EES5_S5_S5_
                                        ; -- End function
	.set _ZL33flash_attn_stream_k_fixup_generalILi80ELi8ELi4EEvPfPK15HIP_vector_typeIfLj2EEiiiiS1_IjLj3EES5_S5_S5_.num_vgpr, 18
	.set _ZL33flash_attn_stream_k_fixup_generalILi80ELi8ELi4EEvPfPK15HIP_vector_typeIfLj2EEiiiiS1_IjLj3EES5_S5_S5_.num_agpr, 0
	.set _ZL33flash_attn_stream_k_fixup_generalILi80ELi8ELi4EEvPfPK15HIP_vector_typeIfLj2EEiiiiS1_IjLj3EES5_S5_S5_.numbered_sgpr, 36
	.set _ZL33flash_attn_stream_k_fixup_generalILi80ELi8ELi4EEvPfPK15HIP_vector_typeIfLj2EEiiiiS1_IjLj3EES5_S5_S5_.num_named_barrier, 0
	.set _ZL33flash_attn_stream_k_fixup_generalILi80ELi8ELi4EEvPfPK15HIP_vector_typeIfLj2EEiiiiS1_IjLj3EES5_S5_S5_.private_seg_size, 0
	.set _ZL33flash_attn_stream_k_fixup_generalILi80ELi8ELi4EEvPfPK15HIP_vector_typeIfLj2EEiiiiS1_IjLj3EES5_S5_S5_.uses_vcc, 1
	.set _ZL33flash_attn_stream_k_fixup_generalILi80ELi8ELi4EEvPfPK15HIP_vector_typeIfLj2EEiiiiS1_IjLj3EES5_S5_S5_.uses_flat_scratch, 0
	.set _ZL33flash_attn_stream_k_fixup_generalILi80ELi8ELi4EEvPfPK15HIP_vector_typeIfLj2EEiiiiS1_IjLj3EES5_S5_S5_.has_dyn_sized_stack, 0
	.set _ZL33flash_attn_stream_k_fixup_generalILi80ELi8ELi4EEvPfPK15HIP_vector_typeIfLj2EEiiiiS1_IjLj3EES5_S5_S5_.has_recursion, 0
	.set _ZL33flash_attn_stream_k_fixup_generalILi80ELi8ELi4EEvPfPK15HIP_vector_typeIfLj2EEiiiiS1_IjLj3EES5_S5_S5_.has_indirect_call, 0
	.section	.AMDGPU.csdata,"",@progbits
; Kernel info:
; codeLenInByte = 2944
; TotalNumSgprs: 42
; NumVgprs: 18
; NumAgprs: 0
; TotalNumVgprs: 18
; ScratchSize: 0
; MemoryBound: 0
; FloatMode: 240
; IeeeMode: 1
; LDSByteSize: 0 bytes/workgroup (compile time only)
; SGPRBlocks: 5
; VGPRBlocks: 2
; NumSGPRsForWavesPerEU: 42
; NumVGPRsForWavesPerEU: 18
; AccumOffset: 20
; Occupancy: 8
; WaveLimiterHint : 0
; COMPUTE_PGM_RSRC2:SCRATCH_EN: 0
; COMPUTE_PGM_RSRC2:USER_SGPR: 2
; COMPUTE_PGM_RSRC2:TRAP_HANDLER: 0
; COMPUTE_PGM_RSRC2:TGID_X_EN: 1
; COMPUTE_PGM_RSRC2:TGID_Y_EN: 1
; COMPUTE_PGM_RSRC2:TGID_Z_EN: 1
; COMPUTE_PGM_RSRC2:TIDIG_COMP_CNT: 0
; COMPUTE_PGM_RSRC3_GFX90A:ACCUM_OFFSET: 4
; COMPUTE_PGM_RSRC3_GFX90A:TG_SPLIT: 0
	.section	.text._ZL26flash_attn_combine_resultsILi80EEvPKfPK15HIP_vector_typeIfLj2EEPfi,"axG",@progbits,_ZL26flash_attn_combine_resultsILi80EEvPKfPK15HIP_vector_typeIfLj2EEPfi,comdat
	.globl	_ZL26flash_attn_combine_resultsILi80EEvPKfPK15HIP_vector_typeIfLj2EEPfi ; -- Begin function _ZL26flash_attn_combine_resultsILi80EEvPKfPK15HIP_vector_typeIfLj2EEPfi
	.p2align	8
	.type	_ZL26flash_attn_combine_resultsILi80EEvPKfPK15HIP_vector_typeIfLj2EEPfi,@function
_ZL26flash_attn_combine_resultsILi80EEvPKfPK15HIP_vector_typeIfLj2EEPfi: ; @_ZL26flash_attn_combine_resultsILi80EEvPKfPK15HIP_vector_typeIfLj2EEPfi
; %bb.0:
	s_load_dwordx2 s[6:7], s[0:1], 0x20
	s_load_dword s23, s[0:1], 0x18
	s_load_dwordx4 s[16:19], s[0:1], 0x0
	s_load_dwordx2 s[14:15], s[0:1], 0x10
	s_waitcnt lgkmcnt(0)
	s_mul_i32 s0, s6, s4
	s_add_i32 s0, s0, s2
	s_mul_i32 s22, s0, s7
	s_add_i32 s22, s22, s3
	s_lshl_b32 s12, s23, 1
	s_mul_i32 s2, s22, s23
	v_cmp_gt_i32_e32 vcc, s12, v0
	s_and_saveexec_b64 s[0:1], vcc
	s_cbranch_execz .LBB13_13
; %bb.1:
	v_xad_u32 v1, v0, -1, s12
	s_movk_i32 s4, 0x4f
	s_ashr_i32 s3, s2, 31
	v_cmp_lt_u32_e32 vcc, s4, v1
	s_mov_b64 s[6:7], -1
	v_mov_b32_e32 v2, v0
	s_and_saveexec_b64 s[4:5], vcc
	s_cbranch_execz .LBB13_10
; %bb.2:
	s_mov_b32 s6, 0xcccccccd
	v_mul_hi_u32 v1, v1, s6
	v_lshrrev_b32_e32 v6, 6, v1
	s_lshl_b64 s[6:7], s[2:3], 3
	v_add_u32_e32 v2, -1, v6
	s_add_u32 s6, s18, s6
	v_add_u32_e32 v1, 0x50, v0
	v_lshrrev_b32_e32 v3, 1, v2
	s_addc_u32 s7, s19, s7
	v_add_u32_e32 v7, 1, v3
	v_cmp_lt_u32_e32 vcc, 13, v2
	v_mov_b32_e32 v4, 0
	v_mov_b64_e32 v[2:3], v[0:1]
	s_and_saveexec_b64 s[8:9], vcc
	s_cbranch_execz .LBB13_6
; %bb.3:
	v_and_b32_e32 v8, -8, v7
	s_mov_b32 s13, 0
	v_lshl_add_u32 v9, v0, 2, 0
	s_mov_b64 s[10:11], 0
	v_mov_b32_e32 v5, 0
	v_mov_b64_e32 v[2:3], v[0:1]
.LBB13_4:                               ; =>This Inner Loop Header: Depth=1
	v_mov_b32_e32 v4, v2
	v_lshl_add_u64 v[24:25], v[4:5], 2, s[6:7]
	v_mov_b32_e32 v4, v3
	v_add_u32_e32 v10, 0xa0, v3
	v_mov_b32_e32 v11, v5
	v_lshl_add_u64 v[26:27], v[4:5], 2, s[6:7]
	v_add_u32_e32 v4, 0xa0, v2
	v_lshl_add_u64 v[10:11], v[10:11], 2, s[6:7]
	global_load_dword v1, v[24:25], off
	v_lshl_add_u64 v[24:25], v[4:5], 2, s[6:7]
	v_add_u32_e32 v4, 0x140, v2
	global_load_dword v28, v[26:27], off
	global_load_dword v29, v[24:25], off
	;; [unrolled: 1-line block ×3, first 2 shown]
	v_lshl_add_u64 v[10:11], v[4:5], 2, s[6:7]
	v_add_u32_e32 v4, 0x1e0, v2
	v_add_u32_e32 v12, 0x140, v3
	v_mov_b32_e32 v13, v5
	v_add_u32_e32 v14, 0x1e0, v3
	v_mov_b32_e32 v15, v5
	v_lshl_add_u64 v[24:25], v[4:5], 2, s[6:7]
	v_add_u32_e32 v4, 0x280, v2
	v_lshl_add_u64 v[12:13], v[12:13], 2, s[6:7]
	v_lshl_add_u64 v[14:15], v[14:15], 2, s[6:7]
	global_load_dword v26, v[10:11], off
	global_load_dword v27, v[12:13], off
	global_load_dword v31, v[24:25], off
	global_load_dword v32, v[14:15], off
	v_lshl_add_u64 v[10:11], v[4:5], 2, s[6:7]
	v_add_u32_e32 v4, 0x320, v2
	v_add_u32_e32 v16, 0x280, v3
	v_mov_b32_e32 v17, v5
	v_add_u32_e32 v18, 0x320, v3
	v_mov_b32_e32 v19, v5
	v_lshl_add_u64 v[12:13], v[4:5], 2, s[6:7]
	v_add_u32_e32 v4, 0x3c0, v2
	v_add_u32_e32 v20, 0x3c0, v3
	v_mov_b32_e32 v21, v5
	v_add_u32_e32 v22, 0x460, v3
	v_mov_b32_e32 v23, v5
	v_lshl_add_u64 v[16:17], v[16:17], 2, s[6:7]
	v_lshl_add_u64 v[18:19], v[18:19], 2, s[6:7]
	global_load_dword v14, v[10:11], off
	global_load_dword v15, v[16:17], off
	;; [unrolled: 1-line block ×4, first 2 shown]
	v_lshl_add_u64 v[10:11], v[4:5], 2, s[6:7]
	v_add_u32_e32 v4, 0x460, v2
	v_lshl_add_u64 v[20:21], v[20:21], 2, s[6:7]
	v_lshl_add_u64 v[22:23], v[22:23], 2, s[6:7]
	;; [unrolled: 1-line block ×3, first 2 shown]
	global_load_dword v16, v[10:11], off
	global_load_dword v17, v[20:21], off
	;; [unrolled: 1-line block ×4, first 2 shown]
	v_add_u32_e32 v8, -8, v8
	s_add_i32 s13, s13, 16
	v_cmp_eq_u32_e32 vcc, 0, v8
	v_add_u32_e32 v10, 0x400, v9
	v_add_u32_e32 v11, 0x600, v9
	;; [unrolled: 1-line block ×7, first 2 shown]
	v_mov_b32_e32 v4, s13
	s_or_b64 s[10:11], vcc, s[10:11]
	v_add_u32_e32 v2, 0x500, v2
	s_waitcnt vmcnt(14)
	ds_write2_b32 v9, v1, v28 offset1:80
	s_waitcnt vmcnt(12)
	ds_write2_b32 v9, v29, v30 offset0:160 offset1:240
	v_add_u32_e32 v9, 0x1400, v9
	s_waitcnt vmcnt(10)
	ds_write2_b32 v10, v26, v27 offset0:64 offset1:144
	s_waitcnt vmcnt(8)
	ds_write2_b32 v11, v31, v32 offset0:96 offset1:176
	;; [unrolled: 2-line block ×6, first 2 shown]
	s_andn2_b64 exec, exec, s[10:11]
	s_cbranch_execnz .LBB13_4
; %bb.5:
	s_or_b64 exec, exec, s[10:11]
.LBB13_6:
	s_or_b64 exec, exec, s[8:9]
	v_and_b32_e32 v1, 7, v7
	v_cmp_ne_u32_e32 vcc, 0, v1
	s_and_saveexec_b64 s[8:9], vcc
	s_cbranch_execz .LBB13_9
; %bb.7:
	s_movk_i32 s10, 0x140
	v_mul_lo_u32 v4, v4, s10
	v_lshlrev_b32_e32 v5, 2, v0
	v_add3_u32 v7, v4, v5, 0
	s_mov_b64 s[10:11], 0
	v_mov_b32_e32 v5, 0
.LBB13_8:                               ; =>This Inner Loop Header: Depth=1
	v_mov_b32_e32 v4, v2
	v_lshl_add_u64 v[8:9], v[4:5], 2, s[6:7]
	v_mov_b32_e32 v4, v3
	v_lshl_add_u64 v[10:11], v[4:5], 2, s[6:7]
	global_load_dword v4, v[8:9], off
	global_load_dword v12, v[10:11], off
	v_add_u32_e32 v1, -1, v1
	v_cmp_eq_u32_e32 vcc, 0, v1
	v_add_u32_e32 v2, 0xa0, v2
	v_add_u32_e32 v3, 0xa0, v3
	s_or_b64 s[10:11], vcc, s[10:11]
	s_waitcnt vmcnt(0)
	ds_write2_b32 v7, v4, v12 offset1:80
	v_add_u32_e32 v7, 0x280, v7
	s_andn2_b64 exec, exec, s[10:11]
	s_cbranch_execnz .LBB13_8
.LBB13_9:
	s_or_b64 exec, exec, s[8:9]
	v_add_u32_e32 v1, 1, v6
	v_and_b32_e32 v4, 0x7fffffe, v1
	s_movk_i32 s6, 0x50
	v_mad_u64_u32 v[2:3], s[6:7], v4, s6, v[0:1]
	v_cmp_ne_u32_e32 vcc, v1, v4
	s_orn2_b64 s[6:7], vcc, exec
.LBB13_10:
	s_or_b64 exec, exec, s[4:5]
	s_and_b64 exec, exec, s[6:7]
	s_cbranch_execz .LBB13_13
; %bb.11:
	s_lshl_b64 s[4:5], s[2:3], 3
	s_add_u32 s4, s18, s4
	v_mov_b32_e32 v3, 0
	s_addc_u32 s5, s19, s5
	v_lshl_add_u64 v[4:5], v[2:3], 2, s[4:5]
	v_lshl_add_u32 v1, v2, 2, 0
	s_mov_b64 s[4:5], 0
	s_mov_b64 s[6:7], 0x140
.LBB13_12:                              ; =>This Inner Loop Header: Depth=1
	global_load_dword v3, v[4:5], off
	v_add_u32_e32 v2, 0x50, v2
	v_cmp_le_i32_e32 vcc, s12, v2
	v_lshl_add_u64 v[4:5], v[4:5], 0, s[6:7]
	s_or_b64 s[4:5], vcc, s[4:5]
	s_waitcnt vmcnt(0)
	ds_write_b32 v1, v3
	v_add_u32_e32 v1, 0x140, v1
	s_andn2_b64 exec, exec, s[4:5]
	s_cbranch_execnz .LBB13_12
.LBB13_13:
	s_or_b64 exec, exec, s[0:1]
	v_mov_b32_e32 v1, 0
	s_waitcnt lgkmcnt(0)
	s_barrier
	ds_read_b32 v1, v1
	s_cmp_lt_i32 s23, 2
	s_cbranch_scc1 .LBB13_21
; %bb.14:
	s_cmp_eq_u32 s23, 2
	s_cbranch_scc1 .LBB13_18
; %bb.15:
	s_add_i32 s3, s23, -1
	s_and_b32 s4, s3, -2
	s_add_i32 s6, 0, 8
	s_mov_b32 s5, 2
	s_waitcnt lgkmcnt(0)
	v_mov_b32_e32 v4, v1
.LBB13_16:                              ; =>This Inner Loop Header: Depth=1
	v_mov_b32_e32 v2, v1
	v_mov_b32_e32 v1, s6
	;; [unrolled: 1-line block ×3, first 2 shown]
	ds_read2_b32 v[4:5], v1 offset1:2
	s_cmp_lg_u32 s4, s5
	s_cselect_b64 s[8:9], -1, 0
	v_max_f32_e32 v1, v3, v3
	v_max_f32_e32 v6, v2, v2
	s_waitcnt lgkmcnt(0)
	v_cmp_u_f32_e32 vcc, v5, v5
	v_max_f32_e32 v7, v5, v5
	v_max_f32_e32 v8, v4, v4
	v_cndmask_b32_e64 v5, 0, 1, vcc
	v_cmp_u_f32_e32 vcc, v4, v4
	v_readfirstlane_b32 s0, v5
	s_lshl_b32 s0, s0, 1
	v_cndmask_b32_e64 v9, 0, 1, vcc
	v_max_f32_e32 v4, v1, v7
	v_readfirstlane_b32 s1, v9
	s_or_b32 s0, s1, s0
	s_and_b32 s7, s0, 3
	s_cmp_lg_u32 s7, 0
	s_cselect_b64 s[0:1], -1, 0
	s_cmp_eq_u32 s7, 0
	s_cselect_b64 s[10:11], -1, 0
	s_and_b64 s[8:9], s[10:11], s[8:9]
	v_max_f32_e32 v1, v6, v8
	s_add_i32 s5, s5, 2
	s_add_i32 s6, s6, 16
	s_and_b64 vcc, exec, s[8:9]
	s_cbranch_vccnz .LBB13_16
; %bb.17:
	s_add_i32 s5, s5, -4
	s_and_b64 s[6:7], s[0:1], exec
	s_cselect_b32 s5, s5, s3
	s_or_b32 s5, s5, 1
	v_cndmask_b32_e64 v1, v1, v2, s[0:1]
	v_cndmask_b32_e64 v2, v4, v3, s[0:1]
	s_cmp_lg_u32 s3, s4
	v_max_f32_e32 v2, v2, v2
	v_max_f32_e32 v1, v1, v1
	s_cselect_b64 s[6:7], -1, 0
	v_max_f32_e32 v1, v1, v2
	s_or_b64 s[0:1], s[6:7], s[0:1]
	s_and_b64 vcc, exec, s[0:1]
	s_cbranch_vccnz .LBB13_19
	s_branch .LBB13_21
.LBB13_18:
	s_mov_b32 s5, 1
	s_cbranch_execz .LBB13_21
.LBB13_19:
	s_lshl_b32 s1, s5, 3
	s_sub_i32 s0, s23, s5
	s_add_i32 s1, s1, 0
.LBB13_20:                              ; =>This Inner Loop Header: Depth=1
	v_mov_b32_e32 v2, s1
	ds_read_b32 v2, v2
	s_waitcnt lgkmcnt(1)
	v_max_f32_e32 v1, v1, v1
	s_add_i32 s0, s0, -1
	s_add_i32 s1, s1, 8
	s_cmp_eq_u32 s0, 0
	s_waitcnt lgkmcnt(0)
	v_max_f32_e32 v2, v2, v2
	v_max_f32_e32 v1, v1, v2
	s_cbranch_scc0 .LBB13_20
.LBB13_21:
	s_cmp_lt_i32 s23, 1
	s_cbranch_scc1 .LBB13_26
; %bb.22:
	s_mul_i32 s18, s2, 0x50
	s_ashr_i32 s19, s18, 31
	s_cmp_lt_u32 s23, 8
	s_cbranch_scc1 .LBB13_27
; %bb.23:
	s_lshl_b64 s[0:1], s[18:19], 2
	s_add_u32 s20, s16, s0
	v_mov_b32_e32 v7, 0
	s_addc_u32 s21, s17, s1
	s_and_b32 s24, s23, 0x7ffffff8
	v_add_u32_e32 v4, 0x140, v0
	s_mov_b32 s25, 0
	s_mov_b32 s26, 0x3fb8aa3b
	;; [unrolled: 1-line block ×4, first 2 shown]
	v_mov_b32_e32 v8, 0x7f800000
	s_mov_b32 s29, 0
	v_mov_b32_e32 v2, v7
	v_mov_b32_e32 v3, v7
.LBB13_24:                              ; =>This Inner Loop Header: Depth=1
	v_add_u32_e32 v6, 0xfffffec0, v4
	v_mov_b32_e32 v9, s25
	v_lshl_add_u64 v[26:27], v[6:7], 2, s[20:21]
	v_add_u32_e32 v6, 0xffffff10, v4
	ds_read2_b64 v[10:13], v9 offset1:1
	ds_read2_b64 v[14:17], v9 offset0:2 offset1:3
	ds_read2_b64 v[18:21], v9 offset0:4 offset1:5
	;; [unrolled: 1-line block ×3, first 2 shown]
	v_lshl_add_u64 v[30:31], v[6:7], 2, s[20:21]
	v_add_u32_e32 v6, 0xffffff60, v4
	global_load_dword v33, v[26:27], off
	global_load_dword v35, v[30:31], off
	v_lshl_add_u64 v[26:27], v[6:7], 2, s[20:21]
	v_add_u32_e32 v6, 0xffffffb0, v4
	v_mov_b32_e32 v5, v7
	v_lshl_add_u64 v[30:31], v[6:7], 2, s[20:21]
	v_add_u32_e32 v6, 0x50, v4
	v_lshl_add_u64 v[28:29], v[4:5], 2, s[20:21]
	global_load_dword v37, v[26:27], off
	global_load_dword v39, v[30:31], off
	;; [unrolled: 1-line block ×3, first 2 shown]
	v_lshl_add_u64 v[26:27], v[6:7], 2, s[20:21]
	v_add_u32_e32 v6, 0xa0, v4
	s_waitcnt lgkmcnt(3)
	v_mov_b32_e32 v32, v11
	v_sub_f32_e32 v9, v12, v1
	v_mov_b32_e32 v34, v13
	global_load_dword v11, v[26:27], off
	v_lshl_add_u64 v[12:13], v[6:7], 2, s[20:21]
	v_add_u32_e32 v6, 0xf0, v4
	s_waitcnt lgkmcnt(2)
	v_mov_b32_e32 v36, v15
	global_load_dword v15, v[12:13], off
	v_lshl_add_u64 v[12:13], v[6:7], 2, s[20:21]
	v_mov_b32_e32 v38, v17
	global_load_dword v17, v[12:13], off
	v_sub_f32_e32 v5, v10, v1
	s_waitcnt lgkmcnt(1)
	v_mov_b32_e32 v40, v19
	v_sub_f32_e32 v19, v20, v1
	s_waitcnt lgkmcnt(0)
	v_sub_f32_e32 v20, v22, v1
	v_mul_f32_e32 v22, 0x3fb8aa3b, v5
	v_sub_f32_e32 v28, v14, v1
	v_sub_f32_e32 v29, v16, v1
	v_mov_b32_e32 v14, v23
	v_mul_f32_e32 v23, 0x3fb8aa3b, v9
	v_fma_f32 v6, v5, s26, -v22
	v_rndne_f32_e32 v42, v22
	v_sub_f32_e32 v18, v18, v1
	v_mov_b32_e32 v10, v21
	v_sub_f32_e32 v21, v24, v1
	v_mov_b32_e32 v16, v25
	v_mul_f32_e32 v24, 0x3fb8aa3b, v28
	v_mul_f32_e32 v25, 0x3fb8aa3b, v29
	v_fma_f32 v43, v9, s26, -v23
	v_rndne_f32_e32 v44, v23
	v_fmac_f32_e32 v6, 0x32a5705f, v5
	v_sub_f32_e32 v12, v22, v42
	v_mul_f32_e32 v26, 0x3fb8aa3b, v18
	v_mul_f32_e32 v27, 0x3fb8aa3b, v19
	;; [unrolled: 1-line block ×3, first 2 shown]
	v_fma_f32 v45, v28, s26, -v24
	v_rndne_f32_e32 v46, v24
	v_fma_f32 v47, v29, s26, -v25
	v_rndne_f32_e32 v48, v25
	v_fmac_f32_e32 v43, 0x32a5705f, v9
	v_sub_f32_e32 v22, v23, v44
	v_add_f32_e32 v6, v12, v6
	v_fma_f32 v49, v18, s26, -v26
	v_rndne_f32_e32 v50, v26
	v_fma_f32 v51, v19, s26, -v27
	v_rndne_f32_e32 v52, v27
	v_fma_f32 v53, v20, s26, -v30
	v_rndne_f32_e32 v54, v30
	v_cvt_i32_f32_e32 v13, v42
	v_fmac_f32_e32 v45, 0x32a5705f, v28
	v_sub_f32_e32 v24, v24, v46
	v_fmac_f32_e32 v47, 0x32a5705f, v29
	v_sub_f32_e32 v25, v25, v48
	v_add_f32_e32 v12, v22, v43
	v_exp_f32_e32 v6, v6
	v_cvt_i32_f32_e32 v23, v44
	v_fmac_f32_e32 v49, 0x32a5705f, v18
	v_sub_f32_e32 v26, v26, v50
	v_fmac_f32_e32 v51, 0x32a5705f, v19
	v_sub_f32_e32 v27, v27, v52
	;; [unrolled: 2-line block ×3, first 2 shown]
	v_add_f32_e32 v22, v24, v45
	v_add_f32_e32 v24, v25, v47
	v_exp_f32_e32 v12, v12
	v_mul_f32_e32 v31, 0x3fb8aa3b, v21
	v_cvt_i32_f32_e32 v42, v46
	v_cvt_i32_f32_e32 v44, v48
	v_add_f32_e32 v25, v26, v49
	v_add_f32_e32 v26, v27, v51
	;; [unrolled: 1-line block ×3, first 2 shown]
	v_exp_f32_e32 v22, v22
	v_exp_f32_e32 v24, v24
	v_fma_f32 v55, v21, s26, -v31
	v_rndne_f32_e32 v56, v31
	v_cvt_i32_f32_e32 v46, v50
	v_cvt_i32_f32_e32 v48, v52
	;; [unrolled: 1-line block ×3, first 2 shown]
	v_exp_f32_e32 v25, v25
	v_exp_f32_e32 v26, v26
	;; [unrolled: 1-line block ×3, first 2 shown]
	v_fmac_f32_e32 v55, 0x32a5705f, v21
	v_sub_f32_e32 v31, v31, v56
	v_ldexp_f32 v6, v6, v13
	v_cmp_ngt_f32_e64 s[12:13], s27, v5
	v_add_f32_e32 v30, v31, v55
	v_ldexp_f32 v12, v12, v23
	v_cmp_ngt_f32_e32 vcc, s27, v9
	v_cndmask_b32_e64 v6, 0, v6, s[12:13]
	v_cmp_nlt_f32_e64 s[12:13], s28, v5
	v_cvt_i32_f32_e32 v52, v56
	v_exp_f32_e32 v30, v30
	v_ldexp_f32 v13, v22, v42
	v_cmp_ngt_f32_e64 s[0:1], s27, v28
	v_ldexp_f32 v22, v24, v44
	v_cmp_ngt_f32_e64 s[2:3], s27, v29
	v_cndmask_b32_e32 v12, 0, v12, vcc
	v_cmp_nlt_f32_e32 vcc, s28, v9
	v_cndmask_b32_e64 v6, v8, v6, s[12:13]
	v_ldexp_f32 v23, v25, v46
	v_cmp_ngt_f32_e64 s[4:5], s27, v18
	v_ldexp_f32 v24, v26, v48
	v_cmp_ngt_f32_e64 s[6:7], s27, v19
	;; [unrolled: 2-line block ×3, first 2 shown]
	v_cndmask_b32_e64 v9, 0, v13, s[0:1]
	v_cmp_nlt_f32_e64 s[0:1], s28, v28
	v_cndmask_b32_e64 v13, 0, v22, s[2:3]
	v_cndmask_b32_e32 v12, v8, v12, vcc
	s_waitcnt vmcnt(7)
	v_pk_fma_f32 v[2:3], v[6:7], v[32:33], v[2:3] op_sel_hi:[0,1,1]
	v_cmp_nlt_f32_e64 s[2:3], s28, v29
	v_cndmask_b32_e64 v22, 0, v23, s[4:5]
	v_cmp_nlt_f32_e64 s[4:5], s28, v18
	v_cndmask_b32_e64 v23, 0, v24, s[6:7]
	;; [unrolled: 2-line block ×3, first 2 shown]
	v_cndmask_b32_e64 v18, v8, v9, s[0:1]
	s_waitcnt vmcnt(6)
	v_pk_fma_f32 v[2:3], v[12:13], v[34:35], v[2:3] op_sel_hi:[0,1,1]
	v_cmp_nlt_f32_e64 s[8:9], s28, v20
	v_cndmask_b32_e64 v20, v8, v13, s[2:3]
	s_waitcnt vmcnt(5)
	v_pk_fma_f32 v[2:3], v[18:19], v[36:37], v[2:3] op_sel_hi:[0,1,1]
	v_ldexp_f32 v26, v30, v52
	v_cmp_ngt_f32_e64 s[10:11], s27, v21
	v_cndmask_b32_e64 v22, v8, v22, s[4:5]
	s_waitcnt vmcnt(4)
	v_pk_fma_f32 v[2:3], v[20:21], v[38:39], v[2:3] op_sel_hi:[0,1,1]
	v_cndmask_b32_e64 v25, 0, v26, s[10:11]
	v_cndmask_b32_e64 v24, v8, v23, s[6:7]
	s_waitcnt vmcnt(3)
	v_pk_fma_f32 v[2:3], v[22:23], v[40:41], v[2:3] op_sel_hi:[0,1,1]
	v_cmp_nlt_f32_e64 s[10:11], s28, v21
	v_cndmask_b32_e64 v26, v8, v19, s[8:9]
	s_waitcnt vmcnt(2)
	v_pk_fma_f32 v[2:3], v[24:25], v[10:11], v[2:3] op_sel_hi:[0,1,1]
	s_add_i32 s29, s29, 8
	s_add_i32 s25, s25, 64
	v_cndmask_b32_e64 v28, v8, v25, s[10:11]
	s_waitcnt vmcnt(1)
	v_pk_fma_f32 v[2:3], v[26:27], v[14:15], v[2:3] op_sel_hi:[0,1,1]
	s_cmp_eq_u32 s24, s29
	v_add_u32_e32 v4, 0x280, v4
	s_waitcnt vmcnt(0)
	v_pk_fma_f32 v[2:3], v[28:29], v[16:17], v[2:3] op_sel_hi:[0,1,1]
	s_cbranch_scc0 .LBB13_24
; %bb.25:
	s_and_b32 s2, s23, 7
	s_cmp_eq_u32 s2, 0
	s_cbranch_scc0 .LBB13_28
	s_branch .LBB13_30
.LBB13_26:
	s_waitcnt lgkmcnt(0)
	v_mov_b32_e32 v1, 0x7fc00000
	s_branch .LBB13_31
.LBB13_27:
	v_mov_b32_e32 v2, 0
	s_mov_b32 s24, 0
	v_mov_b32_e32 v3, v2
	s_and_b32 s2, s23, 7
	s_cmp_eq_u32 s2, 0
	s_cbranch_scc1 .LBB13_30
.LBB13_28:
	s_lshl_b64 s[0:1], s[18:19], 2
	s_mul_i32 s3, s24, 0x50
	s_add_u32 s0, s16, s0
	v_add_u32_e32 v4, s3, v0
	v_mov_b32_e32 v5, 0
	s_addc_u32 s1, s17, s1
	v_lshl_add_u64 v[4:5], v[4:5], 2, s[0:1]
	s_lshl_b32 s0, s24, 3
	s_add_i32 s3, s0, 0
	s_mov_b32 s4, 0x3fb8aa3b
	s_mov_b32 s5, 0xc2ce8ed0
	;; [unrolled: 1-line block ×3, first 2 shown]
	v_mov_b32_e32 v6, 0x7f800000
	s_mov_b64 s[0:1], 0x140
.LBB13_29:                              ; =>This Inner Loop Header: Depth=1
	global_load_dword v9, v[4:5], off
	v_mov_b32_e32 v7, s3
	ds_read_b64 v[10:11], v7
	s_add_i32 s3, s3, 8
	s_add_i32 s2, s2, -1
	v_lshl_add_u64 v[4:5], v[4:5], 0, s[0:1]
	s_cmp_lg_u32 s2, 0
	s_waitcnt lgkmcnt(0)
	v_sub_f32_e32 v7, v10, v1
	v_mul_f32_e32 v8, 0x3fb8aa3b, v7
	v_fma_f32 v10, v7, s4, -v8
	v_rndne_f32_e32 v12, v8
	v_fmac_f32_e32 v10, 0x32a5705f, v7
	v_sub_f32_e32 v8, v8, v12
	v_add_f32_e32 v8, v8, v10
	v_cvt_i32_f32_e32 v12, v12
	v_exp_f32_e32 v10, v8
	v_cmp_ngt_f32_e32 vcc, s5, v7
	v_mov_b32_e32 v8, v11
	v_ldexp_f32 v10, v10, v12
	v_cndmask_b32_e32 v10, 0, v10, vcc
	v_cmp_nlt_f32_e32 vcc, s6, v7
	s_nop 1
	v_cndmask_b32_e32 v10, v6, v10, vcc
	s_waitcnt vmcnt(0)
	v_pk_fma_f32 v[2:3], v[10:11], v[8:9], v[2:3] op_sel_hi:[0,1,1]
	s_cbranch_scc1 .LBB13_29
.LBB13_30:
	s_waitcnt lgkmcnt(0)
	v_div_scale_f32 v1, s[0:1], v2, v2, v3
	v_rcp_f32_e32 v4, v1
	v_div_scale_f32 v5, vcc, v3, v2, v3
	v_fma_f32 v6, -v1, v4, 1.0
	v_fmac_f32_e32 v4, v6, v4
	v_mul_f32_e32 v6, v5, v4
	v_fma_f32 v7, -v1, v6, v5
	v_fmac_f32_e32 v6, v7, v4
	v_fma_f32 v1, -v1, v6, v5
	v_div_fmas_f32 v1, v1, v4, v6
	v_div_fixup_f32 v1, v1, v2, v3
.LBB13_31:
	s_mul_i32 s0, s22, 0x50
	s_ashr_i32 s1, s0, 31
	s_lshl_b64 s[0:1], s[0:1], 2
	s_add_u32 s0, s14, s0
	s_addc_u32 s1, s15, s1
	v_lshlrev_b32_e32 v0, 2, v0
	global_store_dword v0, v1, s[0:1]
	s_endpgm
	.section	.rodata,"a",@progbits
	.p2align	6, 0x0
	.amdhsa_kernel _ZL26flash_attn_combine_resultsILi80EEvPKfPK15HIP_vector_typeIfLj2EEPfi
		.amdhsa_group_segment_fixed_size 0
		.amdhsa_private_segment_fixed_size 0
		.amdhsa_kernarg_size 288
		.amdhsa_user_sgpr_count 2
		.amdhsa_user_sgpr_dispatch_ptr 0
		.amdhsa_user_sgpr_queue_ptr 0
		.amdhsa_user_sgpr_kernarg_segment_ptr 1
		.amdhsa_user_sgpr_dispatch_id 0
		.amdhsa_user_sgpr_kernarg_preload_length 0
		.amdhsa_user_sgpr_kernarg_preload_offset 0
		.amdhsa_user_sgpr_private_segment_size 0
		.amdhsa_uses_dynamic_stack 0
		.amdhsa_enable_private_segment 0
		.amdhsa_system_sgpr_workgroup_id_x 1
		.amdhsa_system_sgpr_workgroup_id_y 1
		.amdhsa_system_sgpr_workgroup_id_z 1
		.amdhsa_system_sgpr_workgroup_info 0
		.amdhsa_system_vgpr_workitem_id 0
		.amdhsa_next_free_vgpr 57
		.amdhsa_next_free_sgpr 30
		.amdhsa_accum_offset 60
		.amdhsa_reserve_vcc 1
		.amdhsa_float_round_mode_32 0
		.amdhsa_float_round_mode_16_64 0
		.amdhsa_float_denorm_mode_32 3
		.amdhsa_float_denorm_mode_16_64 3
		.amdhsa_dx10_clamp 1
		.amdhsa_ieee_mode 1
		.amdhsa_fp16_overflow 0
		.amdhsa_tg_split 0
		.amdhsa_exception_fp_ieee_invalid_op 0
		.amdhsa_exception_fp_denorm_src 0
		.amdhsa_exception_fp_ieee_div_zero 0
		.amdhsa_exception_fp_ieee_overflow 0
		.amdhsa_exception_fp_ieee_underflow 0
		.amdhsa_exception_fp_ieee_inexact 0
		.amdhsa_exception_int_div_zero 0
	.end_amdhsa_kernel
	.section	.text._ZL26flash_attn_combine_resultsILi80EEvPKfPK15HIP_vector_typeIfLj2EEPfi,"axG",@progbits,_ZL26flash_attn_combine_resultsILi80EEvPKfPK15HIP_vector_typeIfLj2EEPfi,comdat
.Lfunc_end13:
	.size	_ZL26flash_attn_combine_resultsILi80EEvPKfPK15HIP_vector_typeIfLj2EEPfi, .Lfunc_end13-_ZL26flash_attn_combine_resultsILi80EEvPKfPK15HIP_vector_typeIfLj2EEPfi
                                        ; -- End function
	.set _ZL26flash_attn_combine_resultsILi80EEvPKfPK15HIP_vector_typeIfLj2EEPfi.num_vgpr, 57
	.set _ZL26flash_attn_combine_resultsILi80EEvPKfPK15HIP_vector_typeIfLj2EEPfi.num_agpr, 0
	.set _ZL26flash_attn_combine_resultsILi80EEvPKfPK15HIP_vector_typeIfLj2EEPfi.numbered_sgpr, 30
	.set _ZL26flash_attn_combine_resultsILi80EEvPKfPK15HIP_vector_typeIfLj2EEPfi.num_named_barrier, 0
	.set _ZL26flash_attn_combine_resultsILi80EEvPKfPK15HIP_vector_typeIfLj2EEPfi.private_seg_size, 0
	.set _ZL26flash_attn_combine_resultsILi80EEvPKfPK15HIP_vector_typeIfLj2EEPfi.uses_vcc, 1
	.set _ZL26flash_attn_combine_resultsILi80EEvPKfPK15HIP_vector_typeIfLj2EEPfi.uses_flat_scratch, 0
	.set _ZL26flash_attn_combine_resultsILi80EEvPKfPK15HIP_vector_typeIfLj2EEPfi.has_dyn_sized_stack, 0
	.set _ZL26flash_attn_combine_resultsILi80EEvPKfPK15HIP_vector_typeIfLj2EEPfi.has_recursion, 0
	.set _ZL26flash_attn_combine_resultsILi80EEvPKfPK15HIP_vector_typeIfLj2EEPfi.has_indirect_call, 0
	.section	.AMDGPU.csdata,"",@progbits
; Kernel info:
; codeLenInByte = 3032
; TotalNumSgprs: 36
; NumVgprs: 57
; NumAgprs: 0
; TotalNumVgprs: 57
; ScratchSize: 0
; MemoryBound: 0
; FloatMode: 240
; IeeeMode: 1
; LDSByteSize: 0 bytes/workgroup (compile time only)
; SGPRBlocks: 4
; VGPRBlocks: 7
; NumSGPRsForWavesPerEU: 36
; NumVGPRsForWavesPerEU: 57
; AccumOffset: 60
; Occupancy: 8
; WaveLimiterHint : 0
; COMPUTE_PGM_RSRC2:SCRATCH_EN: 0
; COMPUTE_PGM_RSRC2:USER_SGPR: 2
; COMPUTE_PGM_RSRC2:TRAP_HANDLER: 0
; COMPUTE_PGM_RSRC2:TGID_X_EN: 1
; COMPUTE_PGM_RSRC2:TGID_Y_EN: 1
; COMPUTE_PGM_RSRC2:TGID_Z_EN: 1
; COMPUTE_PGM_RSRC2:TIDIG_COMP_CNT: 0
; COMPUTE_PGM_RSRC3_GFX90A:ACCUM_OFFSET: 14
; COMPUTE_PGM_RSRC3_GFX90A:TG_SPLIT: 0
	.section	.text._ZL18flash_attn_ext_f16ILi96ELi96ELi8ELi4ELb0ELb0EEvPKcS1_S1_S1_S1_PKiPfP15HIP_vector_typeIfLj2EEffffjfiS5_IjLj3EEiiiiiiiiiiiliiliiiiil,"axG",@progbits,_ZL18flash_attn_ext_f16ILi96ELi96ELi8ELi4ELb0ELb0EEvPKcS1_S1_S1_S1_PKiPfP15HIP_vector_typeIfLj2EEffffjfiS5_IjLj3EEiiiiiiiiiiiliiliiiiil,comdat
	.globl	_ZL18flash_attn_ext_f16ILi96ELi96ELi8ELi4ELb0ELb0EEvPKcS1_S1_S1_S1_PKiPfP15HIP_vector_typeIfLj2EEffffjfiS5_IjLj3EEiiiiiiiiiiiliiliiiiil ; -- Begin function _ZL18flash_attn_ext_f16ILi96ELi96ELi8ELi4ELb0ELb0EEvPKcS1_S1_S1_S1_PKiPfP15HIP_vector_typeIfLj2EEffffjfiS5_IjLj3EEiiiiiiiiiiiliiliiiiil
	.p2align	8
	.type	_ZL18flash_attn_ext_f16ILi96ELi96ELi8ELi4ELb0ELb0EEvPKcS1_S1_S1_S1_PKiPfP15HIP_vector_typeIfLj2EEffffjfiS5_IjLj3EEiiiiiiiiiiiliiliiiiil,@function
_ZL18flash_attn_ext_f16ILi96ELi96ELi8ELi4ELb0ELb0EEvPKcS1_S1_S1_S1_PKiPfP15HIP_vector_typeIfLj2EEffffjfiS5_IjLj3EEiiiiiiiiiiiliiliiiiil: ; @_ZL18flash_attn_ext_f16ILi96ELi96ELi8ELi4ELb0ELb0EEvPKcS1_S1_S1_S1_PKiPfP15HIP_vector_typeIfLj2EEffffjfiS5_IjLj3EEiiiiiiiiiiiliiliiiiil
; %bb.0:
	s_load_dwordx2 s[4:5], s[0:1], 0x80
	s_load_dwordx4 s[36:39], s[0:1], 0x64
	s_mov_b32 s51, s2
                                        ; implicit-def: $vgpr178 : SGPR spill to VGPR lane
	s_load_dword s56, s[0:1], 0xd0
	s_mov_b32 s6, 0
	s_waitcnt lgkmcnt(0)
	s_abs_i32 s2, s5
	v_cvt_f32_u32_e32 v1, s2
	s_sub_i32 s8, 0, s2
	s_abs_i32 s7, s37
	s_xor_b32 s3, s37, s5
	v_rcp_iflag_f32_e32 v1, v1
	s_ashr_i32 s3, s3, 31
	v_mul_f32_e32 v1, 0x4f7ffffe, v1
	v_cvt_u32_f32_e32 v1, v1
	s_nop 0
	v_readfirstlane_b32 s9, v1
	s_mul_i32 s8, s8, s9
	s_mul_hi_u32 s8, s9, s8
	s_add_i32 s9, s9, s8
	s_mul_hi_u32 s8, s7, s9
	s_mul_i32 s9, s8, s2
	s_sub_i32 s7, s7, s9
	s_add_i32 s10, s8, 1
	s_sub_i32 s9, s7, s2
	s_cmp_ge_u32 s7, s2
	s_cselect_b32 s8, s10, s8
	s_cselect_b32 s7, s9, s7
	s_add_i32 s9, s8, 1
	s_cmp_ge_u32 s7, s2
	s_cselect_b32 s2, s9, s8
	s_add_i32 s4, s4, 63
	s_xor_b32 s2, s2, s3
	s_ashr_i32 s7, s4, 31
	s_sub_i32 s3, s2, s3
	s_lshr_b32 s2, s7, 26
	s_add_i32 s4, s4, s2
	s_add_i32 s2, s36, 7
	s_lshr_b32 s7, s2, 3
	s_add_i32 s2, s3, 3
	s_ashr_i32 s96, s4, 6
	s_ashr_i32 s4, s2, 31
	s_lshr_b32 s4, s4, 30
	s_add_i32 s2, s2, s4
	s_ashr_i32 s2, s2, 2
	v_writelane_b32 v178, s7, 0
	s_mul_i32 s4, s7, s96
	v_writelane_b32 v178, s4, 1
	s_mul_i32 s2, s4, s2
	;; [unrolled: 2-line block ×4, first 2 shown]
	s_ashr_i32 s10, s2, 31
	s_mul_i32 s4, s10, s51
	s_mul_hi_u32 s5, s2, s51
	s_add_i32 s7, s5, s4
	s_cmp_lg_u64 s[6:7], 0
	s_mul_i32 s6, s2, s51
	s_cbranch_scc0 .LBB14_240
; %bb.1:
	s_add_u32 s4, s56, 0
	s_addc_u32 s5, 0, 0
	s_xor_b64 s[8:9], s[4:5], 0
	v_cvt_f32_u32_e32 v1, s8
	v_cvt_f32_u32_e32 v2, s9
	s_sub_u32 s11, 0, s8
	s_subb_u32 s14, 0, s9
	v_fmamk_f32 v1, v2, 0x4f800000, v1
	v_rcp_f32_e32 v1, v1
	s_nop 0
	v_mul_f32_e32 v1, 0x5f7ffffc, v1
	v_mul_f32_e32 v2, 0x2f800000, v1
	v_trunc_f32_e32 v2, v2
	v_fmamk_f32 v1, v2, 0xcf800000, v1
	v_cvt_u32_f32_e32 v2, v2
	v_cvt_u32_f32_e32 v1, v1
	v_readfirstlane_b32 s15, v2
	v_readfirstlane_b32 s12, v1
	s_mul_i32 s13, s11, s15
	s_mul_hi_u32 s17, s11, s12
	s_mul_i32 s16, s14, s12
	s_add_i32 s13, s17, s13
	s_add_i32 s13, s13, s16
	s_mul_i32 s18, s11, s12
	s_mul_i32 s17, s12, s13
	s_mul_hi_u32 s19, s12, s18
	s_mul_hi_u32 s16, s12, s13
	s_add_u32 s17, s19, s17
	s_addc_u32 s16, 0, s16
	s_mul_hi_u32 s20, s15, s18
	s_mul_i32 s18, s15, s18
	s_add_u32 s17, s17, s18
	s_mul_hi_u32 s19, s15, s13
	s_addc_u32 s16, s16, s20
	s_addc_u32 s17, s19, 0
	s_mul_i32 s13, s15, s13
	s_add_u32 s13, s16, s13
	s_addc_u32 s16, 0, s17
	s_add_u32 s17, s12, s13
	s_cselect_b64 s[12:13], -1, 0
	s_cmp_lg_u64 s[12:13], 0
	s_addc_u32 s15, s15, s16
	s_mul_i32 s12, s11, s15
	s_mul_hi_u32 s13, s11, s17
	s_add_i32 s12, s13, s12
	s_mul_i32 s14, s14, s17
	s_add_i32 s12, s12, s14
	s_mul_i32 s11, s11, s17
	s_mul_hi_u32 s14, s15, s11
	s_mul_i32 s16, s15, s11
	s_mul_i32 s19, s17, s12
	s_mul_hi_u32 s11, s17, s11
	s_mul_hi_u32 s18, s17, s12
	s_add_u32 s11, s11, s19
	s_addc_u32 s18, 0, s18
	s_add_u32 s11, s11, s16
	s_mul_hi_u32 s13, s15, s12
	s_addc_u32 s11, s18, s14
	s_addc_u32 s13, s13, 0
	s_mul_i32 s12, s15, s12
	s_add_u32 s11, s11, s12
	s_addc_u32 s14, 0, s13
	s_add_u32 s11, s17, s11
	s_cselect_b64 s[12:13], -1, 0
	s_cmp_lg_u64 s[12:13], 0
	s_addc_u32 s16, s15, s14
	s_ashr_i32 s12, s7, 31
	s_add_u32 s14, s6, s12
	s_mov_b32 s13, s12
	s_addc_u32 s15, s7, s12
	s_xor_b64 s[14:15], s[14:15], s[12:13]
	s_mul_i32 s17, s14, s16
	s_mul_hi_u32 s18, s14, s11
	s_mul_hi_u32 s7, s14, s16
	s_add_u32 s17, s18, s17
	s_addc_u32 s7, 0, s7
	s_mul_hi_u32 s19, s15, s11
	s_mul_i32 s11, s15, s11
	s_add_u32 s11, s17, s11
	s_mul_hi_u32 s18, s15, s16
	s_addc_u32 s7, s7, s19
	s_addc_u32 s11, s18, 0
	s_mul_i32 s16, s15, s16
	s_add_u32 s7, s7, s16
	s_addc_u32 s11, 0, s11
	s_mul_i32 s16, s8, s11
	s_mul_hi_u32 s17, s8, s7
	s_add_i32 s16, s17, s16
	s_mul_i32 s17, s9, s7
	s_add_i32 s20, s16, s17
	s_sub_i32 s18, s15, s20
	s_mul_i32 s16, s8, s7
	s_sub_u32 s14, s14, s16
	s_cselect_b64 s[16:17], -1, 0
	s_cmp_lg_u64 s[16:17], 0
	s_subb_u32 s21, s18, s9
	s_sub_u32 s22, s14, s8
	s_cselect_b64 s[18:19], -1, 0
	s_cmp_lg_u64 s[18:19], 0
	s_subb_u32 s18, s21, 0
	s_cmp_ge_u32 s18, s9
	s_cselect_b32 s19, -1, 0
	s_cmp_ge_u32 s22, s8
	s_cselect_b32 s21, -1, 0
	s_cmp_eq_u32 s18, s9
	s_cselect_b32 s18, s21, s19
	s_add_u32 s19, s7, 1
	s_addc_u32 s21, s11, 0
	s_add_u32 s22, s7, 2
	s_addc_u32 s23, s11, 0
	s_cmp_lg_u32 s18, 0
	s_cselect_b32 s18, s22, s19
	s_cselect_b32 s19, s23, s21
	s_cmp_lg_u64 s[16:17], 0
	s_subb_u32 s15, s15, s20
	s_cmp_ge_u32 s15, s9
	s_cselect_b32 s16, -1, 0
	s_cmp_ge_u32 s14, s8
	s_cselect_b32 s8, -1, 0
	s_cmp_eq_u32 s15, s9
	s_cselect_b32 s8, s8, s16
	s_cmp_lg_u32 s8, 0
	s_cselect_b32 s9, s19, s11
	s_cselect_b32 s8, s18, s7
	s_xor_b64 s[12:13], s[12:13], 0
	s_xor_b64 s[8:9], s[8:9], s[12:13]
	s_sub_u32 s54, s8, s12
	s_load_dwordx2 s[52:53], s[0:1], 0x74
	v_cvt_f32_u32_e32 v1, s56
	s_cbranch_execnz .LBB14_3
.LBB14_2:
	v_rcp_iflag_f32_e32 v2, v1
	s_sub_i32 s4, 0, s56
	v_mul_f32_e32 v2, 0x4f7ffffe, v2
	v_cvt_u32_f32_e32 v2, v2
	s_nop 0
	v_readfirstlane_b32 s5, v2
	s_mul_i32 s4, s4, s5
	s_mul_hi_u32 s4, s5, s4
	s_add_i32 s5, s5, s4
	s_mul_hi_u32 s4, s6, s5
	s_mul_i32 s7, s4, s56
	s_sub_i32 s6, s6, s7
	s_add_i32 s5, s4, 1
	s_sub_i32 s7, s6, s56
	s_cmp_ge_u32 s6, s56
	s_cselect_b32 s4, s5, s4
	s_cselect_b32 s6, s7, s6
	s_add_i32 s5, s4, 1
	s_cmp_ge_u32 s6, s56
	s_cselect_b32 s54, s5, s4
.LBB14_3:
	s_add_i32 s4, s51, 1
	s_mul_i32 s5, s10, s4
	s_mul_hi_u32 s6, s2, s4
	s_add_i32 s9, s6, s5
	s_mov_b32 s8, 0
	s_cmp_lg_u64 s[8:9], 0
	s_mul_i32 s2, s2, s4
	s_cbranch_scc0 .LBB14_241
; %bb.4:
	s_add_u32 s4, s56, 0
	s_addc_u32 s5, 0, 0
	s_xor_b64 s[6:7], s[4:5], 0
	v_cvt_f32_u32_e32 v2, s6
	v_cvt_f32_u32_e32 v3, s7
	s_sub_u32 s8, 0, s6
	s_subb_u32 s12, 0, s7
	v_fmamk_f32 v2, v3, 0x4f800000, v2
	v_rcp_f32_e32 v2, v2
	s_nop 0
	v_mul_f32_e32 v2, 0x5f7ffffc, v2
	v_mul_f32_e32 v3, 0x2f800000, v2
	v_trunc_f32_e32 v3, v3
	v_fmamk_f32 v2, v3, 0xcf800000, v2
	v_cvt_u32_f32_e32 v3, v3
	v_cvt_u32_f32_e32 v2, v2
	v_readfirstlane_b32 s13, v3
	v_readfirstlane_b32 s10, v2
	s_mul_i32 s11, s8, s13
	s_mul_hi_u32 s15, s8, s10
	s_mul_i32 s14, s12, s10
	s_add_i32 s11, s15, s11
	s_add_i32 s11, s11, s14
	s_mul_i32 s16, s8, s10
	s_mul_i32 s15, s10, s11
	s_mul_hi_u32 s17, s10, s16
	s_mul_hi_u32 s14, s10, s11
	s_add_u32 s15, s17, s15
	s_addc_u32 s14, 0, s14
	s_mul_hi_u32 s18, s13, s16
	s_mul_i32 s16, s13, s16
	s_add_u32 s15, s15, s16
	s_mul_hi_u32 s17, s13, s11
	s_addc_u32 s14, s14, s18
	s_addc_u32 s15, s17, 0
	s_mul_i32 s11, s13, s11
	s_add_u32 s11, s14, s11
	s_addc_u32 s14, 0, s15
	s_add_u32 s15, s10, s11
	s_cselect_b64 s[10:11], -1, 0
	s_cmp_lg_u64 s[10:11], 0
	s_addc_u32 s13, s13, s14
	s_mul_i32 s10, s8, s13
	s_mul_hi_u32 s11, s8, s15
	s_add_i32 s10, s11, s10
	s_mul_i32 s12, s12, s15
	s_add_i32 s10, s10, s12
	s_mul_i32 s8, s8, s15
	s_mul_hi_u32 s12, s13, s8
	s_mul_i32 s14, s13, s8
	s_mul_i32 s17, s15, s10
	s_mul_hi_u32 s8, s15, s8
	s_mul_hi_u32 s16, s15, s10
	s_add_u32 s8, s8, s17
	s_addc_u32 s16, 0, s16
	s_add_u32 s8, s8, s14
	s_mul_hi_u32 s11, s13, s10
	s_addc_u32 s8, s16, s12
	s_addc_u32 s11, s11, 0
	s_mul_i32 s10, s13, s10
	s_add_u32 s8, s8, s10
	s_addc_u32 s12, 0, s11
	s_add_u32 s14, s15, s8
	s_cselect_b64 s[10:11], -1, 0
	s_cmp_lg_u64 s[10:11], 0
	s_addc_u32 s12, s13, s12
	s_ashr_i32 s10, s9, 31
	s_add_u32 s8, s2, s10
	s_mov_b32 s11, s10
	s_addc_u32 s9, s9, s10
	s_xor_b64 s[8:9], s[8:9], s[10:11]
	s_mul_i32 s15, s8, s12
	s_mul_hi_u32 s16, s8, s14
	s_mul_hi_u32 s13, s8, s12
	s_add_u32 s15, s16, s15
	s_addc_u32 s13, 0, s13
	s_mul_hi_u32 s17, s9, s14
	s_mul_i32 s14, s9, s14
	s_add_u32 s14, s15, s14
	s_mul_hi_u32 s16, s9, s12
	s_addc_u32 s13, s13, s17
	s_addc_u32 s14, s16, 0
	s_mul_i32 s12, s9, s12
	s_add_u32 s16, s13, s12
	s_addc_u32 s17, 0, s14
	s_mul_i32 s12, s6, s17
	s_mul_hi_u32 s13, s6, s16
	s_add_i32 s12, s13, s12
	s_mul_i32 s13, s7, s16
	s_add_i32 s18, s12, s13
	s_sub_i32 s14, s9, s18
	s_mul_i32 s12, s6, s16
	s_sub_u32 s8, s8, s12
	s_cselect_b64 s[12:13], -1, 0
	s_cmp_lg_u64 s[12:13], 0
	s_subb_u32 s19, s14, s7
	s_sub_u32 s20, s8, s6
	s_cselect_b64 s[14:15], -1, 0
	s_cmp_lg_u64 s[14:15], 0
	s_subb_u32 s14, s19, 0
	s_cmp_ge_u32 s14, s7
	s_cselect_b32 s15, -1, 0
	s_cmp_ge_u32 s20, s6
	s_cselect_b32 s19, -1, 0
	s_cmp_eq_u32 s14, s7
	s_cselect_b32 s14, s19, s15
	s_add_u32 s15, s16, 1
	s_addc_u32 s19, s17, 0
	s_add_u32 s20, s16, 2
	s_addc_u32 s21, s17, 0
	s_cmp_lg_u32 s14, 0
	s_cselect_b32 s14, s20, s15
	s_cselect_b32 s15, s21, s19
	s_cmp_lg_u64 s[12:13], 0
	s_subb_u32 s9, s9, s18
	s_cmp_ge_u32 s9, s7
	s_cselect_b32 s12, -1, 0
	s_cmp_ge_u32 s8, s6
	s_cselect_b32 s6, -1, 0
	s_cmp_eq_u32 s9, s7
	s_cselect_b32 s6, s6, s12
	s_cmp_lg_u32 s6, 0
	s_cselect_b32 s7, s15, s17
	s_cselect_b32 s6, s14, s16
	s_xor_b64 s[8:9], s[10:11], 0
	s_xor_b64 s[6:7], s[6:7], s[8:9]
	s_sub_u32 s58, s6, s8
	s_load_dwordx2 s[44:45], s[0:1], 0x5c
	s_cbranch_execnz .LBB14_6
.LBB14_5:
	v_rcp_iflag_f32_e32 v1, v1
	s_sub_i32 s4, 0, s56
	v_mul_f32_e32 v1, 0x4f7ffffe, v1
	v_cvt_u32_f32_e32 v1, v1
	s_nop 0
	v_readfirstlane_b32 s5, v1
	s_mul_i32 s4, s4, s5
	s_mul_hi_u32 s4, s5, s4
	s_add_i32 s5, s5, s4
	s_mul_hi_u32 s4, s2, s5
	s_mul_i32 s6, s4, s56
	s_sub_i32 s2, s2, s6
	s_add_i32 s5, s4, 1
	s_sub_i32 s6, s2, s56
	s_cmp_ge_u32 s2, s56
	s_cselect_b32 s4, s5, s4
	s_cselect_b32 s2, s6, s2
	s_add_i32 s5, s4, 1
	s_cmp_ge_u32 s2, s56
	s_cselect_b32 s58, s5, s4
.LBB14_6:
	s_abs_i32 s97, s96
	v_cvt_f32_u32_e32 v1, s97
	s_load_dwordx16 s[16:31], s[0:1], 0x0
	s_load_dword s2, s[0:1], 0x40
	s_load_dwordx2 s[4:5], s[0:1], 0x8c
	s_load_dwordx4 s[40:43], s[0:1], 0x98
	s_load_dwordx2 s[46:47], s[0:1], 0xa8
	s_load_dwordx2 s[12:13], s[0:1], 0xb8
	;; [unrolled: 1-line block ×3, first 2 shown]
	s_waitcnt lgkmcnt(0)
	s_mov_b32 s1, s5
	s_ashr_i32 s34, s4, 2
	v_rcp_iflag_f32_e32 v1, v1
	s_sub_i32 s4, 0, s97
	v_writelane_b32 v178, s0, 4
	s_ashr_i32 s55, s39, 3
	v_mul_f32_e32 v1, 0x4f7ffffe, v1
	v_cvt_u32_f32_e32 v1, v1
	v_writelane_b32 v178, s1, 5
	s_ashr_i32 s1, s96, 31
	v_writelane_b32 v178, s1, 6
	v_readfirstlane_b32 s50, v1
	s_mul_i32 s4, s4, s50
	s_mul_hi_u32 s4, s50, s4
	s_abs_i32 s1, s54
	s_add_i32 s50, s50, s4
	s_mul_hi_u32 s4, s1, s50
	s_mul_i32 s4, s4, s97
	s_sub_i32 s1, s1, s4
	s_ashr_i32 s59, s52, 3
	s_ashr_i32 s14, s13, 1
	s_ashr_i32 s38, s42, 2
	s_ashr_i32 s0, s54, 31
	s_sub_i32 s4, s1, s97
	s_cmp_ge_u32 s1, s97
	s_cselect_b32 s1, s4, s1
	s_sub_i32 s4, s1, s97
	s_cmp_ge_u32 s1, s97
	s_cselect_b32 s1, s4, s1
	s_xor_b32 s1, s1, s0
	s_sub_i32 s84, s1, s0
	s_sub_i32 s0, s58, s54
	s_add_i32 s4, s0, s84
	s_min_i32 s7, s96, s4
	s_cmp_gt_i32 s58, s54
	s_cselect_b64 s[8:9], -1, 0
	s_cmp_le_i32 s58, s54
	s_cselect_b64 s[0:1], -1, 0
	s_cmp_gt_i32 s96, s4
	v_cvt_f16_f32_e32 v1, s2
	s_cselect_b64 s[4:5], -1, 0
	s_or_b64 s[0:1], s[4:5], s[0:1]
	v_bfe_u32 v47, v0, 10, 10
	s_mov_b32 s61, 0
	s_and_b64 vcc, exec, s[0:1]
	v_bfe_u32 v65, v0, 5, 5
	v_lshlrev_b32_e32 v39, 1, v47
	v_and_b32_e32 v38, 31, v0
	v_lshlrev_b32_e32 v75, 3, v47
	s_cbranch_vccz .LBB14_9
; %bb.7:
	s_andn2_b64 vcc, exec, s[8:9]
	s_cbranch_vccz .LBB14_211
.LBB14_8:
	s_endpgm
.LBB14_9:
	s_cmp_eq_u64 s[24:25], 0
	v_and_b32_e32 v40, 15, v0
	v_and_b32_e32 v3, 0x7f0, v75
	s_movk_i32 s10, 0xd0
	v_lshrrev_b32_e32 v8, 1, v0
	v_writelane_b32 v178, s56, 7
	s_cselect_b64 s[0:1], -1, 0
	v_and_b32_e32 v4, 0x3ff, v0
	v_mad_u32_u24 v5, v3, s10, 0
	v_mul_u32_u24_e32 v6, 0xd0, v40
	v_and_b32_e32 v8, 0x78, v8
	v_writelane_b32 v178, s0, 8
	s_cmp_lg_u64 s[26:27], 0
	v_add3_u32 v43, v5, v6, v8
	v_lshlrev_b32_e32 v6, 1, v4
	v_writelane_b32 v178, s1, 9
	s_cselect_b64 s[0:1], -1, 0
	v_add_u32_e32 v41, v39, v65
	v_and_b32_e32 v42, 62, v6
	v_lshlrev_b32_e32 v6, 4, v47
	v_bfe_u32 v9, v0, 2, 8
	v_lshlrev_b32_e32 v11, 2, v4
	v_writelane_b32 v178, s0, 10
	v_bfe_u32 v7, v0, 3, 7
	v_mul_u32_u24_e32 v5, 0x90, v41
	v_add_u32_e32 v10, v6, v9
	v_and_b32_e32 v44, 12, v11
	v_and_b32_e32 v46, 28, v11
	v_and_b32_e32 v11, 16, v6
	v_and_b32_e32 v9, 60, v9
	v_and_or_b32 v3, v0, 12, v3
	v_lshlrev_b32_e32 v18, 1, v42
	v_writelane_b32 v178, s1, 11
	s_movk_i32 s0, 0x90
	v_add_u32_e32 v12, v75, v7
	v_add_u32_e32 v14, v9, v11
	v_lshrrev_b32_e32 v3, 2, v3
	v_add_u16_e32 v9, v9, v11
	v_lshlrev_b32_e32 v7, 1, v7
	v_add3_u32 v45, 0, v5, v18
	v_mad_u32_u24 v5, v10, s10, 0
	v_lshlrev_b32_e32 v18, 2, v44
	s_movk_i32 s1, 0x80
	v_mul_u32_u24_e32 v13, 0xd0, v12
	v_lshrrev_b16_e32 v9, 1, v9
	v_and_b32_e32 v15, 8, v75
	v_and_b32_e32 v16, 60, v7
	v_or_b32_e32 v17, 2, v7
	v_or_b32_e32 v7, 3, v7
	v_add3_u32 v77, v5, v18, s1
	v_lshlrev_b32_e32 v5, 2, v46
	v_mad_u32_u24 v3, v3, s0, 0
	s_movk_i32 s0, 0x1a0
	v_mul_u32_u24_e32 v16, 0xd0, v16
	v_mul_u32_u24_e32 v17, 0xd0, v17
	;; [unrolled: 1-line block ×3, first 2 shown]
	v_add3_u32 v79, 0, v13, v5
	v_lshl_add_u32 v94, v9, 2, v3
	v_mad_u32_u24 v5, v15, s0, 0
	v_lshlrev_b32_e32 v9, 1, v40
	v_add3_u32 v95, v5, v16, v9
	v_add3_u32 v96, v5, v17, v9
	;; [unrolled: 1-line block ×3, first 2 shown]
	v_bfe_u32 v5, v0, 10, 1
	v_cmp_eq_u32_e64 s[0:1], 0, v5
	v_and_b32_e32 v5, 0x400, v0
	v_cmp_ne_u32_e64 s[4:5], 0, v5
	v_add_u32_e32 v5, v65, v47
	v_lshl_add_u32 v3, v14, 1, v3
	v_lshlrev_b32_e32 v9, 1, v5
	v_and_b32_e32 v13, 15, v5
	s_movk_i32 s2, 0x3e0
	v_add_u32_e32 v14, 4, v5
	v_and_or_b32 v9, v9, s2, v13
	v_lshlrev_b32_e32 v15, 1, v14
	v_and_b32_e32 v16, 15, v14
	s_movk_i32 s2, 0x7e0
	v_writelane_b32 v178, s4, 12
	v_and_or_b32 v15, v15, s2, v16
	v_add_u32_e32 v16, 8, v5
	v_writelane_b32 v178, s5, 13
	s_lshl_b32 s60, s51, 5
	v_lshlrev_b32_e32 v17, 1, v16
	v_and_b32_e32 v18, 15, v16
	s_ashr_i32 s15, s14, 31
	s_ashr_i32 s35, s34, 31
	;; [unrolled: 1-line block ×3, first 2 shown]
	v_writelane_b32 v178, s51, 14
	s_lshl_b64 s[4:5], s[60:61], 3
	v_and_or_b32 v17, v17, s2, v18
	v_add_u32_e32 v18, 12, v5
	s_add_u32 s8, s30, s4
	v_lshlrev_b32_e32 v19, 1, v18
	v_and_b32_e32 v20, 15, v18
	v_readlane_b32 s33, v178, 3
	s_addc_u32 s9, s31, s5
	v_and_or_b32 v19, v19, s2, v20
	v_add_u32_e32 v20, 16, v5
	s_abs_i32 s57, s33
	v_lshlrev_b32_e32 v21, 1, v20
	v_cvt_f32_u32_e32 v32, s57
	v_and_or_b32 v13, v21, s2, v13
	v_add_u32_e32 v21, 20, v5
	v_lshlrev_b32_e32 v22, 1, v21
	v_and_b32_e32 v23, 15, v21
	v_and_or_b32 v22, v22, s2, v23
	v_add_u32_e32 v23, 24, v5
	v_readlane_b32 s51, v178, 2
	v_lshlrev_b32_e32 v24, 1, v23
	v_and_b32_e32 v25, 15, v23
	v_rcp_iflag_f32_e32 v32, v32
	s_abs_i32 s98, s51
	v_bfe_u32 v2, v0, 4, 6
	v_and_or_b32 v24, v24, s2, v25
	v_add_u32_e32 v25, 28, v5
	v_cvt_f32_u32_e32 v34, s98
	v_add_u32_e32 v7, v39, v2
	v_lshlrev_b32_e32 v26, 1, v25
	v_and_b32_e32 v27, 15, v25
	v_and_or_b32 v26, v26, s2, v27
	v_lshlrev_b32_e32 v27, 1, v7
	v_and_b32_e32 v28, 15, v7
	v_add_u32_e32 v29, 8, v7
	v_and_or_b32 v27, v27, s2, v28
	v_lshlrev_b32_e32 v30, 1, v29
	v_and_b32_e32 v31, 15, v29
	s_movk_i32 s2, 0xfe0
	v_mul_f32_e32 v32, 0x4f7ffffe, v32
	v_and_or_b32 v30, v30, s2, v31
	v_add_u32_e32 v31, 16, v7
	v_cvt_u32_f32_e32 v32, v32
	v_rcp_iflag_f32_e32 v34, v34
	v_lshlrev_b32_e32 v33, 1, v31
	v_and_or_b32 v28, v33, s2, v28
	v_add_u32_e32 v33, 24, v7
	v_readlane_b32 s42, v178, 1
	s_mov_b32 s4, s12
	v_lshlrev_b32_e32 v35, 1, v33
	v_and_b32_e32 v36, 15, v33
	s_abs_i32 s99, s42
	v_writelane_b32 v178, s4, 15
	v_and_or_b32 v35, v35, s2, v36
	v_readfirstlane_b32 s2, v32
	v_mul_f32_e32 v32, 0x4f7ffffe, v34
	v_cvt_f32_u32_e32 v34, s99
	v_writelane_b32 v178, s5, 16
	v_cmp_gt_u32_e64 s[62:63], 32, v4
	s_ashr_i32 s33, s33, 31
	s_abs_i32 s56, s12
	v_writelane_b32 v178, s62, 17
	v_cvt_u32_f32_e32 v32, v32
	v_cvt_f32_u32_e32 v36, s56
	v_writelane_b32 v178, s63, 18
	v_writelane_b32 v178, s33, 19
	s_sub_i32 s33, 0, s57
	v_rcp_iflag_f32_e32 v34, v34
	s_mul_i32 s33, s33, s2
	s_mul_hi_u32 s33, s2, s33
	s_add_i32 s2, s2, s33
	v_writelane_b32 v178, s2, 20
	s_ashr_i32 s2, s51, 31
	v_readfirstlane_b32 s11, v32
	v_rcp_iflag_f32_e32 v32, v36
	v_mul_f32_e32 v34, 0x4f7ffffe, v34
	v_writelane_b32 v178, s2, 21
	s_sub_i32 s2, 0, s98
	v_cvt_u32_f32_e32 v34, v34
	s_mul_i32 s2, s2, s11
	s_mul_hi_u32 s2, s11, s2
	v_lshl_add_u32 v2, v47, 2, v2
	v_lshl_add_u32 v105, v40, 2, 0
	s_add_i32 s2, s11, s2
	v_mul_f32_e32 v32, 0x4f7ffffe, v32
	v_lshrrev_b32_e32 v106, 2, v2
	v_mul_u32_u24_e32 v107, 0xd0, v2
	v_mad_u32_u24 v108, v2, s10, v105
	v_add_u32_e32 v2, 16, v2
	v_writelane_b32 v178, s2, 22
	s_ashr_i32 s2, s42, 31
	v_cvt_u32_f32_e32 v32, v32
	v_readfirstlane_b32 s12, v34
	v_add_u32_e32 v100, 64, v3
	v_add_u32_e32 v101, 0x44, v3
	v_add_u32_e32 v3, 8, v41
	v_lshrrev_b32_e32 v109, 2, v2
	v_or_b32_e32 v2, v6, v4
	v_writelane_b32 v178, s2, 23
	s_sub_i32 s2, 0, s99
	v_or_b32_e32 v36, v75, v4
	v_lshrrev_b32_e32 v102, 2, v3
	v_add_u32_e32 v3, 16, v41
	v_mul_u32_u24_e32 v110, 0xd0, v2
	v_or_b32_e32 v2, v6, v38
	s_mul_i32 s2, s2, s12
	v_lshlrev_b32_e32 v48, 3, v36
	v_mov_b32_e32 v49, 0
	v_mul_lo_u32 v56, s38, v10
	v_lshrrev_b32_e32 v103, 2, v3
	v_add_u32_e32 v3, 24, v41
	v_mul_u32_u24_e32 v111, 0xd0, v2
	v_or_b32_e32 v2, v6, v40
	s_mul_hi_u32 s2, s12, s2
	v_and_b32_e32 v64, 3, v0
	v_ashrrev_i32_e32 v57, 31, v56
	v_lshrrev_b32_e32 v104, 2, v3
	v_mul_u32_u24_e32 v112, 0xd0, v2
	s_add_i32 s2, s12, s2
	v_lshlrev_b32_e32 v2, 2, v38
	v_mov_b32_e32 v3, v49
	v_lshl_add_u64 v[66:67], s[8:9], 0, v[48:49]
	v_lshlrev_b32_e32 v48, 4, v64
	v_readfirstlane_b32 s13, v32
	v_writelane_b32 v178, s2, 24
	s_sub_i32 s2, 0, s56
	v_add_u32_e32 v136, 0, v2
	v_lshl_add_u64 v[62:63], s[22:23], 0, v[2:3]
	v_lshl_add_u64 v[2:3], v[56:57], 2, v[48:49]
	v_mul_lo_u32 v50, s34, v10
	s_mul_i32 s2, s2, s13
	v_lshl_add_u64 v[2:3], s[20:21], 0, v[2:3]
	s_mov_b64 s[68:69], 0x80
	v_ashrrev_i32_e32 v51, 31, v50
	s_mul_hi_u32 s2, s13, s2
	v_lshl_add_u64 v[68:69], v[2:3], 0, s[68:69]
	v_and_b32_e32 v2, 7, v0
	v_mul_lo_u32 v52, s34, v12
	v_mul_lo_u32 v58, s38, v12
	s_add_i32 s2, s13, s2
	v_lshlrev_b32_e32 v70, 4, v2
	v_lshl_add_u64 v[2:3], v[50:51], 2, v[48:49]
	v_lshl_add_u32 v54, s34, 5, v52
	v_lshl_add_u32 v60, s38, 5, v58
	v_writelane_b32 v178, s2, 25
	s_lshl_b64 s[12:13], s[14:15], 1
	v_lshl_add_u64 v[2:3], s[18:19], 0, v[2:3]
	v_bfe_u32 v74, v4, 4, 2
	s_mov_b32 s6, 0x10001
	v_ashrrev_i32_e32 v53, 31, v52
	v_ashrrev_i32_e32 v55, 31, v54
	;; [unrolled: 1-line block ×4, first 2 shown]
	v_add_u32_e32 v99, 0, v8
	v_writelane_b32 v178, s12, 26
	v_lshl_add_u64 v[72:73], v[2:3], 0, s[68:69]
	v_mul_lo_u32 v2, s59, v74
	v_and_b32_e32 v142, 3, v41
	v_mbcnt_lo_u32_b32 v145, -1, 0
	v_mul_u32_u24_e32 v98, 0xd0, v11
	v_cmp_gt_u32_e64 s[4:5], 16, v4
	v_mul_u32_u24_e32 v113, 0xd0, v9
	v_lshrrev_b32_e32 v114, 2, v14
	v_mul_u32_u24_e32 v115, 0xd0, v15
	v_lshrrev_b32_e32 v116, 2, v16
	;; [unrolled: 2-line block ×11, first 2 shown]
	v_mul_u32_u24_e32 v135, 0xd0, v35
	v_writelane_b32 v178, s13, 27
	s_lshl_b64 s[70:71], s[38:39], 8
	v_mov_b32_e32 v71, v49
	s_lshl_b64 s[72:73], s[34:35], 8
	s_mov_b32 s15, 0x3fb8aa3b
	s_mov_b32 s2, 0xc2ce8ed0
	;; [unrolled: 1-line block ×5, first 2 shown]
	v_mul_lo_u32 v137, v1, s6
	v_add3_u32 v76, v2, v40, 32
	v_add_u32_e32 v138, 0x1a00, v79
	v_mad_u32_u24 v139, v40, s10, v99
	v_lshrrev_b32_e32 v140, 2, v5
	v_and_b32_e32 v78, 3, v5
	v_lshrrev_b32_e32 v141, 2, v41
	v_mul_u32_u24_e32 v143, 0xd0, v41
	v_add_u32_e32 v144, 0xd00, v108
	v_mbcnt_hi_u32_b32 v146, -1, v145
	v_mov_b32_e32 v147, 0x7f800000
	v_mad_u64_u32 v[80:81], s[8:9], v142, s59, v[38:39]
	v_lshl_add_u64 v[82:83], v[58:59], 2, s[20:21]
	v_lshl_add_u64 v[84:85], v[60:61], 2, s[20:21]
	;; [unrolled: 1-line block ×4, first 2 shown]
	v_writelane_b32 v178, s59, 28
	s_branch .LBB14_12
.LBB14_10:                              ;   in Loop: Header=BB14_12 Depth=1
	s_or_b64 exec, exec, s[76:77]
	s_barrier
.LBB14_11:                              ;   in Loop: Header=BB14_12 Depth=1
	s_add_i32 s6, s54, s96
	s_abs_i32 s8, s6
	s_mul_hi_u32 s9, s8, s50
	s_mul_i32 s9, s9, s97
	s_sub_i32 s8, s8, s9
	s_ashr_i32 s7, s6, 31
	s_sub_i32 s9, s8, s97
	s_cmp_ge_u32 s8, s97
	s_cselect_b32 s8, s9, s8
	s_sub_i32 s9, s8, s97
	s_cmp_ge_u32 s8, s97
	s_cselect_b32 s8, s9, s8
	s_xor_b32 s8, s8, s7
	s_sub_i32 s7, s7, s8
	s_add_i32 s54, s6, s7
	s_sub_i32 s6, s58, s54
	s_min_i32 s7, s96, s6
	s_cmp_gt_i32 s58, s54
	s_cselect_b64 s[8:9], -1, 0
	s_cmp_le_i32 s96, s6
	s_cselect_b64 s[10:11], -1, 0
	s_and_b64 s[10:11], s[10:11], s[8:9]
	s_mov_b32 s84, 0
	s_and_b64 vcc, exec, s[10:11]
	s_cbranch_vccz .LBB14_210
.LBB14_12:                              ; =>This Loop Header: Depth=1
                                        ;     Child Loop BB14_142 Depth 2
                                        ;     Child Loop BB14_43 Depth 2
	s_ashr_i32 s6, s54, 31
	v_readlane_b32 s8, v178, 19
	s_xor_b32 s6, s6, s8
	s_abs_i32 s8, s54
	v_readlane_b32 s9, v178, 20
	s_mul_hi_u32 s9, s8, s9
	s_mul_i32 s10, s9, s57
	s_sub_i32 s8, s8, s10
	s_add_i32 s10, s9, 1
	s_sub_i32 s11, s8, s57
	s_cmp_ge_u32 s8, s57
	s_cselect_b32 s9, s10, s9
	s_cselect_b32 s8, s11, s8
	s_add_i32 s10, s9, 1
	s_cmp_ge_u32 s8, s57
	s_cselect_b32 s8, s10, s9
	s_xor_b32 s8, s8, s6
	s_sub_i32 s8, s8, s6
	v_readlane_b32 s6, v178, 3
	s_mul_i32 s6, s8, s6
	s_sub_i32 s6, s54, s6
	s_ashr_i32 s9, s6, 31
	v_readlane_b32 s10, v178, 21
	s_xor_b32 s9, s9, s10
	s_abs_i32 s10, s6
	v_readlane_b32 s11, v178, 22
	s_mul_hi_u32 s11, s10, s11
	s_mul_i32 s12, s11, s98
	s_sub_i32 s10, s10, s12
	s_add_i32 s12, s11, 1
	s_sub_i32 s13, s10, s98
	s_cmp_ge_u32 s10, s98
	s_cselect_b32 s11, s12, s11
	s_cselect_b32 s10, s13, s10
	s_add_i32 s12, s11, 1
	s_cmp_ge_u32 s10, s98
	s_cselect_b32 s10, s12, s11
	s_xor_b32 s10, s10, s9
	s_sub_i32 s9, s10, s9
	v_readlane_b32 s10, v178, 2
	s_mul_i32 s10, s9, s10
	s_sub_i32 s10, s6, s10
	;; [unrolled: 21-line block ×3, first 2 shown]
	s_ashr_i32 s11, s10, 31
	v_readlane_b32 s12, v178, 6
	s_abs_i32 s10, s10
	s_xor_b32 s11, s11, s12
	s_mul_hi_u32 s12, s10, s50
	s_mul_i32 s13, s12, s97
	s_sub_i32 s10, s10, s13
	s_add_i32 s13, s12, 1
	s_sub_i32 s33, s10, s97
	s_cmp_ge_u32 s10, s97
	s_cselect_b32 s12, s13, s12
	s_cselect_b32 s10, s33, s10
	s_add_i32 s13, s12, 1
	s_cmp_ge_u32 s10, s97
	s_cselect_b32 s10, s13, s12
	v_readlane_b32 s12, v178, 10
	s_xor_b32 s10, s10, s11
	v_readlane_b32 s13, v178, 11
	s_andn2_b64 vcc, exec, s[12:13]
	s_sub_i32 s94, s10, s11
	s_cbranch_vccnz .LBB14_14
; %bb.13:                               ;   in Loop: Header=BB14_12 Depth=1
	v_readlane_b32 s10, v178, 0
	s_mul_i32 s10, s8, s10
	s_add_i32 s10, s94, s10
	s_ashr_i32 s11, s10, 31
	s_lshl_b64 s[10:11], s[10:11], 2
	s_add_u32 s10, s26, s10
	s_addc_u32 s11, s27, s11
	global_load_dword v2, v49, s[10:11]
	s_waitcnt vmcnt(0)
	v_readfirstlane_b32 s10, v2
	s_ashr_i32 s11, s10, 31
	s_lshr_b32 s11, s11, 26
	s_add_i32 s10, s10, s11
	s_ashr_i32 s10, s10, 6
	s_min_i32 s7, s7, s10
.LBB14_14:                              ;   in Loop: Header=BB14_12 Depth=1
	s_mul_i32 s10, s9, s3
	s_lshl_b32 s59, s6, 2
	s_mul_i32 s6, s8, s53
	s_add_i32 s10, s59, s10
	s_ashr_i32 s11, s6, 31
	s_add_u32 s6, s16, s6
	s_mul_i32 s12, s10, s52
	s_addc_u32 s11, s17, s11
	s_ashr_i32 s13, s12, 31
	s_add_u32 s82, s6, s12
	s_addc_u32 s83, s11, s13
	s_ashr_i32 s11, s8, 31
	s_mul_hi_u32 s6, s40, s8
	s_mul_i32 s12, s40, s11
	s_add_i32 s6, s6, s12
	s_mul_i32 s12, s41, s8
	v_readlane_b32 s66, v178, 4
	s_add_i32 s92, s6, s12
	s_mul_i32 s42, s40, s8
	v_readlane_b32 s67, v178, 5
	s_add_u32 s6, s18, s42
	s_mul_i32 s65, s9, s67
	s_addc_u32 s12, s19, s92
	s_ashr_i32 s51, s65, 31
	s_add_u32 s33, s6, s65
	s_addc_u32 s6, s12, s51
	s_abs_i32 s12, s8
	v_readlane_b32 s13, v178, 25
	s_mul_hi_u32 s13, s12, s13
	s_mul_i32 s13, s13, s56
	s_sub_i32 s12, s12, s13
	s_sub_i32 s13, s12, s56
	s_cmp_ge_u32 s12, s56
	s_cselect_b32 s12, s13, s12
	s_sub_i32 s13, s12, s56
	s_cmp_ge_u32 s12, s56
	s_cselect_b32 s12, s13, s12
	s_xor_b32 s12, s12, s11
	s_sub_i32 s12, s12, s11
	s_ashr_i32 s13, s12, 31
	s_mul_i32 s13, s48, s13
	s_mul_hi_u32 s60, s48, s12
	s_add_i32 s13, s60, s13
	s_mul_i32 s60, s49, s12
	s_add_i32 s81, s13, s60
	s_mul_i32 s80, s48, s12
	s_mul_i32 s12, s36, s37
	s_add_u32 s78, s22, s80
	s_mul_i32 s12, s12, s8
	s_addc_u32 s79, s23, s81
	s_add_i32 s12, s10, s12
	s_mul_i32 s60, s12, 48
	s_lshl_b64 s[12:13], s[60:61], 3
	s_add_u32 s74, s28, s12
	s_mul_hi_u32 s12, s46, s8
	s_mul_i32 s11, s46, s11
	s_addc_u32 s75, s29, s13
	s_add_i32 s11, s12, s11
	s_mul_i32 s12, s47, s8
	s_add_i32 s60, s11, s12
	s_mul_i32 s12, s46, s8
	s_add_u32 s8, s20, s12
	s_mul_i32 s13, s9, s43
	s_addc_u32 s11, s21, s60
	s_ashr_i32 s93, s13, 31
	s_add_u32 s66, s8, s13
	s_addc_u32 s67, s11, s93
	s_ashr_i32 s11, s10, 31
	s_lshl_b64 s[8:9], s[10:11], 2
	s_add_u32 s10, s24, s8
	s_addc_u32 s11, s25, s9
	v_readlane_b32 s8, v178, 8
	v_readlane_b32 s9, v178, 9
	s_and_b64 s[8:9], s[8:9], exec
	s_cselect_b32 s77, 0, s11
	s_cselect_b32 s76, 0, s10
	s_cmp_lg_u32 s84, 0
	v_or_b32_e32 v81, s59, v142
	s_cbranch_scc0 .LBB14_44
; %bb.15:                               ;   in Loop: Header=BB14_12 Depth=1
	s_lshl_b32 s95, s94, 3
	v_add_u32_e32 v2, s95, v141
	v_cmp_le_i32_e64 s[8:9], s36, v2
	v_cmp_le_i32_e64 s[10:11], s3, v81
	v_cmp_gt_i32_e32 vcc, s3, v81
	s_or_b64 s[8:9], s[8:9], s[10:11]
	s_and_saveexec_b64 s[10:11], s[8:9]
	s_xor_b64 s[8:9], exec, s[10:11]
; %bb.16:                               ;   in Loop: Header=BB14_12 Depth=1
	v_add_u32_e32 v2, v136, v143
	ds_write_b32 v2, v49
                                        ; implicit-def: $vgpr2
; %bb.17:                               ;   in Loop: Header=BB14_12 Depth=1
	s_andn2_saveexec_b64 s[8:9], s[8:9]
	s_cbranch_execz .LBB14_19
; %bb.18:                               ;   in Loop: Header=BB14_12 Depth=1
	v_mad_u64_u32 v[2:3], s[10:11], v2, s55, v[80:81]
	v_ashrrev_i32_e32 v3, 31, v2
	v_lshl_add_u64 v[2:3], v[2:3], 3, s[82:83]
	global_load_dwordx2 v[2:3], v[2:3], off
	s_waitcnt vmcnt(0)
	v_cvt_pk_f16_f32 v2, v2, v3
	v_pk_mul_f16 v2, v2, v137
	v_add_u32_e32 v3, v136, v143
	ds_write_b32 v3, v2
.LBB14_19:                              ;   in Loop: Header=BB14_12 Depth=1
	s_or_b64 exec, exec, s[8:9]
	v_add_u32_e32 v2, s95, v102
	v_cmp_le_i32_e64 s[8:9], s36, v2
	s_xor_b64 s[10:11], vcc, -1
	s_or_b64 s[8:9], s[8:9], s[10:11]
	s_and_saveexec_b64 s[86:87], s[8:9]
	s_xor_b64 s[8:9], exec, s[86:87]
; %bb.20:                               ;   in Loop: Header=BB14_12 Depth=1
	v_add_u32_e32 v2, v136, v143
	ds_write_b32 v2, v49 offset:1664
                                        ; implicit-def: $vgpr2
; %bb.21:                               ;   in Loop: Header=BB14_12 Depth=1
	s_andn2_saveexec_b64 s[8:9], s[8:9]
	s_cbranch_execz .LBB14_23
; %bb.22:                               ;   in Loop: Header=BB14_12 Depth=1
	v_mad_u64_u32 v[2:3], s[86:87], v2, s55, v[80:81]
	v_ashrrev_i32_e32 v3, 31, v2
	v_lshl_add_u64 v[2:3], v[2:3], 3, s[82:83]
	global_load_dwordx2 v[2:3], v[2:3], off
	s_waitcnt vmcnt(0)
	v_cvt_pk_f16_f32 v2, v2, v3
	v_pk_mul_f16 v2, v2, v137
	v_add_u32_e32 v3, v136, v143
	ds_write_b32 v3, v2 offset:1664
.LBB14_23:                              ;   in Loop: Header=BB14_12 Depth=1
	s_or_b64 exec, exec, s[8:9]
	v_add_u32_e32 v2, s95, v103
	v_cmp_le_i32_e32 vcc, s36, v2
	s_or_b64 s[8:9], vcc, s[10:11]
	s_and_saveexec_b64 s[86:87], s[8:9]
	s_xor_b64 s[8:9], exec, s[86:87]
; %bb.24:                               ;   in Loop: Header=BB14_12 Depth=1
	v_add_u32_e32 v2, v136, v143
	ds_write_b32 v2, v49 offset:3328
                                        ; implicit-def: $vgpr2
; %bb.25:                               ;   in Loop: Header=BB14_12 Depth=1
	s_andn2_saveexec_b64 s[8:9], s[8:9]
	s_cbranch_execz .LBB14_27
; %bb.26:                               ;   in Loop: Header=BB14_12 Depth=1
	v_mad_u64_u32 v[2:3], s[86:87], v2, s55, v[80:81]
	v_ashrrev_i32_e32 v3, 31, v2
	v_lshl_add_u64 v[2:3], v[2:3], 3, s[82:83]
	global_load_dwordx2 v[2:3], v[2:3], off
	s_waitcnt vmcnt(0)
	v_cvt_pk_f16_f32 v2, v2, v3
	v_pk_mul_f16 v2, v2, v137
	v_add_u32_e32 v3, v136, v143
	ds_write_b32 v3, v2 offset:3328
.LBB14_27:                              ;   in Loop: Header=BB14_12 Depth=1
	s_or_b64 exec, exec, s[8:9]
	v_add_u32_e32 v2, s95, v104
	v_cmp_le_i32_e32 vcc, s36, v2
	s_or_b64 s[8:9], vcc, s[10:11]
	s_and_saveexec_b64 s[10:11], s[8:9]
	s_xor_b64 s[8:9], exec, s[10:11]
; %bb.28:                               ;   in Loop: Header=BB14_12 Depth=1
	v_add_u32_e32 v2, v136, v143
	ds_write_b32 v2, v49 offset:4992
                                        ; implicit-def: $vgpr2
; %bb.29:                               ;   in Loop: Header=BB14_12 Depth=1
	s_andn2_saveexec_b64 s[8:9], s[8:9]
	s_cbranch_execz .LBB14_31
; %bb.30:                               ;   in Loop: Header=BB14_12 Depth=1
	v_mad_u64_u32 v[2:3], s[10:11], v2, s55, v[80:81]
	v_ashrrev_i32_e32 v3, 31, v2
	v_lshl_add_u64 v[2:3], v[2:3], 3, s[82:83]
	global_load_dwordx2 v[2:3], v[2:3], off
	s_waitcnt vmcnt(0)
	v_cvt_pk_f16_f32 v2, v2, v3
	v_pk_mul_f16 v2, v2, v137
	v_add_u32_e32 v3, v136, v143
	ds_write_b32 v3, v2 offset:4992
.LBB14_31:                              ;   in Loop: Header=BB14_12 Depth=1
	s_or_b64 exec, exec, s[8:9]
	v_or_b32_e32 v2, s59, v74
	v_cmp_gt_i32_e64 s[8:9], s3, v2
	v_cmp_le_i32_e32 vcc, s3, v2
	v_add_u32_e32 v2, s95, v106
	v_cmp_le_i32_e64 s[10:11], s36, v2
	s_or_b64 s[10:11], s[10:11], vcc
	s_and_saveexec_b64 s[86:87], s[10:11]
	s_xor_b64 s[10:11], exec, s[86:87]
; %bb.32:                               ;   in Loop: Header=BB14_12 Depth=1
	ds_write_b32 v108, v49 offset:128
                                        ; implicit-def: $vgpr2
; %bb.33:                               ;   in Loop: Header=BB14_12 Depth=1
	s_andn2_saveexec_b64 s[10:11], s[10:11]
	s_cbranch_execz .LBB14_35
; %bb.34:                               ;   in Loop: Header=BB14_12 Depth=1
	v_mad_u64_u32 v[2:3], s[86:87], v2, s55, v[76:77]
	v_ashrrev_i32_e32 v3, 31, v2
	v_lshl_add_u64 v[2:3], v[2:3], 3, s[82:83]
	global_load_dwordx2 v[2:3], v[2:3], off
	s_waitcnt vmcnt(0)
	v_cvt_pk_f16_f32 v2, v2, v3
	v_pk_mul_f16 v2, v2, v137
	v_add_u32_e32 v3, v105, v107
	ds_write_b32 v3, v2 offset:128
.LBB14_35:                              ;   in Loop: Header=BB14_12 Depth=1
	s_or_b64 exec, exec, s[10:11]
	v_add_u32_e32 v2, s95, v109
	v_cmp_le_i32_e32 vcc, s36, v2
	s_xor_b64 s[10:11], s[8:9], -1
	s_or_b64 s[10:11], vcc, s[10:11]
	s_and_saveexec_b64 s[86:87], s[10:11]
	s_xor_b64 s[10:11], exec, s[86:87]
; %bb.36:                               ;   in Loop: Header=BB14_12 Depth=1
	ds_write_b32 v144, v49 offset:128
                                        ; implicit-def: $vgpr2
; %bb.37:                               ;   in Loop: Header=BB14_12 Depth=1
	s_andn2_saveexec_b64 s[10:11], s[10:11]
	s_cbranch_execz .LBB14_39
; %bb.38:                               ;   in Loop: Header=BB14_12 Depth=1
	v_mad_u64_u32 v[2:3], s[86:87], v2, s55, v[76:77]
	v_ashrrev_i32_e32 v3, 31, v2
	v_lshl_add_u64 v[2:3], v[2:3], 3, s[82:83]
	global_load_dwordx2 v[2:3], v[2:3], off
	s_waitcnt vmcnt(0)
	v_cvt_pk_f16_f32 v2, v2, v3
	v_pk_mul_f16 v2, v2, v137
	v_add_u32_e32 v3, v105, v107
	ds_write_b32 v3, v2 offset:3456
.LBB14_39:                              ;   in Loop: Header=BB14_12 Depth=1
	s_or_b64 exec, exec, s[10:11]
	s_waitcnt lgkmcnt(0)
	s_barrier
	ds_read2_b64 v[10:13], v43 offset1:4
	ds_read2_b64 v[6:9], v43 offset0:8 offset1:12
	ds_read2_b64 v[2:5], v43 offset0:16 offset1:20
	s_add_i32 s85, s7, -1
	s_cmp_lt_i32 s84, s85
	s_mov_b64 s[10:11], -1
	s_waitcnt lgkmcnt(0)
	s_barrier
                                        ; implicit-def: $vgpr150
                                        ; implicit-def: $vgpr153
                                        ; implicit-def: $vgpr151
	s_cbranch_scc1 .LBB14_41
; %bb.40:                               ;   in Loop: Header=BB14_12 Depth=1
	v_and_b32_e32 v14, 64, v146
	v_add_u32_e32 v150, 64, v14
	v_xor_b32_e32 v153, 32, v146
	v_xor_b32_e32 v151, 16, v146
	s_mov_b64 s[10:11], 0
.LBB14_41:                              ;   in Loop: Header=BB14_12 Depth=1
	v_add_u32_e32 v14, s95, v41
	v_mul_hi_u32 v15, s44, v14
	v_add_u32_e32 v15, v14, v15
	v_lshrrev_b32_e32 v15, s45, v15
	v_mul_lo_u32 v15, v15, s36
	v_sub_u32_e32 v14, v14, v15
	s_andn2_b64 vcc, exec, s[10:11]
	v_mad_i64_i32 v[90:91], s[10:11], v14, s14, 0
	s_cbranch_vccnz .LBB14_45
; %bb.42:                               ;   in Loop: Header=BB14_12 Depth=1
	v_lshl_add_u64 v[14:15], v[90:91], 1, s[78:79]
	v_lshlrev_b32_e32 v48, 1, v42
	v_mbcnt_hi_u32_b32 v152, -1, v145
	v_lshl_add_u64 v[92:93], v[14:15], 0, v[48:49]
	v_and_b32_e32 v14, 64, v152
	v_add_u32_e32 v150, 64, v14
	v_xor_b32_e32 v153, 32, v152
	v_cmp_lt_i32_e32 vcc, v153, v150
	v_xor_b32_e32 v151, 16, v152
	s_lshl_b32 s10, s84, 6
	v_cndmask_b32_e32 v14, v152, v153, vcc
	v_cmp_lt_i32_e32 vcc, v151, v150
	v_lshlrev_b32_e32 v154, 2, v14
	v_mov_b32_e32 v26, 0
	v_cndmask_b32_e32 v14, v152, v151, vcc
	v_lshlrev_b32_e32 v155, 2, v14
	v_mov_b32_e32 v148, 0xfeffffff
	v_mov_b32_e32 v149, 0
	;; [unrolled: 1-line block ×13, first 2 shown]
.LBB14_43:                              ;   Parent Loop BB14_12 Depth=1
                                        ; =>  This Inner Loop Header: Depth=2
	s_ashr_i32 s11, s10, 31
	v_lshl_add_u64 v[14:15], s[10:11], 1, v[92:93]
	global_load_dword v14, v[14:15], off
	s_mul_hi_i32 s87, s10, s34
	s_mul_i32 s86, s10, s34
	s_lshl_b64 s[86:87], s[86:87], 2
	s_add_u32 s86, s33, s86
	s_addc_u32 s87, s6, s87
	v_lshlrev_b32_e32 v48, 2, v44
	v_lshl_add_u64 v[32:33], v[52:53], 2, s[86:87]
	v_add_u32_e32 v16, v139, v98
	v_mov_b32_e32 v160, v148
	v_mov_b32_e32 v161, v149
	s_waitcnt vmcnt(0)
	ds_write_b32 v45, v14 offset:13312
	v_lshl_add_u64 v[14:15], v[50:51], 2, s[86:87]
	v_lshl_add_u64 v[30:31], v[14:15], 0, v[48:49]
	v_lshlrev_b32_e32 v14, 2, v46
	v_mov_b32_e32 v15, v49
	v_lshl_add_u64 v[34:35], v[32:33], 0, v[14:15]
	v_lshl_add_u64 v[32:33], v[54:55], 2, s[86:87]
	;; [unrolled: 1-line block ×3, first 2 shown]
	global_load_dwordx4 v[30:33], v[30:31], off offset:128
	s_mul_hi_i32 s87, s10, s38
	s_mul_i32 s86, s10, s38
	s_lshl_b64 s[86:87], s[86:87], 2
	s_add_u32 s86, s66, s86
	s_addc_u32 s87, s67, s87
	s_add_i32 s84, s84, 1
	s_add_i32 s10, s10, 64
	s_cmp_lt_i32 s84, s85
	s_waitcnt vmcnt(0)
	ds_write_b128 v77, v[30:33]
	global_load_dwordx4 v[30:33], v[34:35], off
	s_waitcnt vmcnt(0)
	ds_write_b128 v79, v[30:33]
	global_load_dwordx4 v[30:33], v[36:37], off
	s_waitcnt vmcnt(0)
	ds_write_b128 v138, v[30:33]
	s_waitcnt lgkmcnt(0)
	s_barrier
	ds_read2_b64 v[30:33], v16 offset1:4
	s_waitcnt lgkmcnt(0)
	v_mfma_f32_16x16x16_f16 v[34:37], v[30:31], v[10:11], 0
	v_mfma_f32_16x16x16_f16 v[30:33], v[32:33], v[12:13], v[34:37]
	s_nop 6
	ds_read2_b64 v[34:37], v16 offset0:8 offset1:12
	s_waitcnt lgkmcnt(0)
	v_mfma_f32_16x16x16_f16 v[30:33], v[34:35], v[6:7], v[30:33]
	v_mfma_f32_16x16x16_f16 v[30:33], v[36:37], v[8:9], v[30:33]
	ds_read2_b64 v[34:37], v16 offset0:16 offset1:20
	v_add_u32_e32 v16, 0x1800, v16
	s_waitcnt lgkmcnt(0)
	v_mfma_f32_16x16x16_f16 v[30:33], v[34:35], v[2:3], v[30:33]
	v_mfma_f32_16x16x16_f16 v[30:33], v[36:37], v[4:5], v[30:33]
	ds_read2_b64 v[34:37], v16 offset0:64 offset1:68
	s_waitcnt lgkmcnt(0)
	v_mfma_f32_16x16x16_f16 v[156:159], v[34:35], v[10:11], 0
	v_mfma_f32_16x16x16_f16 v[34:37], v[36:37], v[12:13], v[156:159]
	s_nop 6
	ds_read2_b64 v[156:159], v16 offset0:72 offset1:76
	s_waitcnt lgkmcnt(0)
	v_mfma_f32_16x16x16_f16 v[34:37], v[156:157], v[6:7], v[34:37]
	v_mfma_f32_16x16x16_f16 v[34:37], v[158:159], v[8:9], v[34:37]
	ds_read2_b64 v[156:159], v16 offset0:80 offset1:84
	v_add_u32_e32 v16, 0x3400, v94
	s_waitcnt lgkmcnt(0)
	s_barrier
	ds_read2_b32 v[148:149], v16 offset1:1
	v_mfma_f32_16x16x16_f16 v[34:37], v[156:157], v[2:3], v[34:37]
	s_waitcnt lgkmcnt(0)
	v_cvt_f32_f16_e32 v16, v148
	v_cvt_f32_f16_sdwa v29, v148 dst_sel:DWORD dst_unused:UNUSED_PAD src0_sel:WORD_1
	v_add_f32_e32 v16, v30, v16
	v_cvt_f32_f16_e32 v30, v149
	v_add_f32_e32 v29, v31, v29
	v_cvt_f32_f16_sdwa v31, v149 dst_sel:DWORD dst_unused:UNUSED_PAD src0_sel:WORD_1
	v_mfma_f32_16x16x16_f16 v[34:37], v[158:159], v[4:5], v[34:37]
	v_add_f32_e32 v30, v32, v30
	ds_read_b32 v32, v100 offset:13312
	v_add_f32_e32 v31, v33, v31
	v_add_f32_e32 v148, 0x40051340, v31
	s_waitcnt lgkmcnt(0)
	v_cvt_f32_f16_e32 v33, v32
	v_cvt_f32_f16_sdwa v32, v32 dst_sel:DWORD dst_unused:UNUSED_PAD src0_sel:WORD_1
	s_nop 0
	v_add_f32_e32 v33, v34, v33
	ds_read_b32 v34, v101 offset:13312
	v_add_f32_e32 v32, v35, v32
	s_waitcnt lgkmcnt(0)
	v_cvt_f32_f16_e32 v35, v34
	v_cvt_f32_f16_sdwa v34, v34 dst_sel:DWORD dst_unused:UNUSED_PAD src0_sel:WORD_1
	v_add_f32_e32 v35, v36, v35
	v_add_f32_e32 v34, v37, v34
	;; [unrolled: 1-line block ×4, first 2 shown]
	v_max3_f32 v36, v160, v36, v37
	v_add_f32_e32 v37, 0x40051340, v30
	v_max3_f32 v36, v36, v37, v148
	v_add_f32_e32 v37, 0x40051340, v33
	v_add_f32_e32 v148, 0x40051340, v32
	v_max3_f32 v36, v36, v37, v148
	v_add_f32_e32 v37, 0x40051340, v35
	v_add_f32_e32 v148, 0x40051340, v34
	v_max3_f32 v36, v36, v37, v148
	ds_bpermute_b32 v37, v154, v36
	s_waitcnt lgkmcnt(0)
	v_max_f32_e32 v37, v37, v37
	v_max_f32_e32 v36, v36, v37
	ds_bpermute_b32 v37, v155, v36
	s_waitcnt lgkmcnt(0)
	v_max_f32_e32 v37, v37, v37
	v_max_f32_e32 v148, v36, v37
	v_sub_f32_e32 v16, v16, v148
	v_mul_f32_e32 v36, 0x3fb8aa3b, v16
	v_fma_f32 v37, v16, s15, -v36
	v_rndne_f32_e32 v149, v36
	v_fmac_f32_e32 v37, 0x32a5705f, v16
	v_sub_f32_e32 v36, v36, v149
	v_add_f32_e32 v36, v36, v37
	v_exp_f32_e32 v36, v36
	v_cvt_i32_f32_e32 v37, v149
	v_cmp_ngt_f32_e32 vcc, s2, v16
	v_sub_f32_e32 v29, v29, v148
	v_sub_f32_e32 v30, v30, v148
	v_ldexp_f32 v36, v36, v37
	v_cndmask_b32_e32 v36, 0, v36, vcc
	v_cmp_nlt_f32_e32 vcc, s62, v16
	v_sub_f32_e32 v31, v31, v148
	v_sub_f32_e32 v33, v33, v148
	v_cndmask_b32_e32 v16, v147, v36, vcc
	v_mul_f32_e32 v36, 0x3fb8aa3b, v29
	v_fma_f32 v37, v29, s15, -v36
	v_rndne_f32_e32 v149, v36
	v_fmac_f32_e32 v37, 0x32a5705f, v29
	v_sub_f32_e32 v36, v36, v149
	v_add_f32_e32 v36, v36, v37
	v_exp_f32_e32 v36, v36
	v_cvt_i32_f32_e32 v37, v149
	v_cmp_ngt_f32_e32 vcc, s2, v29
	v_sub_f32_e32 v32, v32, v148
	v_ldexp_f32 v36, v36, v37
	v_mul_f32_e32 v37, 0x3fb8aa3b, v30
	v_fma_f32 v149, v30, s15, -v37
	v_rndne_f32_e32 v156, v37
	v_fmac_f32_e32 v149, 0x32a5705f, v30
	v_sub_f32_e32 v37, v37, v156
	v_add_f32_e32 v37, v37, v149
	v_exp_f32_e32 v37, v37
	v_cvt_i32_f32_e32 v149, v156
	v_cndmask_b32_e32 v36, 0, v36, vcc
	v_cmp_nlt_f32_e32 vcc, s62, v29
	v_ldexp_f32 v37, v37, v149
	s_nop 0
	v_cndmask_b32_e32 v29, v147, v36, vcc
	v_cmp_ngt_f32_e32 vcc, s2, v30
	v_add_f32_e32 v36, v16, v29
	v_cvt_pk_f16_f32 v164, v16, v29
	v_cndmask_b32_e32 v37, 0, v37, vcc
	v_cmp_nlt_f32_e32 vcc, s62, v30
	s_nop 1
	v_cndmask_b32_e32 v30, v147, v37, vcc
	v_add_f32_e32 v37, v30, v36
	v_mul_f32_e32 v36, 0x3fb8aa3b, v31
	v_fma_f32 v149, v31, s15, -v36
	v_rndne_f32_e32 v156, v36
	v_fmac_f32_e32 v149, 0x32a5705f, v31
	v_sub_f32_e32 v36, v36, v156
	v_add_f32_e32 v36, v36, v149
	v_exp_f32_e32 v36, v36
	v_cvt_i32_f32_e32 v149, v156
	v_cmp_ngt_f32_e32 vcc, s2, v31
	v_ldexp_f32 v36, v36, v149
	s_nop 0
	v_cndmask_b32_e32 v36, 0, v36, vcc
	v_cmp_nlt_f32_e32 vcc, s62, v31
	s_nop 1
	v_cndmask_b32_e32 v36, v147, v36, vcc
	v_add_f32_e32 v31, v36, v37
	v_mul_f32_e32 v37, 0x3fb8aa3b, v33
	v_fma_f32 v149, v33, s15, -v37
	v_rndne_f32_e32 v156, v37
	v_fmac_f32_e32 v149, 0x32a5705f, v33
	v_sub_f32_e32 v37, v37, v156
	v_add_f32_e32 v37, v37, v149
	v_exp_f32_e32 v37, v37
	v_cvt_i32_f32_e32 v149, v156
	v_cmp_ngt_f32_e32 vcc, s2, v33
	v_cvt_pk_f16_f32 v165, v30, v36
	v_ldexp_f32 v37, v37, v149
	v_cndmask_b32_e32 v37, 0, v37, vcc
	v_cmp_nlt_f32_e32 vcc, s62, v33
	s_nop 1
	v_cndmask_b32_e32 v33, v147, v37, vcc
	v_mul_f32_e32 v37, 0x3fb8aa3b, v32
	v_fma_f32 v149, v32, s15, -v37
	v_rndne_f32_e32 v156, v37
	v_fmac_f32_e32 v149, 0x32a5705f, v32
	v_sub_f32_e32 v37, v37, v156
	v_add_f32_e32 v37, v37, v149
	v_exp_f32_e32 v37, v37
	v_cvt_i32_f32_e32 v149, v156
	v_cmp_ngt_f32_e32 vcc, s2, v32
	v_add_f32_e32 v31, v33, v31
	v_ldexp_f32 v37, v37, v149
	v_cndmask_b32_e32 v37, 0, v37, vcc
	v_cmp_nlt_f32_e32 vcc, s62, v32
	v_sub_f32_e32 v32, v35, v148
	v_mul_f32_e32 v35, 0x3fb8aa3b, v32
	v_fma_f32 v149, v32, s15, -v35
	v_rndne_f32_e32 v156, v35
	v_fmac_f32_e32 v149, 0x32a5705f, v32
	v_sub_f32_e32 v35, v35, v156
	v_add_f32_e32 v35, v35, v149
	v_exp_f32_e32 v35, v35
	v_cvt_i32_f32_e32 v149, v156
	v_cndmask_b32_e32 v37, v147, v37, vcc
	v_cmp_ngt_f32_e32 vcc, s2, v32
	v_add_f32_e32 v31, v37, v31
	v_ldexp_f32 v35, v35, v149
	v_cndmask_b32_e32 v35, 0, v35, vcc
	v_cmp_nlt_f32_e32 vcc, s62, v32
	v_sub_f32_e32 v32, v34, v148
	v_mul_f32_e32 v34, 0x3fb8aa3b, v32
	v_cndmask_b32_e32 v156, v147, v35, vcc
	v_fma_f32 v35, v32, s15, -v34
	v_rndne_f32_e32 v149, v34
	v_fmac_f32_e32 v35, 0x32a5705f, v32
	v_sub_f32_e32 v34, v34, v149
	v_add_f32_e32 v34, v34, v35
	v_exp_f32_e32 v34, v34
	v_cvt_i32_f32_e32 v35, v149
	v_cmp_ngt_f32_e32 vcc, s2, v32
	v_add_f32_e32 v31, v156, v31
	v_ldexp_f32 v34, v34, v35
	v_cndmask_b32_e32 v34, 0, v34, vcc
	v_cmp_nlt_f32_e32 vcc, s62, v32
	s_nop 1
	v_cndmask_b32_e32 v157, v147, v34, vcc
	v_add_f32_e32 v149, v157, v31
	v_sub_f32_e32 v31, v160, v148
	v_mul_f32_e32 v32, 0x3fb8aa3b, v31
	v_fma_f32 v34, v31, s15, -v32
	v_rndne_f32_e32 v35, v32
	v_fmac_f32_e32 v34, 0x32a5705f, v31
	v_sub_f32_e32 v32, v32, v35
	v_add_f32_e32 v32, v32, v34
	v_exp_f32_e32 v32, v32
	v_cvt_i32_f32_e32 v34, v35
	v_cmp_ngt_f32_e32 vcc, s2, v31
	v_ldexp_f32 v32, v32, v34
	s_nop 0
	v_cndmask_b32_e32 v32, 0, v32, vcc
	v_cmp_nlt_f32_e32 vcc, s62, v31
	s_nop 1
	v_cndmask_b32_e32 v32, v147, v32, vcc
	v_cmp_le_f32_e32 vcc, s63, v31
	s_nop 1
	v_cndmask_b32_e32 v31, 0, v32, vcc
	v_fmac_f32_e32 v149, v161, v31
	v_cvt_f16_f32_e32 v31, v31
	v_mul_u32_u24_e32 v34, 0x10001, v31
	v_pk_mul_f16 v31, v19, v34
	v_pk_mul_f16 v35, v18, v34
	v_lshl_add_u64 v[18:19], v[56:57], 2, s[86:87]
	v_lshl_add_u64 v[18:19], v[18:19], 0, v[48:49]
	global_load_dwordx4 v[160:163], v[18:19], off offset:128
	v_lshl_add_u64 v[18:19], v[58:59], 2, s[86:87]
	v_lshl_add_u64 v[18:19], v[18:19], 0, v[14:15]
	v_pk_mul_f16 v25, v25, v34
	v_pk_mul_f16 v158, v28, v34
	;; [unrolled: 1-line block ×10, first 2 shown]
	v_cvt_f32_f16_sdwa v159, v22 dst_sel:DWORD dst_unused:UNUSED_PAD src0_sel:WORD_1
	s_waitcnt vmcnt(0)
	ds_write_b128 v77, v[160:163]
	global_load_dwordx4 v[160:163], v[18:19], off
	v_lshl_add_u64 v[18:19], v[60:61], 2, s[86:87]
	v_lshl_add_u64 v[14:15], v[18:19], 0, v[14:15]
	s_waitcnt vmcnt(0)
	ds_write_b128 v79, v[160:163]
	global_load_dwordx4 v[160:163], v[14:15], off
	s_waitcnt vmcnt(0)
	ds_write_b128 v138, v[160:163]
	s_waitcnt lgkmcnt(0)
	s_barrier
	ds_read_u16 v14, v95 offset:208
	v_cvt_f32_f16_e32 v162, v25
	v_cvt_f32_f16_sdwa v163, v25 dst_sel:DWORD dst_unused:UNUSED_PAD src0_sel:WORD_1
	ds_read_u16 v15, v96
	ds_read_u16 v25, v96 offset:32
	ds_read_u16 v17, v97
	ds_read_u16 v27, v97 offset:32
	v_cvt_f32_f16_e32 v160, v158
	v_cvt_f32_f16_sdwa v161, v158 dst_sel:DWORD dst_unused:UNUSED_PAD src0_sel:WORD_1
	v_cvt_f32_f16_e32 v158, v22
	s_waitcnt lgkmcnt(1)
	v_perm_b32 v15, v17, v15, s64
	ds_read_u16 v17, v95
	ds_read_u16 v48, v95 offset:32
	ds_read_u16 v18, v95 offset:6656
	;; [unrolled: 1-line block ×5, first 2 shown]
	s_waitcnt lgkmcnt(6)
	v_perm_b32 v25, v27, v25, s64
	s_waitcnt lgkmcnt(5)
	v_perm_b32 v14, v14, v17, s64
	;; [unrolled: 2-line block ×3, first 2 shown]
	v_mfma_f32_16x16x16_f16 v[14:17], v[14:15], v[164:165], v[160:163]
	s_waitcnt lgkmcnt(0)
	v_perm_b32 v19, v29, v19, s64
	ds_read_u16 v29, v95 offset:240
	v_cvt_pk_f16_f32 v161, v156, v157
	s_nop 3
	v_cvt_f16_f32_e32 v14, v14
	v_cvt_f16_f32_e32 v15, v15
	;; [unrolled: 1-line block ×4, first 2 shown]
	v_cvt_f32_f16_e32 v14, v14
	v_cvt_f32_f16_e32 v15, v15
	v_cvt_f32_f16_e32 v16, v16
	v_cvt_f32_f16_e32 v17, v17
	v_cvt_pk_f16_f32 v160, v33, v37
	v_cvt_f32_f16_e32 v20, v21
	v_cvt_f32_f16_sdwa v21, v21 dst_sel:DWORD dst_unused:UNUSED_PAD src0_sel:WORD_1
	v_mfma_f32_16x16x16_f16 v[14:17], v[18:19], v[160:161], v[14:17]
	v_cvt_f32_f16_e32 v18, v24
	v_cvt_f32_f16_sdwa v19, v24 dst_sel:DWORD dst_unused:UNUSED_PAD src0_sel:WORD_1
	s_waitcnt lgkmcnt(0)
	v_perm_b32 v24, v29, v48, s64
	v_cvt_f32_f16_e32 v156, v23
	v_cvt_f32_f16_sdwa v157, v23 dst_sel:DWORD dst_unused:UNUSED_PAD src0_sel:WORD_1
	v_mfma_f32_16x16x16_f16 v[18:21], v[24:25], v[164:165], v[18:21]
	ds_read_u16 v24, v95 offset:6688
	ds_read_u16 v27, v95 offset:6896
	;; [unrolled: 1-line block ×4, first 2 shown]
	s_nop 3
	v_cvt_f16_f32_e32 v18, v18
	v_cvt_f16_f32_e32 v19, v19
	;; [unrolled: 1-line block ×4, first 2 shown]
	s_waitcnt lgkmcnt(0)
	v_perm_b32 v25, v29, v25, s64
	v_perm_b32 v24, v27, v24, s64
	v_cvt_f32_f16_e32 v18, v18
	v_cvt_f32_f16_e32 v19, v19
	v_cvt_f32_f16_e32 v20, v20
	v_cvt_f32_f16_e32 v21, v21
	s_nop 1
	v_mfma_f32_16x16x16_f16 v[18:21], v[24:25], v[160:161], v[18:21]
	ds_read_u16 v24, v95 offset:64
	ds_read_u16 v25, v95 offset:272
	;; [unrolled: 1-line block ×4, first 2 shown]
	s_waitcnt lgkmcnt(2)
	v_perm_b32 v22, v25, v24, s64
	s_nop 1
	v_cvt_pk_f16_f32 v21, v20, v21
	s_waitcnt lgkmcnt(0)
	v_perm_b32 v23, v29, v27, s64
	ds_read_u16 v27, v95 offset:6720
	ds_read_u16 v29, v95 offset:6928
	ds_read_u16 v30, v96 offset:6720
	ds_read_u16 v33, v97 offset:6720
	v_mfma_f32_16x16x16_f16 v[22:25], v[22:23], v[164:165], v[156:159]
	s_waitcnt lgkmcnt(0)
	v_perm_b32 v37, v33, v30, s64
	v_perm_b32 v36, v29, v27, s64
	ds_read_u16 v29, v95 offset:96
	ds_read_u16 v30, v95 offset:304
	;; [unrolled: 1-line block ×4, first 2 shown]
	s_nop 0
	v_cvt_f16_f32_e32 v22, v22
	v_cvt_f16_f32_e32 v23, v23
	v_cvt_f16_f32_e32 v24, v24
	v_cvt_f16_f32_e32 v25, v25
	v_cvt_f32_f16_e32 v158, v26
	v_cvt_f32_f16_sdwa v159, v26 dst_sel:DWORD dst_unused:UNUSED_PAD src0_sel:WORD_1
	s_waitcnt lgkmcnt(0)
	v_perm_b32 v27, v33, v27, s64
	v_perm_b32 v26, v30, v29, s64
	v_cvt_f32_f16_e32 v156, v28
	v_cvt_f32_f16_sdwa v157, v28 dst_sel:DWORD dst_unused:UNUSED_PAD src0_sel:WORD_1
	v_cvt_f32_f16_e32 v22, v22
	v_cvt_f32_f16_e32 v23, v23
	;; [unrolled: 1-line block ×4, first 2 shown]
	v_mfma_f32_16x16x16_f16 v[26:29], v[26:27], v[164:165], v[156:159]
	s_nop 0
	v_mfma_f32_16x16x16_f16 v[22:25], v[36:37], v[160:161], v[22:25]
	ds_read_u16 v30, v95 offset:6752
	ds_read_u16 v33, v95 offset:6960
	;; [unrolled: 1-line block ×4, first 2 shown]
	s_nop 1
	v_cvt_f16_f32_e32 v26, v26
	v_cvt_f16_f32_e32 v27, v27
	;; [unrolled: 1-line block ×4, first 2 shown]
	s_waitcnt lgkmcnt(0)
	v_perm_b32 v37, v37, v36, s64
	v_perm_b32 v36, v33, v30, s64
	v_cvt_f32_f16_e32 v26, v26
	v_cvt_f32_f16_e32 v27, v27
	;; [unrolled: 1-line block ×5, first 2 shown]
	v_cvt_f32_f16_sdwa v159, v31 dst_sel:DWORD dst_unused:UNUSED_PAD src0_sel:WORD_1
	v_mfma_f32_16x16x16_f16 v[26:29], v[36:37], v[160:161], v[26:29]
	ds_read_u16 v30, v95 offset:128
	ds_read_u16 v33, v95 offset:336
	;; [unrolled: 1-line block ×4, first 2 shown]
	v_cvt_f32_f16_e32 v156, v32
	v_cvt_f32_f16_sdwa v157, v32 dst_sel:DWORD dst_unused:UNUSED_PAD src0_sel:WORD_1
	s_waitcnt lgkmcnt(2)
	v_perm_b32 v30, v33, v30, s64
	v_cvt_pk_f16_f32 v26, v26, v27
	s_waitcnt lgkmcnt(0)
	v_perm_b32 v31, v37, v36, s64
	v_cvt_pk_f16_f32 v27, v28, v29
	v_cvt_pk_f16_f32 v23, v22, v23
	v_mfma_f32_16x16x16_f16 v[30:33], v[30:31], v[164:165], v[156:159]
	ds_read_u16 v36, v95 offset:6784
	ds_read_u16 v48, v95 offset:6992
	;; [unrolled: 1-line block ×4, first 2 shown]
	v_cvt_f32_f16_sdwa v157, v35 dst_sel:DWORD dst_unused:UNUSED_PAD src0_sel:WORD_1
	v_cvt_f32_f16_e32 v158, v34
	s_nop 1
	v_cvt_f16_f32_e32 v30, v30
	v_cvt_f16_f32_e32 v31, v31
	;; [unrolled: 1-line block ×4, first 2 shown]
	s_waitcnt lgkmcnt(0)
	v_perm_b32 v37, v156, v37, s64
	v_perm_b32 v36, v48, v36, s64
	v_cvt_f32_f16_e32 v30, v30
	v_cvt_f32_f16_e32 v31, v31
	;; [unrolled: 1-line block ×5, first 2 shown]
	v_cvt_f32_f16_sdwa v159, v34 dst_sel:DWORD dst_unused:UNUSED_PAD src0_sel:WORD_1
	v_mfma_f32_16x16x16_f16 v[30:33], v[36:37], v[160:161], v[30:33]
	ds_read_u16 v36, v95 offset:160
	ds_read_u16 v37, v95 offset:368
	;; [unrolled: 1-line block ×4, first 2 shown]
	v_cvt_pk_f16_f32 v22, v24, v25
	v_cvt_pk_f16_f32 v24, v18, v19
	s_waitcnt lgkmcnt(2)
	v_perm_b32 v34, v37, v36, s64
	v_cvt_pk_f16_f32 v28, v14, v15
	s_waitcnt lgkmcnt(0)
	v_perm_b32 v35, v162, v48, s64
	v_cvt_pk_f16_f32 v25, v16, v17
	v_cvt_pk_f16_f32 v20, v30, v31
	v_mfma_f32_16x16x16_f16 v[34:37], v[34:35], v[164:165], v[156:159]
	ds_read_u16 v48, v95 offset:6816
	s_nop 1
	ds_read_u16 v156, v95 offset:7024
	ds_read_u16 v157, v96 offset:6816
	;; [unrolled: 1-line block ×3, first 2 shown]
	v_cvt_pk_f16_f32 v19, v32, v33
	s_waitcnt lgkmcnt(0)
	v_cvt_f16_f32_e32 v34, v34
	v_cvt_f16_f32_e32 v35, v35
	;; [unrolled: 1-line block ×4, first 2 shown]
	v_perm_b32 v157, v158, v157, s64
	v_perm_b32 v156, v156, v48, s64
	v_cvt_f32_f16_e32 v34, v34
	v_cvt_f32_f16_e32 v35, v35
	;; [unrolled: 1-line block ×4, first 2 shown]
	s_barrier
	s_nop 0
	v_mfma_f32_16x16x16_f16 v[34:37], v[156:157], v[160:161], v[34:37]
	s_nop 7
	v_cvt_pk_f16_f32 v18, v34, v35
	v_cvt_pk_f16_f32 v17, v36, v37
	s_cbranch_scc1 .LBB14_43
	s_branch .LBB14_46
.LBB14_44:                              ;   in Loop: Header=BB14_12 Depth=1
	s_cbranch_execz .LBB14_11
	s_branch .LBB14_114
.LBB14_45:                              ;   in Loop: Header=BB14_12 Depth=1
	v_mov_b32_e32 v148, 0xfeffffff
	v_mov_b32_e32 v149, 0
	v_mov_b32_e32 v17, 0
	v_mov_b32_e32 v18, 0
	v_mov_b32_e32 v19, 0
	v_mov_b32_e32 v20, 0
	v_mov_b32_e32 v25, 0
	v_mov_b32_e32 v28, 0
	v_mov_b32_e32 v21, 0
	v_mov_b32_e32 v24, 0
	v_mov_b32_e32 v22, 0
	v_mov_b32_e32 v23, 0
	v_mov_b32_e32 v27, 0
	v_mov_b32_e32 v26, 0
	v_mov_b32_e32 v152, v146
.LBB14_46:                              ;   in Loop: Header=BB14_12 Depth=1
	s_lshl_b32 s10, s84, 6
	s_ashr_i32 s11, s10, 31
	s_lshl_b64 s[84:85], s[10:11], 1
	s_add_u32 s84, s78, s84
	s_addc_u32 s85, s79, s85
	v_lshl_add_u64 v[14:15], v[90:91], 1, s[84:85]
	v_lshlrev_b32_e32 v48, 1, v42
	v_lshl_add_u64 v[14:15], v[14:15], 0, v[48:49]
	global_load_dword v14, v[14:15], off
	s_mul_hi_i32 s85, s34, s10
	s_mul_i32 s84, s34, s10
	s_lshl_b64 s[84:85], s[84:85], 2
	s_add_u32 s84, s33, s84
	s_addc_u32 s85, s6, s85
	v_lshlrev_b32_e32 v48, 2, v44
	v_lshl_add_u64 v[32:33], v[52:53], 2, s[84:85]
	v_add_u32_e32 v16, v139, v98
	v_cmp_lt_i32_e32 vcc, v153, v150
	s_mul_hi_i32 s11, s38, s10
	s_mul_i32 s10, s38, s10
	s_lshl_b64 s[10:11], s[10:11], 2
	s_add_u32 s10, s66, s10
	s_addc_u32 s11, s67, s11
	s_cmp_lg_u64 s[76:77], 0
	s_waitcnt vmcnt(0)
	ds_write_b32 v45, v14 offset:13312
	v_lshl_add_u64 v[14:15], v[50:51], 2, s[84:85]
	v_lshl_add_u64 v[30:31], v[14:15], 0, v[48:49]
	v_lshlrev_b32_e32 v14, 2, v46
	v_mov_b32_e32 v15, v49
	v_lshl_add_u64 v[34:35], v[32:33], 0, v[14:15]
	v_lshl_add_u64 v[32:33], v[54:55], 2, s[84:85]
	;; [unrolled: 1-line block ×3, first 2 shown]
	global_load_dwordx4 v[30:33], v[30:31], off offset:128
	s_waitcnt vmcnt(0)
	ds_write_b128 v77, v[30:33]
	global_load_dwordx4 v[30:33], v[34:35], off
	s_waitcnt vmcnt(0)
	ds_write_b128 v79, v[30:33]
	global_load_dwordx4 v[30:33], v[36:37], off
	s_waitcnt vmcnt(0)
	ds_write_b128 v138, v[30:33]
	s_waitcnt lgkmcnt(0)
	s_barrier
	ds_read2_b64 v[30:33], v16 offset1:4
	s_waitcnt lgkmcnt(0)
	v_mfma_f32_16x16x16_f16 v[34:37], v[30:31], v[10:11], 0
	v_mfma_f32_16x16x16_f16 v[30:33], v[32:33], v[12:13], v[34:37]
	s_nop 6
	ds_read2_b64 v[34:37], v16 offset0:8 offset1:12
	s_waitcnt lgkmcnt(0)
	v_mfma_f32_16x16x16_f16 v[30:33], v[34:35], v[6:7], v[30:33]
	v_mfma_f32_16x16x16_f16 v[30:33], v[36:37], v[8:9], v[30:33]
	ds_read2_b64 v[34:37], v16 offset0:16 offset1:20
	v_add_u32_e32 v16, 0x1800, v16
	s_waitcnt lgkmcnt(0)
	v_mfma_f32_16x16x16_f16 v[30:33], v[34:35], v[2:3], v[30:33]
	v_mfma_f32_16x16x16_f16 v[30:33], v[36:37], v[4:5], v[30:33]
	ds_read2_b64 v[34:37], v16 offset0:64 offset1:68
	s_waitcnt lgkmcnt(0)
	v_mfma_f32_16x16x16_f16 v[90:93], v[34:35], v[10:11], 0
	v_mfma_f32_16x16x16_f16 v[10:13], v[36:37], v[12:13], v[90:93]
	ds_read2_b64 v[34:37], v16 offset0:72 offset1:76
	s_waitcnt lgkmcnt(0)
	v_mfma_f32_16x16x16_f16 v[10:13], v[34:35], v[6:7], v[10:13]
	v_mfma_f32_16x16x16_f16 v[6:9], v[36:37], v[8:9], v[10:13]
	s_nop 6
	ds_read2_b64 v[10:13], v16 offset0:80 offset1:84
	s_waitcnt lgkmcnt(0)
	v_mfma_f32_16x16x16_f16 v[6:9], v[10:11], v[2:3], v[6:9]
	v_add_u32_e32 v2, 0x3400, v94
	s_barrier
	ds_read2_b32 v[2:3], v2 offset1:1
	v_mfma_f32_16x16x16_f16 v[10:13], v[12:13], v[4:5], v[6:9]
	s_waitcnt lgkmcnt(0)
	v_cvt_f32_f16_e32 v4, v2
	v_cvt_f32_f16_sdwa v2, v2 dst_sel:DWORD dst_unused:UNUSED_PAD src0_sel:WORD_1
	s_nop 0
	v_add_f32_e32 v6, v30, v4
	v_add_f32_e32 v7, v31, v2
	v_cvt_f32_f16_e32 v2, v3
	v_cvt_f32_f16_sdwa v3, v3 dst_sel:DWORD dst_unused:UNUSED_PAD src0_sel:WORD_1
	v_add_f32_e32 v8, v32, v2
	ds_read_b32 v2, v100 offset:13312
	v_add_f32_e32 v9, v33, v3
	s_waitcnt lgkmcnt(0)
	v_cvt_f32_f16_e32 v3, v2
	v_cvt_f32_f16_sdwa v2, v2 dst_sel:DWORD dst_unused:UNUSED_PAD src0_sel:WORD_1
	v_add_f32_e32 v5, v10, v3
	v_add_f32_e32 v4, v11, v2
	ds_read_b32 v2, v101 offset:13312
	v_add_f32_e32 v10, 0x40051340, v6
	v_add_f32_e32 v11, 0x40051340, v7
	v_max3_f32 v10, v148, v10, v11
	v_add_f32_e32 v11, 0x40051340, v8
	s_waitcnt lgkmcnt(0)
	v_cvt_f32_f16_e32 v3, v2
	v_cvt_f32_f16_sdwa v2, v2 dst_sel:DWORD dst_unused:UNUSED_PAD src0_sel:WORD_1
	v_add_f32_e32 v3, v12, v3
	v_add_f32_e32 v12, 0x40051340, v9
	;; [unrolled: 1-line block ×3, first 2 shown]
	v_max3_f32 v10, v10, v11, v12
	v_add_f32_e32 v11, 0x40051340, v5
	v_add_f32_e32 v12, 0x40051340, v4
	v_max3_f32 v10, v10, v11, v12
	v_add_f32_e32 v11, 0x40051340, v3
	v_add_f32_e32 v12, 0x40051340, v2
	v_max3_f32 v10, v10, v11, v12
	v_cndmask_b32_e32 v11, v152, v153, vcc
	v_lshlrev_b32_e32 v30, 2, v11
	ds_bpermute_b32 v11, v30, v10
	v_cmp_lt_i32_e32 vcc, v151, v150
	s_waitcnt lgkmcnt(0)
	v_max_f32_e32 v11, v11, v11
	v_max_f32_e32 v10, v10, v11
	v_cndmask_b32_e32 v11, v152, v151, vcc
	v_lshlrev_b32_e32 v29, 2, v11
	ds_bpermute_b32 v11, v29, v10
	s_waitcnt lgkmcnt(0)
	v_max_f32_e32 v11, v11, v11
	v_max_f32_e32 v16, v10, v11
	v_sub_f32_e32 v6, v6, v16
	v_mul_f32_e32 v10, 0x3fb8aa3b, v6
	v_fma_f32 v11, v6, s15, -v10
	v_rndne_f32_e32 v12, v10
	v_fmac_f32_e32 v11, 0x32a5705f, v6
	v_sub_f32_e32 v10, v10, v12
	v_add_f32_e32 v10, v10, v11
	v_exp_f32_e32 v10, v10
	v_cvt_i32_f32_e32 v11, v12
	v_cmp_ngt_f32_e32 vcc, s2, v6
	v_sub_f32_e32 v7, v7, v16
	v_sub_f32_e32 v8, v8, v16
	v_ldexp_f32 v10, v10, v11
	v_cndmask_b32_e32 v10, 0, v10, vcc
	v_cmp_nlt_f32_e32 vcc, s62, v6
	v_sub_f32_e32 v9, v9, v16
	v_sub_f32_e32 v5, v5, v16
	v_cndmask_b32_e32 v6, v147, v10, vcc
	v_mul_f32_e32 v10, 0x3fb8aa3b, v7
	v_fma_f32 v11, v7, s15, -v10
	v_rndne_f32_e32 v12, v10
	v_fmac_f32_e32 v11, 0x32a5705f, v7
	v_sub_f32_e32 v10, v10, v12
	v_add_f32_e32 v10, v10, v11
	v_exp_f32_e32 v10, v10
	v_cvt_i32_f32_e32 v11, v12
	v_cmp_ngt_f32_e32 vcc, s2, v7
	v_sub_f32_e32 v4, v4, v16
	v_sub_f32_e32 v3, v3, v16
	v_ldexp_f32 v10, v10, v11
	v_mul_f32_e32 v11, 0x3fb8aa3b, v8
	v_fma_f32 v12, v8, s15, -v11
	v_rndne_f32_e32 v13, v11
	v_fmac_f32_e32 v12, 0x32a5705f, v8
	v_sub_f32_e32 v11, v11, v13
	v_add_f32_e32 v11, v11, v12
	v_exp_f32_e32 v11, v11
	v_cvt_i32_f32_e32 v12, v13
	v_cndmask_b32_e32 v10, 0, v10, vcc
	v_cmp_nlt_f32_e32 vcc, s62, v7
	v_sub_f32_e32 v2, v2, v16
	v_ldexp_f32 v11, v11, v12
	v_cndmask_b32_e32 v7, v147, v10, vcc
	v_cmp_ngt_f32_e32 vcc, s2, v8
	v_add_f32_e32 v10, v6, v7
	s_nop 0
	v_cndmask_b32_e32 v11, 0, v11, vcc
	v_cmp_nlt_f32_e32 vcc, s62, v8
	s_nop 1
	v_cndmask_b32_e32 v8, v147, v11, vcc
	v_mul_f32_e32 v11, 0x3fb8aa3b, v9
	v_fma_f32 v12, v9, s15, -v11
	v_rndne_f32_e32 v13, v11
	v_fmac_f32_e32 v12, 0x32a5705f, v9
	v_sub_f32_e32 v11, v11, v13
	v_add_f32_e32 v11, v11, v12
	v_exp_f32_e32 v11, v11
	v_cvt_i32_f32_e32 v12, v13
	v_cmp_ngt_f32_e32 vcc, s2, v9
	v_add_f32_e32 v10, v8, v10
	v_ldexp_f32 v11, v11, v12
	v_cndmask_b32_e32 v11, 0, v11, vcc
	v_cmp_nlt_f32_e32 vcc, s62, v9
	s_nop 1
	v_cndmask_b32_e32 v34, v147, v11, vcc
	v_add_f32_e32 v9, v34, v10
	v_mul_f32_e32 v10, 0x3fb8aa3b, v5
	v_fma_f32 v11, v5, s15, -v10
	v_rndne_f32_e32 v12, v10
	v_fmac_f32_e32 v11, 0x32a5705f, v5
	v_sub_f32_e32 v10, v10, v12
	v_add_f32_e32 v10, v10, v11
	v_exp_f32_e32 v10, v10
	v_cvt_i32_f32_e32 v11, v12
	v_cmp_ngt_f32_e32 vcc, s2, v5
	v_ldexp_f32 v10, v10, v11
	s_nop 0
	v_cndmask_b32_e32 v10, 0, v10, vcc
	v_cmp_nlt_f32_e32 vcc, s62, v5
	s_nop 1
	v_cndmask_b32_e32 v32, v147, v10, vcc
	v_add_f32_e32 v5, v32, v9
	v_mul_f32_e32 v9, 0x3fb8aa3b, v4
	v_fma_f32 v10, v4, s15, -v9
	v_rndne_f32_e32 v11, v9
	v_fmac_f32_e32 v10, 0x32a5705f, v4
	v_sub_f32_e32 v9, v9, v11
	v_add_f32_e32 v9, v9, v10
	v_exp_f32_e32 v9, v9
	v_cvt_i32_f32_e32 v10, v11
	v_cmp_ngt_f32_e32 vcc, s2, v4
	v_ldexp_f32 v9, v9, v10
	s_nop 0
	;; [unrolled: 16-line block ×4, first 2 shown]
	v_cndmask_b32_e32 v4, 0, v4, vcc
	v_cmp_nlt_f32_e32 vcc, s62, v2
	v_sub_f32_e32 v2, v148, v16
	s_nop 0
	v_cndmask_b32_e32 v36, v147, v4, vcc
	v_add_f32_e32 v31, v36, v3
	v_mul_f32_e32 v3, 0x3fb8aa3b, v2
	v_fma_f32 v4, v2, s15, -v3
	v_rndne_f32_e32 v5, v3
	v_fmac_f32_e32 v4, 0x32a5705f, v2
	v_sub_f32_e32 v3, v3, v5
	v_add_f32_e32 v3, v3, v4
	v_exp_f32_e32 v3, v3
	v_cvt_i32_f32_e32 v4, v5
	v_cmp_ngt_f32_e32 vcc, s2, v2
	v_ldexp_f32 v3, v3, v4
	s_nop 0
	v_cndmask_b32_e32 v3, 0, v3, vcc
	v_cmp_nlt_f32_e32 vcc, s62, v2
	s_nop 1
	v_cndmask_b32_e32 v3, v147, v3, vcc
	v_cmp_le_f32_e32 vcc, s63, v2
	s_nop 1
	v_cndmask_b32_e32 v2, 0, v3, vcc
	v_fmac_f32_e32 v31, v149, v2
	v_cvt_f16_f32_e32 v2, v2
	v_mul_u32_u24_e32 v2, 0x10001, v2
	v_pk_mul_f16 v37, v28, v2
	v_pk_mul_f16 v25, v25, v2
	;; [unrolled: 1-line block ×12, first 2 shown]
	v_lshl_add_u64 v[2:3], v[56:57], 2, s[10:11]
	v_lshl_add_u64 v[2:3], v[2:3], 0, v[48:49]
	global_load_dwordx4 v[2:5], v[2:3], off offset:128
	v_cvt_pk_f16_f32 v19, v8, v34
	v_cvt_f32_f16_e32 v90, v11
	v_cvt_f32_f16_sdwa v91, v11 dst_sel:DWORD dst_unused:UNUSED_PAD src0_sel:WORD_1
	v_cvt_f32_f16_e32 v92, v10
	v_cvt_f32_f16_sdwa v93, v10 dst_sel:DWORD dst_unused:UNUSED_PAD src0_sel:WORD_1
	s_waitcnt vmcnt(0)
	ds_write_b128 v77, v[2:5]
	v_lshl_add_u64 v[2:3], v[58:59], 2, s[10:11]
	v_lshl_add_u64 v[2:3], v[2:3], 0, v[14:15]
	global_load_dwordx4 v[2:5], v[2:3], off
	s_waitcnt vmcnt(0)
	ds_write_b128 v79, v[2:5]
	v_lshl_add_u64 v[2:3], v[60:61], 2, s[10:11]
	v_lshl_add_u64 v[2:3], v[2:3], 0, v[14:15]
	global_load_dwordx4 v[2:5], v[2:3], off
	s_cselect_b64 s[10:11], -1, 0
	s_and_b64 s[84:85], s[0:1], s[10:11]
	s_waitcnt vmcnt(0)
	ds_write_b128 v138, v[2:5]
	s_waitcnt lgkmcnt(0)
	s_barrier
	ds_read_u16 v14, v95 offset:208
	ds_read_u16 v15, v96
	ds_read_u16 v22, v96 offset:32
	ds_read_u16 v18, v97
	ds_read_u16 v27, v97 offset:32
	v_cvt_f32_f16_e32 v2, v37
	v_cvt_f32_f16_sdwa v3, v37 dst_sel:DWORD dst_unused:UNUSED_PAD src0_sel:WORD_1
	v_cvt_f32_f16_e32 v4, v25
	s_waitcnt lgkmcnt(1)
	v_perm_b32 v15, v18, v15, s64
	ds_read_u16 v18, v95
	ds_read_u16 v37, v95 offset:32
	v_cvt_f32_f16_sdwa v5, v25 dst_sel:DWORD dst_unused:UNUSED_PAD src0_sel:WORD_1
	s_waitcnt lgkmcnt(1)
	v_perm_b32 v14, v14, v18, s64
	v_cvt_pk_f16_f32 v18, v6, v7
	s_nop 1
	v_mfma_f32_16x16x16_f16 v[2:5], v[14:15], v[18:19], v[2:5]
	ds_read_u16 v6, v95 offset:6656
	ds_read_u16 v8, v95 offset:6864
	;; [unrolled: 1-line block ×4, first 2 shown]
	v_cvt_pk_f16_f32 v15, v35, v36
	s_nop 2
	v_cvt_f16_f32_e32 v2, v2
	v_cvt_f16_f32_e32 v3, v3
	;; [unrolled: 1-line block ×4, first 2 shown]
	s_waitcnt lgkmcnt(0)
	v_perm_b32 v7, v14, v7, s64
	v_perm_b32 v6, v8, v6, s64
	v_cvt_f32_f16_e32 v2, v2
	v_cvt_f32_f16_e32 v3, v3
	;; [unrolled: 1-line block ×4, first 2 shown]
	v_cvt_pk_f16_f32 v14, v32, v33
	ds_read_u16 v8, v95 offset:240
	v_perm_b32 v33, v27, v22, s64
	v_mfma_f32_16x16x16_f16 v[2:5], v[6:7], v[14:15], v[2:5]
	v_cvt_f32_f16_e32 v6, v21
	v_cvt_f32_f16_sdwa v7, v21 dst_sel:DWORD dst_unused:UNUSED_PAD src0_sel:WORD_1
	s_waitcnt lgkmcnt(0)
	v_perm_b32 v32, v8, v37, s64
	ds_read_u16 v8, v95 offset:6688
	ds_read_u16 v21, v95 offset:6896
	;; [unrolled: 1-line block ×4, first 2 shown]
	v_cvt_f16_f32_e32 v4, v4
	v_cvt_f16_f32_e32 v5, v5
	;; [unrolled: 1-line block ×4, first 2 shown]
	v_perm_b32 v20, v5, v4, s64
	v_cvt_f32_f16_e32 v4, v28
	v_cvt_f32_f16_sdwa v5, v28 dst_sel:DWORD dst_unused:UNUSED_PAD src0_sel:WORD_1
	s_nop 1
	v_mfma_f32_16x16x16_f16 v[4:7], v[32:33], v[18:19], v[4:7]
	s_waitcnt lgkmcnt(0)
	v_perm_b32 v33, v27, v22, s64
	v_perm_b32 v32, v21, v8, s64
	v_cvt_f32_f16_e32 v8, v9
	v_cvt_f32_f16_sdwa v9, v9 dst_sel:DWORD dst_unused:UNUSED_PAD src0_sel:WORD_1
	s_nop 2
	v_cvt_f16_f32_e32 v4, v4
	v_cvt_f16_f32_e32 v5, v5
	v_cvt_f16_f32_e32 v6, v6
	v_cvt_f16_f32_e32 v7, v7
	v_cvt_f32_f16_e32 v4, v4
	v_cvt_f32_f16_e32 v5, v5
	;; [unrolled: 1-line block ×4, first 2 shown]
	s_nop 1
	v_mfma_f32_16x16x16_f16 v[4:7], v[32:33], v[14:15], v[4:7]
	ds_read_u16 v22, v95 offset:64
	ds_read_u16 v27, v95 offset:272
	;; [unrolled: 1-line block ×4, first 2 shown]
	s_nop 3
	v_cvt_f16_f32_e32 v6, v6
	v_cvt_f16_f32_e32 v7, v7
	s_waitcnt lgkmcnt(2)
	v_perm_b32 v22, v27, v22, s64
	v_cvt_f16_f32_e32 v28, v4
	v_cvt_f16_f32_e32 v32, v5
	v_perm_b32 v21, v7, v6, s64
	v_cvt_f32_f16_e32 v6, v23
	v_cvt_f32_f16_sdwa v7, v23 dst_sel:DWORD dst_unused:UNUSED_PAD src0_sel:WORD_1
	s_waitcnt lgkmcnt(0)
	v_perm_b32 v23, v34, v33, s64
	s_nop 1
	v_mfma_f32_16x16x16_f16 v[6:9], v[22:23], v[18:19], v[6:9]
	ds_read_u16 v22, v95 offset:6720
	ds_read_u16 v27, v95 offset:6928
	;; [unrolled: 1-line block ×4, first 2 shown]
	s_nop 3
	v_cvt_f16_f32_e32 v6, v6
	v_cvt_f16_f32_e32 v7, v7
	;; [unrolled: 1-line block ×4, first 2 shown]
	s_waitcnt lgkmcnt(0)
	v_perm_b32 v23, v33, v23, s64
	v_perm_b32 v22, v27, v22, s64
	v_cvt_f32_f16_e32 v6, v6
	v_cvt_f32_f16_e32 v7, v7
	;; [unrolled: 1-line block ×4, first 2 shown]
	s_nop 1
	v_mfma_f32_16x16x16_f16 v[6:9], v[22:23], v[14:15], v[6:9]
	s_nop 7
	v_cvt_f16_f32_e32 v8, v8
	v_cvt_f16_f32_e32 v9, v9
	;; [unrolled: 1-line block ×4, first 2 shown]
	v_perm_b32 v22, v9, v8, s64
	ds_read_u16 v8, v95 offset:96
	ds_read_u16 v23, v95 offset:304
	;; [unrolled: 1-line block ×4, first 2 shown]
	s_waitcnt lgkmcnt(2)
	v_perm_b32 v8, v23, v8, s64
	s_waitcnt lgkmcnt(0)
	v_perm_b32 v9, v27, v9, s64
	ds_read_u16 v23, v95 offset:6752
	ds_read_u16 v27, v95 offset:6960
	;; [unrolled: 1-line block ×4, first 2 shown]
	v_mfma_f32_16x16x16_f16 v[8:11], v[8:9], v[18:19], v[90:93]
	s_waitcnt lgkmcnt(0)
	v_perm_b32 v37, v36, v35, s64
	v_perm_b32 v36, v27, v23, s64
	v_cvt_f32_f16_e32 v90, v13
	s_nop 3
	v_cvt_f16_f32_e32 v8, v8
	v_cvt_f16_f32_e32 v9, v9
	;; [unrolled: 1-line block ×4, first 2 shown]
	v_cvt_f32_f16_e32 v8, v8
	v_cvt_f32_f16_e32 v9, v9
	;; [unrolled: 1-line block ×4, first 2 shown]
	v_cvt_f32_f16_sdwa v91, v13 dst_sel:DWORD dst_unused:UNUSED_PAD src0_sel:WORD_1
	v_cvt_f32_f16_e32 v92, v12
	v_mfma_f32_16x16x16_f16 v[8:11], v[36:37], v[14:15], v[8:11]
	v_cvt_f32_f16_sdwa v93, v12 dst_sel:DWORD dst_unused:UNUSED_PAD src0_sel:WORD_1
	s_nop 6
	v_cvt_f16_f32_e32 v10, v10
	v_cvt_f16_f32_e32 v11, v11
	;; [unrolled: 1-line block ×4, first 2 shown]
	v_perm_b32 v23, v11, v10, s64
	ds_read_u16 v10, v95 offset:128
	ds_read_u16 v27, v95 offset:336
	ds_read_u16 v11, v96 offset:128
	ds_read_u16 v37, v97 offset:128
	s_waitcnt lgkmcnt(2)
	v_perm_b32 v10, v27, v10, s64
	s_waitcnt lgkmcnt(0)
	v_perm_b32 v11, v37, v11, s64
	s_nop 1
	v_mfma_f32_16x16x16_f16 v[10:13], v[10:11], v[18:19], v[90:93]
	ds_read_u16 v27, v95 offset:6784
	ds_read_u16 v37, v95 offset:6992
	;; [unrolled: 1-line block ×4, first 2 shown]
	v_cvt_f32_f16_e32 v92, v17
	v_cvt_f32_f16_sdwa v93, v17 dst_sel:DWORD dst_unused:UNUSED_PAD src0_sel:WORD_1
	s_nop 1
	v_cvt_f16_f32_e32 v10, v10
	v_cvt_f16_f32_e32 v11, v11
	;; [unrolled: 1-line block ×4, first 2 shown]
	s_waitcnt lgkmcnt(0)
	v_perm_b32 v91, v90, v48, s64
	v_perm_b32 v90, v37, v27, s64
	v_cvt_f32_f16_e32 v10, v10
	v_cvt_f32_f16_e32 v11, v11
	;; [unrolled: 1-line block ×4, first 2 shown]
	s_nop 1
	v_mfma_f32_16x16x16_f16 v[10:13], v[90:91], v[14:15], v[10:13]
	v_cvt_f32_f16_e32 v90, v24
	v_cvt_f32_f16_sdwa v91, v24 dst_sel:DWORD dst_unused:UNUSED_PAD src0_sel:WORD_1
	s_nop 5
	v_cvt_f16_f32_e32 v12, v12
	v_cvt_f16_f32_e32 v13, v13
	;; [unrolled: 1-line block ×4, first 2 shown]
	v_perm_b32 v27, v13, v12, s64
	ds_read_u16 v12, v95 offset:160
	ds_read_u16 v148, v95 offset:368
	;; [unrolled: 1-line block ×4, first 2 shown]
	s_waitcnt lgkmcnt(2)
	v_perm_b32 v12, v148, v12, s64
	s_waitcnt lgkmcnt(0)
	v_perm_b32 v13, v149, v13, s64
	s_nop 1
	v_mfma_f32_16x16x16_f16 v[90:93], v[12:13], v[18:19], v[90:93]
	ds_read_u16 v12, v95 offset:6816
	ds_read_u16 v13, v95 offset:7024
	;; [unrolled: 1-line block ×4, first 2 shown]
	s_waitcnt lgkmcnt(0)
	s_barrier
	s_nop 1
	v_cvt_f16_f32_e32 v18, v91
	v_cvt_f16_f32_e32 v19, v92
	;; [unrolled: 1-line block ×4, first 2 shown]
	v_cvt_f32_f16_e32 v91, v18
	v_cvt_f32_f16_e32 v92, v19
	v_perm_b32 v19, v149, v148, s64
	v_perm_b32 v18, v13, v12, s64
	v_cvt_f32_f16_e32 v90, v17
	v_cvt_f32_f16_e32 v93, v24
	v_perm_b32 v24, v26, v25, s64
	v_perm_b32 v25, v48, v37, s64
	v_mfma_f32_16x16x16_f16 v[12:15], v[18:19], v[14:15], v[90:93]
	v_perm_b32 v18, v34, v33, s64
	v_perm_b32 v19, v32, v28, s64
	s_nop 5
	v_cvt_f16_f32_e32 v14, v14
	v_cvt_f16_f32_e32 v15, v15
	;; [unrolled: 1-line block ×4, first 2 shown]
	v_perm_b32 v14, v15, v14, s64
	ds_bpermute_b32 v15, v30, v31
	v_perm_b32 v26, v91, v90, s64
	s_waitcnt lgkmcnt(0)
	v_add_f32_e32 v15, v31, v15
	ds_bpermute_b32 v17, v29, v15
	s_waitcnt lgkmcnt(0)
	v_add_f32_e32 v17, v15, v17
	v_perm_b32 v15, v36, v35, s64
	s_and_saveexec_b64 s[10:11], s[84:85]
	s_cbranch_execz .LBB14_48
; %bb.47:                               ;   in Loop: Header=BB14_12 Depth=1
	v_cvt_pk_f16_f32 v3, v2, v3
	v_lshlrev_b32_e32 v2, 2, v64
	v_cvt_pk_f16_f32 v4, v4, v5
	v_cvt_pk_f16_f32 v5, v6, v7
	;; [unrolled: 1-line block ×3, first 2 shown]
	global_load_dword v9, v2, s[76:77]
	v_cvt_pk_f16_f32 v7, v10, v11
	v_max_f32_e32 v10, v16, v16
	v_cvt_pk_f16_f32 v8, v12, v13
	s_waitcnt vmcnt(0)
	v_max_f32_e32 v2, v9, v9
	v_max_f32_e32 v2, v10, v2
	v_sub_f32_e32 v10, v16, v2
	v_mul_f32_e32 v11, 0x3fb8aa3b, v10
	v_fma_f32 v12, v10, s15, -v11
	v_rndne_f32_e32 v13, v11
	v_fmac_f32_e32 v12, 0x32a5705f, v10
	v_sub_f32_e32 v11, v11, v13
	v_add_f32_e32 v11, v11, v12
	v_exp_f32_e32 v11, v11
	v_cvt_i32_f32_e32 v12, v13
	v_cmp_ngt_f32_e32 vcc, s2, v10
	v_sub_f32_e32 v9, v9, v2
	v_ldexp_f32 v11, v11, v12
	v_cndmask_b32_e32 v11, 0, v11, vcc
	v_cmp_nlt_f32_e32 vcc, s62, v10
	s_nop 1
	v_cndmask_b32_e32 v11, v147, v11, vcc
	v_cmp_le_f32_e32 vcc, s63, v10
	s_nop 1
	v_cndmask_b32_e32 v10, 0, v11, vcc
	v_cvt_f16_f32_e32 v11, v10
	v_cmp_ngt_f32_e32 vcc, s2, v9
	v_mul_u32_u24_e32 v11, 0x10001, v11
	v_pk_mul_f16 v24, v3, v11
	v_mul_f32_e32 v3, 0x3fb8aa3b, v9
	v_pk_mul_f16 v19, v4, v11
	v_pk_mul_f16 v18, v5, v11
	v_fma_f32 v4, v9, s15, -v3
	v_rndne_f32_e32 v5, v3
	v_fmac_f32_e32 v4, 0x32a5705f, v9
	v_sub_f32_e32 v3, v3, v5
	v_add_f32_e32 v3, v3, v4
	v_exp_f32_e32 v3, v3
	v_cvt_i32_f32_e32 v4, v5
	v_pk_mul_f16 v20, v20, v11
	v_pk_mul_f16 v21, v21, v11
	;; [unrolled: 1-line block ×3, first 2 shown]
	v_ldexp_f32 v3, v3, v4
	v_cndmask_b32_e32 v3, 0, v3, vcc
	v_cmp_nlt_f32_e32 vcc, s62, v9
	v_pk_mul_f16 v15, v6, v11
	v_pk_mul_f16 v23, v23, v11
	v_cndmask_b32_e32 v3, v147, v3, vcc
	v_fmac_f32_e32 v3, v17, v10
	v_pk_mul_f16 v25, v7, v11
	v_pk_mul_f16 v27, v27, v11
	;; [unrolled: 1-line block ×4, first 2 shown]
	v_mov_b64_e32 v[16:17], v[2:3]
.LBB14_48:                              ;   in Loop: Header=BB14_12 Depth=1
	s_or_b64 exec, exec, s[10:11]
	s_and_saveexec_b64 s[10:11], s[4:5]
; %bb.49:                               ;   in Loop: Header=BB14_12 Depth=1
	v_add_u32_e32 v2, 0, v110
	ds_write2_b32 v2, v16, v17 offset0:48 offset1:49
; %bb.50:                               ;   in Loop: Header=BB14_12 Depth=1
	s_or_b64 exec, exec, s[10:11]
	s_waitcnt lgkmcnt(0)
	s_barrier
	s_mov_b64 s[10:11], exec
	v_readlane_b32 s84, v178, 12
	v_readlane_b32 s85, v178, 13
	s_and_b64 s[84:85], s[10:11], s[84:85]
	s_xor_b64 s[10:11], s[84:85], s[10:11]
	s_mov_b64 exec, s[84:85]
	s_cbranch_execz .LBB14_52
; %bb.51:                               ;   in Loop: Header=BB14_12 Depth=1
	s_barrier
                                        ; implicit-def: $vgpr29
.LBB14_52:                              ;   in Loop: Header=BB14_12 Depth=1
	s_andn2_saveexec_b64 s[10:11], s[10:11]
	s_cbranch_execz .LBB14_58
; %bb.53:                               ;   in Loop: Header=BB14_12 Depth=1
	v_add_u32_e32 v3, 0, v111
	ds_read_b64 v[6:7], v3 offset:192
	s_waitcnt lgkmcnt(0)
	s_barrier
	ds_bpermute_b32 v2, v29, v6
	v_max_f32_e32 v4, v6, v6
	s_waitcnt lgkmcnt(0)
	v_max_f32_e32 v2, v2, v2
	v_max_f32_e32 v2, v4, v2
	v_sub_f32_e32 v4, v6, v2
	v_mul_f32_e32 v5, 0x3fb8aa3b, v4
	v_fma_f32 v6, v4, s15, -v5
	v_rndne_f32_e32 v8, v5
	v_fmac_f32_e32 v6, 0x32a5705f, v4
	v_sub_f32_e32 v5, v5, v8
	v_add_f32_e32 v5, v5, v6
	v_cvt_i32_f32_e32 v8, v8
	v_exp_f32_e32 v5, v5
	v_cmp_ngt_f32_e32 vcc, s2, v4
	v_ldexp_f32 v5, v5, v8
	s_nop 0
	v_cndmask_b32_e32 v5, 0, v5, vcc
	v_cmp_nlt_f32_e32 vcc, s62, v4
	s_nop 1
	v_cndmask_b32_e32 v4, v147, v5, vcc
	v_mul_f32_e32 v5, v7, v4
	ds_bpermute_b32 v5, v29, v5
	s_waitcnt lgkmcnt(0)
	v_fmac_f32_e32 v5, v7, v4
	s_mov_b64 s[84:85], exec
	v_readlane_b32 s86, v178, 17
	v_readlane_b32 s87, v178, 18
	s_and_b64 s[86:87], s[84:85], s[86:87]
	s_mov_b64 exec, s[86:87]
; %bb.54:                               ;   in Loop: Header=BB14_12 Depth=1
	ds_write_b64 v3, v[4:5] offset:192
; %bb.55:                               ;   in Loop: Header=BB14_12 Depth=1
	s_or_b64 exec, exec, s[84:85]
	s_and_saveexec_b64 s[84:85], s[4:5]
	s_cbranch_execz .LBB14_57
; %bb.56:                               ;   in Loop: Header=BB14_12 Depth=1
	v_mov_b32_e32 v3, v5
	global_store_dwordx2 v[66:67], v[2:3], off
.LBB14_57:                              ;   in Loop: Header=BB14_12 Depth=1
	s_or_b64 exec, exec, s[84:85]
.LBB14_58:                              ;   in Loop: Header=BB14_12 Depth=1
	s_or_b64 exec, exec, s[10:11]
	v_add_u32_e32 v2, v99, v112
	ds_write2_b32 v2, v24, v20 offset1:1
	ds_write2_b32 v2, v19, v21 offset0:8 offset1:9
	ds_write2_b32 v2, v18, v22 offset0:16 offset1:17
	ds_write2_b32 v2, v15, v23 offset0:24 offset1:25
	ds_write2_b32 v2, v25, v27 offset0:32 offset1:33
	ds_write2_b32 v2, v26, v14 offset0:40 offset1:41
	s_waitcnt lgkmcnt(0)
	s_barrier
	s_and_saveexec_b64 s[84:85], s[0:1]
	s_cbranch_execz .LBB14_113
; %bb.59:                               ;   in Loop: Header=BB14_12 Depth=1
	v_add_u32_e32 v3, s95, v140
	v_or_b32_e32 v2, s59, v78
	v_cmp_gt_i32_e64 s[10:11], s36, v3
	v_cmp_gt_i32_e32 vcc, s3, v2
	s_and_b64 s[86:87], s[10:11], vcc
	v_mov_b32_e32 v2, 0x47
	s_and_saveexec_b64 s[10:11], s[86:87]
	s_cbranch_execz .LBB14_61
; %bb.60:                               ;   in Loop: Header=BB14_12 Depth=1
	v_mad_u64_u32 v[2:3], s[86:87], v3, s37, v[78:79]
	v_add_u32_e32 v3, 0, v113
	v_add_u32_e32 v3, 0xc0, v3
	ds_read2st64_b32 v[4:5], v3 offset1:13
	v_add_u32_e32 v3, v136, v113
	ds_read2st64_b32 v[6:7], v3 offset1:13
	v_mad_u64_u32 v[2:3], s[86:87], v2, 48, v[38:39]
	v_ashrrev_i32_e32 v3, 31, v2
	v_lshl_add_u64 v[2:3], v[2:3], 3, s[74:75]
	s_waitcnt lgkmcnt(0)
	v_cvt_f32_f16_e32 v8, v6
	v_cvt_f32_f16_sdwa v9, v6 dst_sel:DWORD dst_unused:UNUSED_PAD src0_sel:WORD_1
	v_cvt_f32_f16_e32 v6, v7
	v_cvt_f32_f16_sdwa v7, v7 dst_sel:DWORD dst_unused:UNUSED_PAD src0_sel:WORD_1
	v_pk_fma_f32 v[8:9], v[4:5], v[8:9], 0 op_sel_hi:[0,1,0]
	v_mov_b32_e32 v4, v5
	v_pk_fma_f32 v[4:5], v[4:5], v[6:7], v[8:9] op_sel_hi:[0,1,1]
	global_store_dwordx2 v[2:3], v[4:5], off
	v_mov_b32_e32 v2, 0
.LBB14_61:                              ;   in Loop: Header=BB14_12 Depth=1
	s_or_b64 exec, exec, s[10:11]
	s_movk_i32 s10, 0x47
	v_cmp_gt_i32_e64 s[10:11], s10, v2
	s_mov_b64 s[88:89], -1
	s_and_saveexec_b64 s[86:87], s[10:11]
; %bb.62:                               ;   in Loop: Header=BB14_12 Depth=1
	v_cmp_eq_u32_e64 s[10:11], 0, v2
	s_orn2_b64 s[88:89], s[10:11], exec
; %bb.63:                               ;   in Loop: Header=BB14_12 Depth=1
	s_or_b64 exec, exec, s[86:87]
	s_and_saveexec_b64 s[86:87], s[88:89]
	s_cbranch_execz .LBB14_96
; %bb.64:                               ;   in Loop: Header=BB14_12 Depth=1
	v_add_u32_e32 v3, s95, v114
	v_cmp_gt_i32_e64 s[10:11], s36, v3
	s_and_b64 s[88:89], s[10:11], vcc
	v_mov_b32_e32 v2, 0x47
	s_and_saveexec_b64 s[10:11], s[88:89]
	s_cbranch_execz .LBB14_66
; %bb.65:                               ;   in Loop: Header=BB14_12 Depth=1
	v_mad_u64_u32 v[2:3], s[88:89], v3, s37, v[78:79]
	v_add_u32_e32 v3, 0, v115
	v_add_u32_e32 v3, 0xc0, v3
	ds_read2st64_b32 v[4:5], v3 offset1:13
	v_add_u32_e32 v3, v136, v115
	ds_read2st64_b32 v[6:7], v3 offset1:13
	v_mad_u64_u32 v[2:3], s[88:89], v2, 48, v[38:39]
	v_ashrrev_i32_e32 v3, 31, v2
	v_lshl_add_u64 v[2:3], v[2:3], 3, s[74:75]
	s_waitcnt lgkmcnt(0)
	v_cvt_f32_f16_e32 v8, v6
	v_cvt_f32_f16_sdwa v9, v6 dst_sel:DWORD dst_unused:UNUSED_PAD src0_sel:WORD_1
	v_cvt_f32_f16_e32 v6, v7
	v_cvt_f32_f16_sdwa v7, v7 dst_sel:DWORD dst_unused:UNUSED_PAD src0_sel:WORD_1
	v_pk_fma_f32 v[8:9], v[4:5], v[8:9], 0 op_sel_hi:[0,1,0]
	v_mov_b32_e32 v4, v5
	v_pk_fma_f32 v[4:5], v[4:5], v[6:7], v[8:9] op_sel_hi:[0,1,1]
	global_store_dwordx2 v[2:3], v[4:5], off
	v_mov_b32_e32 v2, 0
.LBB14_66:                              ;   in Loop: Header=BB14_12 Depth=1
	s_or_b64 exec, exec, s[10:11]
	s_movk_i32 s10, 0x47
	v_cmp_gt_i32_e64 s[10:11], s10, v2
	s_mov_b64 s[88:89], -1
	s_and_saveexec_b64 s[90:91], s[10:11]
; %bb.67:                               ;   in Loop: Header=BB14_12 Depth=1
	v_cmp_eq_u32_e64 s[10:11], 0, v2
	s_orn2_b64 s[88:89], s[10:11], exec
; %bb.68:                               ;   in Loop: Header=BB14_12 Depth=1
	s_or_b64 exec, exec, s[90:91]
	s_and_b64 exec, exec, s[88:89]
	s_cbranch_execz .LBB14_96
; %bb.69:                               ;   in Loop: Header=BB14_12 Depth=1
	v_add_u32_e32 v3, s95, v116
	v_cmp_gt_i32_e64 s[10:11], s36, v3
	s_and_b64 s[88:89], s[10:11], vcc
	v_mov_b32_e32 v2, 0x47
	s_and_saveexec_b64 s[10:11], s[88:89]
	s_cbranch_execz .LBB14_71
; %bb.70:                               ;   in Loop: Header=BB14_12 Depth=1
	v_mad_u64_u32 v[2:3], s[88:89], v3, s37, v[78:79]
	v_add_u32_e32 v3, 0, v117
	v_add_u32_e32 v3, 0xc0, v3
	ds_read2st64_b32 v[4:5], v3 offset1:13
	v_add_u32_e32 v3, v136, v117
	ds_read2st64_b32 v[6:7], v3 offset1:13
	v_mad_u64_u32 v[2:3], s[88:89], v2, 48, v[38:39]
	v_ashrrev_i32_e32 v3, 31, v2
	v_lshl_add_u64 v[2:3], v[2:3], 3, s[74:75]
	s_waitcnt lgkmcnt(0)
	v_cvt_f32_f16_e32 v8, v6
	v_cvt_f32_f16_sdwa v9, v6 dst_sel:DWORD dst_unused:UNUSED_PAD src0_sel:WORD_1
	v_cvt_f32_f16_e32 v6, v7
	v_cvt_f32_f16_sdwa v7, v7 dst_sel:DWORD dst_unused:UNUSED_PAD src0_sel:WORD_1
	v_pk_fma_f32 v[8:9], v[4:5], v[8:9], 0 op_sel_hi:[0,1,0]
	v_mov_b32_e32 v4, v5
	v_pk_fma_f32 v[4:5], v[4:5], v[6:7], v[8:9] op_sel_hi:[0,1,1]
	global_store_dwordx2 v[2:3], v[4:5], off
	v_mov_b32_e32 v2, 0
.LBB14_71:                              ;   in Loop: Header=BB14_12 Depth=1
	s_or_b64 exec, exec, s[10:11]
	s_movk_i32 s10, 0x47
	v_cmp_gt_i32_e64 s[10:11], s10, v2
	s_mov_b64 s[88:89], -1
	s_and_saveexec_b64 s[90:91], s[10:11]
; %bb.72:                               ;   in Loop: Header=BB14_12 Depth=1
	v_cmp_eq_u32_e64 s[10:11], 0, v2
	s_orn2_b64 s[88:89], s[10:11], exec
; %bb.73:                               ;   in Loop: Header=BB14_12 Depth=1
	s_or_b64 exec, exec, s[90:91]
	s_and_b64 exec, exec, s[88:89]
	;; [unrolled: 40-line block ×6, first 2 shown]
	s_cbranch_execz .LBB14_96
; %bb.94:                               ;   in Loop: Header=BB14_12 Depth=1
	v_add_u32_e32 v2, s95, v126
	v_cmp_gt_i32_e64 s[10:11], s36, v2
	s_and_b64 s[10:11], s[10:11], vcc
	s_and_b64 exec, exec, s[10:11]
	s_cbranch_execz .LBB14_96
; %bb.95:                               ;   in Loop: Header=BB14_12 Depth=1
	v_mad_u64_u32 v[2:3], s[10:11], v2, s37, v[78:79]
	v_add_u32_e32 v3, 0, v127
	v_add_u32_e32 v3, 0xc0, v3
	ds_read2st64_b32 v[4:5], v3 offset1:13
	v_add_u32_e32 v3, v136, v127
	ds_read2st64_b32 v[6:7], v3 offset1:13
	v_mad_u64_u32 v[2:3], s[10:11], v2, 48, v[38:39]
	v_ashrrev_i32_e32 v3, 31, v2
	v_lshl_add_u64 v[2:3], v[2:3], 3, s[74:75]
	s_waitcnt lgkmcnt(0)
	v_cvt_f32_f16_e32 v8, v6
	v_cvt_f32_f16_sdwa v9, v6 dst_sel:DWORD dst_unused:UNUSED_PAD src0_sel:WORD_1
	v_cvt_f32_f16_e32 v6, v7
	v_cvt_f32_f16_sdwa v7, v7 dst_sel:DWORD dst_unused:UNUSED_PAD src0_sel:WORD_1
	v_pk_fma_f32 v[8:9], v[4:5], v[8:9], 0 op_sel_hi:[0,1,0]
	v_mov_b32_e32 v4, v5
	v_pk_fma_f32 v[4:5], v[4:5], v[6:7], v[8:9] op_sel_hi:[0,1,1]
	global_store_dwordx2 v[2:3], v[4:5], off
.LBB14_96:                              ;   in Loop: Header=BB14_12 Depth=1
	s_or_b64 exec, exec, s[86:87]
	v_add_u32_e32 v3, s95, v128
	v_cmp_gt_i32_e32 vcc, s36, v3
	s_and_b64 s[86:87], vcc, s[8:9]
	v_mov_b32_e32 v2, 0x47
	s_and_saveexec_b64 s[10:11], s[86:87]
	s_cbranch_execz .LBB14_98
; %bb.97:                               ;   in Loop: Header=BB14_12 Depth=1
	v_add_u32_e32 v4, v105, v129
	v_add_u32_e32 v4, 0x80, v4
	ds_read2st64_b32 v[4:5], v4 offset1:13
	v_mad_u64_u32 v[2:3], s[86:87], v3, s37, v[74:75]
	v_mul_lo_u32 v6, v2, 48
	v_add_u32_e32 v2, 0, v129
	v_add_u32_e32 v2, 0xc0, v2
	ds_read2st64_b32 v[2:3], v2 offset1:13
	s_waitcnt lgkmcnt(1)
	v_cvt_f32_f16_e32 v8, v4
	v_cvt_f32_f16_sdwa v9, v4 dst_sel:DWORD dst_unused:UNUSED_PAD src0_sel:WORD_1
	v_cvt_f32_f16_e32 v4, v5
	v_cvt_f32_f16_sdwa v5, v5 dst_sel:DWORD dst_unused:UNUSED_PAD src0_sel:WORD_1
	v_ashrrev_i32_e32 v7, 31, v6
	v_or_b32_e32 v6, v6, v40
	s_waitcnt lgkmcnt(0)
	v_pk_fma_f32 v[8:9], v[2:3], v[8:9], 0 op_sel_hi:[0,1,0]
	v_mov_b32_e32 v2, v3
	v_lshl_add_u64 v[6:7], v[6:7], 3, s[74:75]
	v_pk_fma_f32 v[2:3], v[2:3], v[4:5], v[8:9] op_sel_hi:[0,1,1]
	global_store_dwordx2 v[6:7], v[2:3], off offset:256
	v_mov_b32_e32 v2, 0
.LBB14_98:                              ;   in Loop: Header=BB14_12 Depth=1
	s_or_b64 exec, exec, s[10:11]
	s_movk_i32 s10, 0x47
	v_cmp_gt_i32_e32 vcc, s10, v2
	s_mov_b64 s[10:11], -1
	s_and_saveexec_b64 s[86:87], vcc
; %bb.99:                               ;   in Loop: Header=BB14_12 Depth=1
	v_cmp_eq_u32_e32 vcc, 0, v2
	s_orn2_b64 s[10:11], vcc, exec
; %bb.100:                              ;   in Loop: Header=BB14_12 Depth=1
	s_or_b64 exec, exec, s[86:87]
	s_and_b64 exec, exec, s[10:11]
	s_cbranch_execz .LBB14_113
; %bb.101:                              ;   in Loop: Header=BB14_12 Depth=1
	v_add_u32_e32 v3, s95, v130
	v_cmp_gt_i32_e32 vcc, s36, v3
	s_and_b64 s[86:87], vcc, s[8:9]
	v_mov_b32_e32 v2, 0x47
	s_and_saveexec_b64 s[10:11], s[86:87]
	s_cbranch_execz .LBB14_103
; %bb.102:                              ;   in Loop: Header=BB14_12 Depth=1
	v_add_u32_e32 v4, v105, v131
	v_add_u32_e32 v4, 0x80, v4
	ds_read2st64_b32 v[4:5], v4 offset1:13
	v_mad_u64_u32 v[2:3], s[86:87], v3, s37, v[74:75]
	v_mul_lo_u32 v6, v2, 48
	v_add_u32_e32 v2, 0, v131
	v_add_u32_e32 v2, 0xc0, v2
	ds_read2st64_b32 v[2:3], v2 offset1:13
	s_waitcnt lgkmcnt(1)
	v_cvt_f32_f16_e32 v8, v4
	v_cvt_f32_f16_sdwa v9, v4 dst_sel:DWORD dst_unused:UNUSED_PAD src0_sel:WORD_1
	v_cvt_f32_f16_e32 v4, v5
	v_cvt_f32_f16_sdwa v5, v5 dst_sel:DWORD dst_unused:UNUSED_PAD src0_sel:WORD_1
	v_ashrrev_i32_e32 v7, 31, v6
	v_or_b32_e32 v6, v6, v40
	s_waitcnt lgkmcnt(0)
	v_pk_fma_f32 v[8:9], v[2:3], v[8:9], 0 op_sel_hi:[0,1,0]
	v_mov_b32_e32 v2, v3
	v_lshl_add_u64 v[6:7], v[6:7], 3, s[74:75]
	v_pk_fma_f32 v[2:3], v[2:3], v[4:5], v[8:9] op_sel_hi:[0,1,1]
	global_store_dwordx2 v[6:7], v[2:3], off offset:256
	v_mov_b32_e32 v2, 0
.LBB14_103:                             ;   in Loop: Header=BB14_12 Depth=1
	s_or_b64 exec, exec, s[10:11]
	s_movk_i32 s10, 0x47
	v_cmp_gt_i32_e32 vcc, s10, v2
	s_mov_b64 s[10:11], -1
	s_and_saveexec_b64 s[86:87], vcc
; %bb.104:                              ;   in Loop: Header=BB14_12 Depth=1
	v_cmp_eq_u32_e32 vcc, 0, v2
	s_orn2_b64 s[10:11], vcc, exec
; %bb.105:                              ;   in Loop: Header=BB14_12 Depth=1
	s_or_b64 exec, exec, s[86:87]
	s_and_b64 exec, exec, s[10:11]
	s_cbranch_execz .LBB14_113
; %bb.106:                              ;   in Loop: Header=BB14_12 Depth=1
	v_add_u32_e32 v3, s95, v132
	v_cmp_gt_i32_e32 vcc, s36, v3
	s_and_b64 s[86:87], vcc, s[8:9]
	v_mov_b32_e32 v2, 0x47
	s_and_saveexec_b64 s[10:11], s[86:87]
	s_cbranch_execz .LBB14_108
; %bb.107:                              ;   in Loop: Header=BB14_12 Depth=1
	v_add_u32_e32 v4, v105, v133
	v_add_u32_e32 v4, 0x80, v4
	ds_read2st64_b32 v[4:5], v4 offset1:13
	v_mad_u64_u32 v[2:3], s[86:87], v3, s37, v[74:75]
	v_mul_lo_u32 v6, v2, 48
	v_add_u32_e32 v2, 0, v133
	v_add_u32_e32 v2, 0xc0, v2
	ds_read2st64_b32 v[2:3], v2 offset1:13
	s_waitcnt lgkmcnt(1)
	v_cvt_f32_f16_e32 v8, v4
	v_cvt_f32_f16_sdwa v9, v4 dst_sel:DWORD dst_unused:UNUSED_PAD src0_sel:WORD_1
	v_cvt_f32_f16_e32 v4, v5
	v_cvt_f32_f16_sdwa v5, v5 dst_sel:DWORD dst_unused:UNUSED_PAD src0_sel:WORD_1
	v_ashrrev_i32_e32 v7, 31, v6
	v_or_b32_e32 v6, v6, v40
	s_waitcnt lgkmcnt(0)
	v_pk_fma_f32 v[8:9], v[2:3], v[8:9], 0 op_sel_hi:[0,1,0]
	v_mov_b32_e32 v2, v3
	v_lshl_add_u64 v[6:7], v[6:7], 3, s[74:75]
	v_pk_fma_f32 v[2:3], v[2:3], v[4:5], v[8:9] op_sel_hi:[0,1,1]
	global_store_dwordx2 v[6:7], v[2:3], off offset:256
	v_mov_b32_e32 v2, 0
.LBB14_108:                             ;   in Loop: Header=BB14_12 Depth=1
	s_or_b64 exec, exec, s[10:11]
	s_movk_i32 s10, 0x47
	v_cmp_gt_i32_e32 vcc, s10, v2
	s_mov_b64 s[10:11], -1
	s_and_saveexec_b64 s[86:87], vcc
; %bb.109:                              ;   in Loop: Header=BB14_12 Depth=1
	v_cmp_eq_u32_e32 vcc, 0, v2
	s_orn2_b64 s[10:11], vcc, exec
; %bb.110:                              ;   in Loop: Header=BB14_12 Depth=1
	s_or_b64 exec, exec, s[86:87]
	s_and_b64 exec, exec, s[10:11]
	s_cbranch_execz .LBB14_113
; %bb.111:                              ;   in Loop: Header=BB14_12 Depth=1
	v_add_u32_e32 v2, s95, v134
	v_cmp_gt_i32_e32 vcc, s36, v2
	s_and_b64 s[8:9], vcc, s[8:9]
	s_and_b64 exec, exec, s[8:9]
	s_cbranch_execz .LBB14_113
; %bb.112:                              ;   in Loop: Header=BB14_12 Depth=1
	v_add_u32_e32 v4, v105, v135
	v_add_u32_e32 v4, 0x80, v4
	ds_read2st64_b32 v[4:5], v4 offset1:13
	v_mad_u64_u32 v[2:3], s[8:9], v2, s37, v[74:75]
	v_mul_lo_u32 v6, v2, 48
	v_add_u32_e32 v2, 0, v135
	v_add_u32_e32 v2, 0xc0, v2
	ds_read2st64_b32 v[2:3], v2 offset1:13
	s_waitcnt lgkmcnt(1)
	v_cvt_f32_f16_e32 v8, v4
	v_cvt_f32_f16_sdwa v9, v4 dst_sel:DWORD dst_unused:UNUSED_PAD src0_sel:WORD_1
	v_cvt_f32_f16_e32 v4, v5
	v_cvt_f32_f16_sdwa v5, v5 dst_sel:DWORD dst_unused:UNUSED_PAD src0_sel:WORD_1
	v_ashrrev_i32_e32 v7, 31, v6
	v_or_b32_e32 v6, v6, v40
	s_waitcnt lgkmcnt(0)
	v_pk_fma_f32 v[8:9], v[2:3], v[8:9], 0 op_sel_hi:[0,1,0]
	v_mov_b32_e32 v2, v3
	v_lshl_add_u64 v[6:7], v[6:7], 3, s[74:75]
	v_pk_fma_f32 v[2:3], v[2:3], v[4:5], v[8:9] op_sel_hi:[0,1,1]
	global_store_dwordx2 v[6:7], v[2:3], off offset:256
.LBB14_113:                             ;   in Loop: Header=BB14_12 Depth=1
	s_or_b64 exec, exec, s[84:85]
	s_barrier
	s_branch .LBB14_11
.LBB14_114:                             ;   in Loop: Header=BB14_12 Depth=1
	s_lshl_b32 s84, s94, 3
	v_add_u32_e32 v2, s84, v141
	v_cmp_le_i32_e64 s[8:9], s36, v2
	v_cmp_le_i32_e64 s[10:11], s3, v81
	v_cmp_gt_i32_e32 vcc, s3, v81
	s_or_b64 s[8:9], s[8:9], s[10:11]
	s_and_saveexec_b64 s[10:11], s[8:9]
	s_xor_b64 s[8:9], exec, s[10:11]
; %bb.115:                              ;   in Loop: Header=BB14_12 Depth=1
	v_add_u32_e32 v2, v136, v143
	ds_write_b32 v2, v49
                                        ; implicit-def: $vgpr2
; %bb.116:                              ;   in Loop: Header=BB14_12 Depth=1
	s_andn2_saveexec_b64 s[8:9], s[8:9]
	s_cbranch_execz .LBB14_118
; %bb.117:                              ;   in Loop: Header=BB14_12 Depth=1
	v_mad_u64_u32 v[2:3], s[10:11], v2, s55, v[80:81]
	v_ashrrev_i32_e32 v3, 31, v2
	v_lshl_add_u64 v[2:3], v[2:3], 3, s[82:83]
	global_load_dwordx2 v[2:3], v[2:3], off
	s_waitcnt vmcnt(0)
	v_cvt_pk_f16_f32 v2, v2, v3
	v_pk_mul_f16 v2, v2, v137
	v_add_u32_e32 v3, v136, v143
	ds_write_b32 v3, v2
.LBB14_118:                             ;   in Loop: Header=BB14_12 Depth=1
	s_or_b64 exec, exec, s[8:9]
	v_add_u32_e32 v2, s84, v102
	v_cmp_le_i32_e64 s[8:9], s36, v2
	s_xor_b64 s[10:11], vcc, -1
	s_or_b64 s[8:9], s[8:9], s[10:11]
	s_and_saveexec_b64 s[86:87], s[8:9]
	s_xor_b64 s[8:9], exec, s[86:87]
; %bb.119:                              ;   in Loop: Header=BB14_12 Depth=1
	v_add_u32_e32 v2, v136, v143
	ds_write_b32 v2, v49 offset:1664
                                        ; implicit-def: $vgpr2
; %bb.120:                              ;   in Loop: Header=BB14_12 Depth=1
	s_andn2_saveexec_b64 s[8:9], s[8:9]
	s_cbranch_execz .LBB14_122
; %bb.121:                              ;   in Loop: Header=BB14_12 Depth=1
	v_mad_u64_u32 v[2:3], s[86:87], v2, s55, v[80:81]
	v_ashrrev_i32_e32 v3, 31, v2
	v_lshl_add_u64 v[2:3], v[2:3], 3, s[82:83]
	global_load_dwordx2 v[2:3], v[2:3], off
	s_waitcnt vmcnt(0)
	v_cvt_pk_f16_f32 v2, v2, v3
	v_pk_mul_f16 v2, v2, v137
	v_add_u32_e32 v3, v136, v143
	ds_write_b32 v3, v2 offset:1664
.LBB14_122:                             ;   in Loop: Header=BB14_12 Depth=1
	s_or_b64 exec, exec, s[8:9]
	v_add_u32_e32 v2, s84, v103
	v_cmp_le_i32_e32 vcc, s36, v2
	s_or_b64 s[8:9], vcc, s[10:11]
	s_and_saveexec_b64 s[86:87], s[8:9]
	s_xor_b64 s[8:9], exec, s[86:87]
; %bb.123:                              ;   in Loop: Header=BB14_12 Depth=1
	v_add_u32_e32 v2, v136, v143
	ds_write_b32 v2, v49 offset:3328
                                        ; implicit-def: $vgpr2
; %bb.124:                              ;   in Loop: Header=BB14_12 Depth=1
	s_andn2_saveexec_b64 s[8:9], s[8:9]
	s_cbranch_execz .LBB14_126
; %bb.125:                              ;   in Loop: Header=BB14_12 Depth=1
	v_mad_u64_u32 v[2:3], s[86:87], v2, s55, v[80:81]
	v_ashrrev_i32_e32 v3, 31, v2
	v_lshl_add_u64 v[2:3], v[2:3], 3, s[82:83]
	global_load_dwordx2 v[2:3], v[2:3], off
	s_waitcnt vmcnt(0)
	v_cvt_pk_f16_f32 v2, v2, v3
	v_pk_mul_f16 v2, v2, v137
	v_add_u32_e32 v3, v136, v143
	ds_write_b32 v3, v2 offset:3328
.LBB14_126:                             ;   in Loop: Header=BB14_12 Depth=1
	s_or_b64 exec, exec, s[8:9]
	v_add_u32_e32 v2, s84, v104
	v_cmp_le_i32_e32 vcc, s36, v2
	s_or_b64 s[8:9], vcc, s[10:11]
	s_and_saveexec_b64 s[10:11], s[8:9]
	s_xor_b64 s[8:9], exec, s[10:11]
; %bb.127:                              ;   in Loop: Header=BB14_12 Depth=1
	v_add_u32_e32 v2, v136, v143
	ds_write_b32 v2, v49 offset:4992
                                        ; implicit-def: $vgpr2
; %bb.128:                              ;   in Loop: Header=BB14_12 Depth=1
	s_andn2_saveexec_b64 s[8:9], s[8:9]
	s_cbranch_execz .LBB14_130
; %bb.129:                              ;   in Loop: Header=BB14_12 Depth=1
	v_mad_u64_u32 v[2:3], s[10:11], v2, s55, v[80:81]
	v_ashrrev_i32_e32 v3, 31, v2
	v_lshl_add_u64 v[2:3], v[2:3], 3, s[82:83]
	global_load_dwordx2 v[2:3], v[2:3], off
	s_waitcnt vmcnt(0)
	v_cvt_pk_f16_f32 v2, v2, v3
	v_pk_mul_f16 v2, v2, v137
	v_add_u32_e32 v3, v136, v143
	ds_write_b32 v3, v2 offset:4992
.LBB14_130:                             ;   in Loop: Header=BB14_12 Depth=1
	s_or_b64 exec, exec, s[8:9]
	v_or_b32_e32 v2, s59, v74
	v_cmp_gt_i32_e64 s[8:9], s3, v2
	v_cmp_le_i32_e32 vcc, s3, v2
	v_add_u32_e32 v2, s84, v106
	v_cmp_le_i32_e64 s[10:11], s36, v2
	s_or_b64 s[10:11], s[10:11], vcc
	s_and_saveexec_b64 s[86:87], s[10:11]
	s_xor_b64 s[10:11], exec, s[86:87]
; %bb.131:                              ;   in Loop: Header=BB14_12 Depth=1
	ds_write_b32 v108, v49 offset:128
                                        ; implicit-def: $vgpr2
; %bb.132:                              ;   in Loop: Header=BB14_12 Depth=1
	s_andn2_saveexec_b64 s[10:11], s[10:11]
	s_cbranch_execz .LBB14_134
; %bb.133:                              ;   in Loop: Header=BB14_12 Depth=1
	v_mad_u64_u32 v[2:3], s[86:87], v2, s55, v[76:77]
	v_ashrrev_i32_e32 v3, 31, v2
	v_lshl_add_u64 v[2:3], v[2:3], 3, s[82:83]
	global_load_dwordx2 v[2:3], v[2:3], off
	s_waitcnt vmcnt(0)
	v_cvt_pk_f16_f32 v2, v2, v3
	v_pk_mul_f16 v2, v2, v137
	v_add_u32_e32 v3, v105, v107
	ds_write_b32 v3, v2 offset:128
.LBB14_134:                             ;   in Loop: Header=BB14_12 Depth=1
	s_or_b64 exec, exec, s[10:11]
	v_add_u32_e32 v2, s84, v109
	v_cmp_le_i32_e32 vcc, s36, v2
	s_xor_b64 s[10:11], s[8:9], -1
	s_or_b64 s[10:11], vcc, s[10:11]
	s_and_saveexec_b64 s[86:87], s[10:11]
	s_xor_b64 s[10:11], exec, s[86:87]
; %bb.135:                              ;   in Loop: Header=BB14_12 Depth=1
	ds_write_b32 v144, v49 offset:128
                                        ; implicit-def: $vgpr2
; %bb.136:                              ;   in Loop: Header=BB14_12 Depth=1
	s_andn2_saveexec_b64 s[10:11], s[10:11]
	s_cbranch_execz .LBB14_138
; %bb.137:                              ;   in Loop: Header=BB14_12 Depth=1
	v_mad_u64_u32 v[2:3], s[86:87], v2, s55, v[76:77]
	v_ashrrev_i32_e32 v3, 31, v2
	v_lshl_add_u64 v[2:3], v[2:3], 3, s[82:83]
	global_load_dwordx2 v[2:3], v[2:3], off
	s_waitcnt vmcnt(0)
	v_cvt_pk_f16_f32 v2, v2, v3
	v_pk_mul_f16 v2, v2, v137
	v_add_u32_e32 v3, v105, v107
	ds_write_b32 v3, v2 offset:3456
.LBB14_138:                             ;   in Loop: Header=BB14_12 Depth=1
	s_or_b64 exec, exec, s[10:11]
	s_waitcnt lgkmcnt(0)
	s_barrier
	ds_read2_b64 v[10:13], v43 offset1:4
	ds_read2_b64 v[6:9], v43 offset0:8 offset1:12
	ds_read2_b64 v[2:5], v43 offset0:16 offset1:20
	s_cmp_gt_i32 s7, 1
	s_mov_b64 s[10:11], -1
	s_waitcnt lgkmcnt(0)
	s_barrier
                                        ; implicit-def: $vgpr30
                                        ; implicit-def: $vgpr31
                                        ; implicit-def: $vgpr33
                                        ; implicit-def: $vgpr32
	s_cbranch_scc1 .LBB14_140
; %bb.139:                              ;   in Loop: Header=BB14_12 Depth=1
	v_mbcnt_hi_u32_b32 v30, -1, v145
	v_and_b32_e32 v14, 64, v30
	v_add_u32_e32 v31, 64, v14
	v_xor_b32_e32 v33, 32, v30
	v_xor_b32_e32 v32, 16, v30
	s_mov_b64 s[10:11], 0
.LBB14_140:                             ;   in Loop: Header=BB14_12 Depth=1
	v_add_u32_e32 v14, s84, v41
	v_mul_hi_u32 v15, s44, v14
	v_add_u32_e32 v15, v14, v15
	v_lshrrev_b32_e32 v15, s45, v15
	v_mul_lo_u32 v15, v15, s36
	s_andn2_b64 vcc, exec, s[10:11]
	v_sub_u32_e32 v48, v14, v15
	s_cbranch_vccnz .LBB14_144
; %bb.141:                              ;   in Loop: Header=BB14_12 Depth=1
	v_mbcnt_hi_u32_b32 v30, -1, v145
	v_and_b32_e32 v14, 64, v30
	v_add_u32_e32 v31, 64, v14
	v_xor_b32_e32 v33, 32, v30
	v_cmp_lt_i32_e32 vcc, v33, v31
	v_xor_b32_e32 v32, 16, v30
	v_readlane_b32 s10, v178, 26
	v_cndmask_b32_e32 v14, v30, v33, vcc
	v_cmp_lt_i32_e32 vcc, v32, v31
	v_lshlrev_b32_e32 v151, 2, v14
	v_readlane_b32 s11, v178, 27
	v_cndmask_b32_e32 v14, v30, v32, vcc
	v_lshlrev_b32_e32 v152, 2, v14
	v_mov_b64_e32 v[14:15], s[80:81]
	s_add_i32 s7, s7, -1
	v_mad_i64_i32 v[14:15], s[10:11], s10, v48, v[14:15]
	s_add_u32 s10, s12, s13
	s_addc_u32 s11, s60, s93
	v_lshl_add_u64 v[16:17], v[68:69], 0, s[10:11]
	v_lshl_add_u64 v[18:19], v[82:83], 0, s[10:11]
	;; [unrolled: 1-line block ×3, first 2 shown]
	s_add_u32 s10, s42, s65
	s_addc_u32 s11, s92, s51
	v_lshl_add_u64 v[14:15], v[62:63], 0, v[14:15]
	v_lshl_add_u64 v[22:23], v[72:73], 0, s[10:11]
	;; [unrolled: 1-line block ×4, first 2 shown]
	v_mov_b32_e32 v34, 0
	v_mov_b32_e32 v28, 0xfeffffff
	v_mov_b32_e32 v29, 0
	s_mov_b32 s10, s7
	v_mov_b32_e32 v35, 0
	v_mov_b32_e32 v92, 0
	;; [unrolled: 1-line block ×11, first 2 shown]
.LBB14_142:                             ;   Parent Loop BB14_12 Depth=1
                                        ; =>  This Inner Loop Header: Depth=2
	v_mov_b32_e32 v166, v28
	global_load_dword v28, v[14:15], off
	global_load_dwordx4 v[154:157], v[22:23], off
	v_mov_b32_e32 v167, v29
	v_lshl_add_u64 v[158:159], v[26:27], 0, v[70:71]
	s_add_i32 s10, s10, -1
	v_lshl_add_u64 v[14:15], v[14:15], 0, s[68:69]
	v_lshl_add_u64 v[22:23], v[22:23], 0, s[72:73]
	;; [unrolled: 1-line block ×3, first 2 shown]
	s_cmp_lg_u32 s10, 0
	s_waitcnt vmcnt(1)
	ds_write_b32 v45, v28 offset:13312
	v_lshl_add_u64 v[28:29], v[24:25], 0, v[70:71]
	s_waitcnt vmcnt(0)
	ds_write_b128 v77, v[154:157]
	global_load_dwordx4 v[154:157], v[28:29], off
	v_add_u32_e32 v28, v139, v98
	v_lshl_add_u64 v[24:25], v[24:25], 0, s[72:73]
	s_waitcnt vmcnt(0)
	ds_write_b128 v79, v[154:157]
	global_load_dwordx4 v[154:157], v[158:159], off
	s_waitcnt vmcnt(0)
	ds_write_b128 v138, v[154:157]
	s_waitcnt lgkmcnt(0)
	s_barrier
	ds_read2_b64 v[154:157], v28 offset1:4
	s_waitcnt lgkmcnt(0)
	v_mfma_f32_16x16x16_f16 v[158:161], v[154:155], v[10:11], 0
	v_mfma_f32_16x16x16_f16 v[154:157], v[156:157], v[12:13], v[158:161]
	s_nop 6
	ds_read2_b64 v[158:161], v28 offset0:8 offset1:12
	s_waitcnt lgkmcnt(0)
	v_mfma_f32_16x16x16_f16 v[154:157], v[158:159], v[6:7], v[154:157]
	v_mfma_f32_16x16x16_f16 v[154:157], v[160:161], v[8:9], v[154:157]
	ds_read2_b64 v[158:161], v28 offset0:16 offset1:20
	v_add_u32_e32 v28, 0x1800, v28
	s_waitcnt lgkmcnt(0)
	v_mfma_f32_16x16x16_f16 v[154:157], v[158:159], v[2:3], v[154:157]
	v_mfma_f32_16x16x16_f16 v[154:157], v[160:161], v[4:5], v[154:157]
	ds_read2_b64 v[158:161], v28 offset0:64 offset1:68
	s_waitcnt lgkmcnt(0)
	v_mfma_f32_16x16x16_f16 v[162:165], v[158:159], v[10:11], 0
	v_mfma_f32_16x16x16_f16 v[158:161], v[160:161], v[12:13], v[162:165]
	s_nop 6
	ds_read2_b64 v[162:165], v28 offset0:72 offset1:76
	s_waitcnt lgkmcnt(0)
	v_mfma_f32_16x16x16_f16 v[158:161], v[162:163], v[6:7], v[158:161]
	v_mfma_f32_16x16x16_f16 v[158:161], v[164:165], v[8:9], v[158:161]
	ds_read2_b64 v[162:165], v28 offset0:80 offset1:84
	v_add_u32_e32 v28, 0x3400, v94
	s_waitcnt lgkmcnt(0)
	s_barrier
	ds_read2_b32 v[28:29], v28 offset1:1
	v_mfma_f32_16x16x16_f16 v[158:161], v[162:163], v[2:3], v[158:161]
	s_waitcnt lgkmcnt(0)
	v_cvt_f32_f16_e32 v153, v28
	v_cvt_f32_f16_sdwa v28, v28 dst_sel:DWORD dst_unused:UNUSED_PAD src0_sel:WORD_1
	v_add_f32_e32 v153, v154, v153
	v_add_f32_e32 v154, v155, v28
	v_cvt_f32_f16_e32 v28, v29
	v_mfma_f32_16x16x16_f16 v[158:161], v[164:165], v[4:5], v[158:161]
	v_cvt_f32_f16_sdwa v29, v29 dst_sel:DWORD dst_unused:UNUSED_PAD src0_sel:WORD_1
	v_add_f32_e32 v155, v156, v28
	ds_read_b32 v28, v100 offset:13312
	v_add_f32_e32 v29, v157, v29
	s_waitcnt lgkmcnt(0)
	v_cvt_f32_f16_e32 v156, v28
	v_cvt_f32_f16_sdwa v28, v28 dst_sel:DWORD dst_unused:UNUSED_PAD src0_sel:WORD_1
	s_nop 0
	v_add_f32_e32 v156, v158, v156
	v_add_f32_e32 v158, v159, v28
	ds_read_b32 v28, v101 offset:13312
	s_waitcnt lgkmcnt(0)
	v_cvt_f32_f16_e32 v157, v28
	v_cvt_f32_f16_sdwa v28, v28 dst_sel:DWORD dst_unused:UNUSED_PAD src0_sel:WORD_1
	v_add_f32_e32 v159, v160, v157
	v_add_f32_e32 v160, v161, v28
	;; [unrolled: 1-line block ×4, first 2 shown]
	v_max3_f32 v28, v166, v28, v157
	v_add_f32_e32 v157, 0x40051340, v155
	v_add_f32_e32 v161, 0x40051340, v29
	v_max3_f32 v28, v28, v157, v161
	v_add_f32_e32 v157, 0x40051340, v156
	v_add_f32_e32 v161, 0x40051340, v158
	;; [unrolled: 3-line block ×3, first 2 shown]
	v_max3_f32 v28, v28, v157, v161
	ds_bpermute_b32 v157, v151, v28
	s_waitcnt lgkmcnt(0)
	v_max_f32_e32 v157, v157, v157
	v_max_f32_e32 v28, v28, v157
	ds_bpermute_b32 v157, v152, v28
	s_waitcnt lgkmcnt(0)
	v_max_f32_e32 v157, v157, v157
	v_max_f32_e32 v28, v28, v157
	v_sub_f32_e32 v153, v153, v28
	v_mul_f32_e32 v157, 0x3fb8aa3b, v153
	v_fma_f32 v161, v153, s15, -v157
	v_rndne_f32_e32 v162, v157
	v_fmac_f32_e32 v161, 0x32a5705f, v153
	v_sub_f32_e32 v157, v157, v162
	v_add_f32_e32 v157, v157, v161
	v_exp_f32_e32 v157, v157
	v_cvt_i32_f32_e32 v161, v162
	v_cmp_ngt_f32_e32 vcc, s2, v153
	v_sub_f32_e32 v154, v154, v28
	v_sub_f32_e32 v155, v155, v28
	v_ldexp_f32 v157, v157, v161
	v_cndmask_b32_e32 v157, 0, v157, vcc
	v_cmp_nlt_f32_e32 vcc, s62, v153
	v_sub_f32_e32 v29, v29, v28
	v_sub_f32_e32 v156, v156, v28
	v_cndmask_b32_e32 v153, v147, v157, vcc
	v_mul_f32_e32 v157, 0x3fb8aa3b, v154
	v_fma_f32 v161, v154, s15, -v157
	v_rndne_f32_e32 v162, v157
	v_fmac_f32_e32 v161, 0x32a5705f, v154
	v_sub_f32_e32 v157, v157, v162
	v_add_f32_e32 v157, v157, v161
	v_exp_f32_e32 v157, v157
	v_cvt_i32_f32_e32 v161, v162
	v_cmp_ngt_f32_e32 vcc, s2, v154
	v_sub_f32_e32 v158, v158, v28
	v_sub_f32_e32 v159, v159, v28
	v_ldexp_f32 v157, v157, v161
	v_mul_f32_e32 v161, 0x3fb8aa3b, v155
	v_fma_f32 v162, v155, s15, -v161
	v_rndne_f32_e32 v163, v161
	v_fmac_f32_e32 v162, 0x32a5705f, v155
	v_sub_f32_e32 v161, v161, v163
	v_add_f32_e32 v161, v161, v162
	v_exp_f32_e32 v161, v161
	v_cvt_i32_f32_e32 v162, v163
	v_cndmask_b32_e32 v157, 0, v157, vcc
	v_cmp_nlt_f32_e32 vcc, s62, v154
	v_sub_f32_e32 v160, v160, v28
	v_ldexp_f32 v161, v161, v162
	v_cndmask_b32_e32 v154, v147, v157, vcc
	v_cmp_ngt_f32_e32 vcc, s2, v155
	v_add_f32_e32 v157, v153, v154
	v_cvt_pk_f16_f32 v174, v153, v154
	v_cndmask_b32_e32 v161, 0, v161, vcc
	v_cmp_nlt_f32_e32 vcc, s62, v155
	s_nop 1
	v_cndmask_b32_e32 v155, v147, v161, vcc
	v_add_f32_e32 v161, v155, v157
	v_mul_f32_e32 v157, 0x3fb8aa3b, v29
	v_fma_f32 v162, v29, s15, -v157
	v_rndne_f32_e32 v163, v157
	v_fmac_f32_e32 v162, 0x32a5705f, v29
	v_sub_f32_e32 v157, v157, v163
	v_add_f32_e32 v157, v157, v162
	v_exp_f32_e32 v157, v157
	v_cvt_i32_f32_e32 v162, v163
	v_cmp_ngt_f32_e32 vcc, s2, v29
	v_ldexp_f32 v157, v157, v162
	s_nop 0
	v_cndmask_b32_e32 v157, 0, v157, vcc
	v_cmp_nlt_f32_e32 vcc, s62, v29
	s_nop 1
	v_cndmask_b32_e32 v157, v147, v157, vcc
	v_add_f32_e32 v29, v157, v161
	v_mul_f32_e32 v161, 0x3fb8aa3b, v156
	v_fma_f32 v162, v156, s15, -v161
	v_rndne_f32_e32 v163, v161
	v_fmac_f32_e32 v162, 0x32a5705f, v156
	v_sub_f32_e32 v161, v161, v163
	v_add_f32_e32 v161, v161, v162
	v_exp_f32_e32 v161, v161
	v_cvt_i32_f32_e32 v162, v163
	v_cmp_ngt_f32_e32 vcc, s2, v156
	v_cvt_pk_f16_f32 v175, v155, v157
	v_ldexp_f32 v161, v161, v162
	v_cndmask_b32_e32 v161, 0, v161, vcc
	v_cmp_nlt_f32_e32 vcc, s62, v156
	s_nop 1
	v_cndmask_b32_e32 v156, v147, v161, vcc
	v_mul_f32_e32 v161, 0x3fb8aa3b, v158
	v_fma_f32 v162, v158, s15, -v161
	v_rndne_f32_e32 v163, v161
	v_fmac_f32_e32 v162, 0x32a5705f, v158
	v_sub_f32_e32 v161, v161, v163
	v_add_f32_e32 v161, v161, v162
	v_exp_f32_e32 v161, v161
	v_cvt_i32_f32_e32 v162, v163
	v_cmp_ngt_f32_e32 vcc, s2, v158
	v_add_f32_e32 v29, v156, v29
	v_ldexp_f32 v161, v161, v162
	v_cndmask_b32_e32 v161, 0, v161, vcc
	v_cmp_nlt_f32_e32 vcc, s62, v158
	s_nop 1
	v_cndmask_b32_e32 v158, v147, v161, vcc
	v_mul_f32_e32 v161, 0x3fb8aa3b, v159
	v_fma_f32 v162, v159, s15, -v161
	v_rndne_f32_e32 v163, v161
	v_fmac_f32_e32 v162, 0x32a5705f, v159
	v_sub_f32_e32 v161, v161, v163
	v_add_f32_e32 v161, v161, v162
	v_exp_f32_e32 v161, v161
	v_cvt_i32_f32_e32 v162, v163
	v_cmp_ngt_f32_e32 vcc, s2, v159
	v_add_f32_e32 v29, v158, v29
	v_cvt_pk_f16_f32 v176, v156, v158
	v_ldexp_f32 v161, v161, v162
	v_cndmask_b32_e32 v161, 0, v161, vcc
	v_cmp_nlt_f32_e32 vcc, s62, v159
	s_nop 1
	v_cndmask_b32_e32 v159, v147, v161, vcc
	v_mul_f32_e32 v161, 0x3fb8aa3b, v160
	v_fma_f32 v162, v160, s15, -v161
	v_rndne_f32_e32 v163, v161
	v_fmac_f32_e32 v162, 0x32a5705f, v160
	v_sub_f32_e32 v161, v161, v163
	v_add_f32_e32 v161, v161, v162
	v_exp_f32_e32 v161, v161
	v_cvt_i32_f32_e32 v162, v163
	v_cmp_ngt_f32_e32 vcc, s2, v160
	v_add_f32_e32 v29, v159, v29
	v_ldexp_f32 v161, v161, v162
	v_cndmask_b32_e32 v161, 0, v161, vcc
	v_cmp_nlt_f32_e32 vcc, s62, v160
	s_nop 1
	v_cndmask_b32_e32 v160, v147, v161, vcc
	v_sub_f32_e32 v161, v166, v28
	v_mul_f32_e32 v162, 0x3fb8aa3b, v161
	v_fma_f32 v163, v161, s15, -v162
	v_rndne_f32_e32 v164, v162
	v_fmac_f32_e32 v163, 0x32a5705f, v161
	v_sub_f32_e32 v162, v162, v164
	v_add_f32_e32 v162, v162, v163
	v_exp_f32_e32 v162, v162
	v_cvt_i32_f32_e32 v163, v164
	v_cmp_ngt_f32_e32 vcc, s2, v161
	v_add_f32_e32 v29, v160, v29
	v_cvt_pk_f16_f32 v177, v159, v160
	v_ldexp_f32 v162, v162, v163
	v_cndmask_b32_e32 v162, 0, v162, vcc
	v_cmp_nlt_f32_e32 vcc, s62, v161
	s_nop 1
	v_cndmask_b32_e32 v162, v147, v162, vcc
	v_cmp_le_f32_e32 vcc, s63, v161
	s_nop 1
	v_cndmask_b32_e32 v161, 0, v162, vcc
	v_fmac_f32_e32 v29, v167, v161
	global_load_dwordx4 v[164:167], v[16:17], off
	v_cvt_f16_f32_e32 v161, v161
	v_lshl_add_u64 v[16:17], v[16:17], 0, s[70:71]
	v_mul_u32_u24_e32 v163, 0x10001, v161
	v_pk_mul_f16 v162, v150, v163
	v_pk_mul_f16 v161, v149, v163
	;; [unrolled: 1-line block ×10, first 2 shown]
	v_lshl_add_u64 v[36:37], v[18:19], 0, v[70:71]
	v_pk_mul_f16 v90, v90, v163
	v_pk_mul_f16 v81, v81, v163
	v_cvt_f32_f16_e32 v158, v150
	v_cvt_f32_f16_sdwa v159, v150 dst_sel:DWORD dst_unused:UNUSED_PAD src0_sel:WORD_1
	v_cvt_f32_f16_e32 v160, v149
	v_cvt_f32_f16_sdwa v171, v90 dst_sel:DWORD dst_unused:UNUSED_PAD src0_sel:WORD_1
	;; [unrolled: 2-line block ×3, first 2 shown]
	v_lshl_add_u64 v[18:19], v[18:19], 0, s[70:71]
	s_waitcnt vmcnt(0)
	ds_write_b128 v77, v[164:167]
	global_load_dwordx4 v[164:167], v[36:37], off
	v_lshl_add_u64 v[36:37], v[20:21], 0, v[70:71]
	v_lshl_add_u64 v[20:21], v[20:21], 0, s[70:71]
	s_waitcnt vmcnt(0)
	ds_write_b128 v79, v[164:167]
	global_load_dwordx4 v[164:167], v[36:37], off
	s_waitcnt vmcnt(0)
	ds_write_b128 v138, v[164:167]
	s_waitcnt lgkmcnt(0)
	s_barrier
	ds_read_u16 v36, v95 offset:208
	v_cvt_f32_f16_e32 v166, v161
	v_cvt_f32_f16_sdwa v167, v161 dst_sel:DWORD dst_unused:UNUSED_PAD src0_sel:WORD_1
	ds_read_u16 v37, v96
	ds_read_u16 v168, v96 offset:32
	ds_read_u16 v161, v97
	ds_read_u16 v169, v97 offset:32
	v_cvt_f32_f16_e32 v164, v162
	v_cvt_f32_f16_sdwa v165, v162 dst_sel:DWORD dst_unused:UNUSED_PAD src0_sel:WORD_1
	s_waitcnt lgkmcnt(1)
	v_perm_b32 v37, v161, v37, s64
	ds_read_u16 v161, v95
	ds_read_u16 v170, v95 offset:32
	s_waitcnt lgkmcnt(1)
	v_perm_b32 v36, v36, v161, s64
	s_nop 1
	v_mfma_f32_16x16x16_f16 v[162:165], v[36:37], v[174:175], v[164:167]
	ds_read_u16 v155, v95 offset:6656
	ds_read_u16 v157, v95 offset:6864
	;; [unrolled: 1-line block ×4, first 2 shown]
	v_cvt_f32_f16_sdwa v167, v92 dst_sel:DWORD dst_unused:UNUSED_PAD src0_sel:WORD_1
	s_nop 2
	v_cvt_f16_f32_e32 v36, v162
	v_cvt_f16_f32_e32 v37, v163
	;; [unrolled: 1-line block ×4, first 2 shown]
	v_cvt_f32_f16_e32 v162, v36
	v_cvt_f32_f16_e32 v163, v37
	s_waitcnt lgkmcnt(0)
	v_perm_b32 v37, v166, v161, s64
	v_perm_b32 v36, v157, v155, s64
	v_cvt_f32_f16_e32 v164, v153
	v_cvt_f32_f16_e32 v165, v154
	v_cvt_f32_f16_sdwa v161, v149 dst_sel:DWORD dst_unused:UNUSED_PAD src0_sel:WORD_1
	s_nop 0
	v_mfma_f32_16x16x16_f16 v[154:157], v[36:37], v[176:177], v[162:165]
	ds_read_u16 v36, v95 offset:240
	v_perm_b32 v37, v169, v168, s64
	ds_read_u16 v153, v95 offset:6688
	ds_read_u16 v162, v95 offset:6896
	;; [unrolled: 1-line block ×4, first 2 shown]
	v_cvt_f32_f16_sdwa v165, v93 dst_sel:DWORD dst_unused:UNUSED_PAD src0_sel:WORD_1
	v_cvt_f32_f16_e32 v168, v91
	s_waitcnt lgkmcnt(4)
	v_perm_b32 v36, v36, v170, s64
	v_cvt_f32_f16_sdwa v169, v91 dst_sel:DWORD dst_unused:UNUSED_PAD src0_sel:WORD_1
	v_cvt_f32_f16_e32 v170, v90
	v_mfma_f32_16x16x16_f16 v[158:161], v[36:37], v[174:175], v[158:161]
	s_nop 7
	v_cvt_f16_f32_e32 v36, v158
	v_cvt_f16_f32_e32 v37, v159
	;; [unrolled: 1-line block ×4, first 2 shown]
	v_cvt_f32_f16_e32 v158, v36
	v_cvt_f32_f16_e32 v159, v37
	s_waitcnt lgkmcnt(0)
	v_perm_b32 v37, v164, v163, s64
	v_perm_b32 v36, v162, v153, s64
	v_cvt_f32_f16_e32 v160, v149
	v_cvt_f32_f16_e32 v161, v150
	;; [unrolled: 1-line block ×3, first 2 shown]
	v_cvt_f32_f16_sdwa v163, v148 dst_sel:DWORD dst_unused:UNUSED_PAD src0_sel:WORD_1
	v_mfma_f32_16x16x16_f16 v[158:161], v[36:37], v[176:177], v[158:161]
	ds_read_u16 v36, v95 offset:64
	ds_read_u16 v149, v95 offset:272
	;; [unrolled: 1-line block ×4, first 2 shown]
	v_cvt_f32_f16_e32 v164, v93
	s_waitcnt lgkmcnt(2)
	v_perm_b32 v36, v149, v36, s64
	s_waitcnt lgkmcnt(0)
	v_perm_b32 v37, v150, v37, s64
	ds_read_u16 v149, v95 offset:6720
	ds_read_u16 v150, v95 offset:6928
	;; [unrolled: 1-line block ×4, first 2 shown]
	v_mfma_f32_16x16x16_f16 v[162:165], v[36:37], v[174:175], v[162:165]
	s_nop 7
	v_cvt_f16_f32_e32 v36, v162
	v_cvt_f16_f32_e32 v37, v163
	;; [unrolled: 1-line block ×4, first 2 shown]
	v_cvt_f32_f16_e32 v162, v36
	v_cvt_f32_f16_e32 v163, v37
	s_waitcnt lgkmcnt(0)
	v_perm_b32 v37, v166, v153, s64
	v_perm_b32 v36, v150, v149, s64
	v_cvt_f32_f16_e32 v164, v93
	v_cvt_f32_f16_e32 v165, v148
	;; [unrolled: 1-line block ×3, first 2 shown]
	s_nop 0
	v_mfma_f32_16x16x16_f16 v[162:165], v[36:37], v[176:177], v[162:165]
	ds_read_u16 v36, v95 offset:96
	ds_read_u16 v93, v95 offset:304
	ds_read_u16 v37, v96 offset:96
	ds_read_u16 v148, v97 offset:96
	s_waitcnt lgkmcnt(2)
	v_perm_b32 v36, v93, v36, s64
	s_waitcnt lgkmcnt(0)
	v_perm_b32 v37, v148, v37, s64
	ds_read_u16 v93, v95 offset:6752
	ds_read_u16 v148, v95 offset:6960
	;; [unrolled: 1-line block ×4, first 2 shown]
	v_mfma_f32_16x16x16_f16 v[166:169], v[36:37], v[174:175], v[166:169]
	s_nop 7
	v_cvt_f16_f32_e32 v36, v166
	v_cvt_f16_f32_e32 v37, v167
	v_cvt_f16_f32_e32 v91, v168
	v_cvt_f16_f32_e32 v92, v169
	v_cvt_f32_f16_e32 v166, v36
	v_cvt_f32_f16_e32 v167, v37
	s_waitcnt lgkmcnt(0)
	v_perm_b32 v37, v150, v149, s64
	v_perm_b32 v36, v148, v93, s64
	v_cvt_f32_f16_e32 v168, v91
	v_cvt_f32_f16_e32 v169, v92
	s_nop 1
	v_mfma_f32_16x16x16_f16 v[166:169], v[36:37], v[176:177], v[166:169]
	ds_read_u16 v36, v95 offset:128
	ds_read_u16 v91, v95 offset:336
	;; [unrolled: 1-line block ×8, first 2 shown]
	s_waitcnt lgkmcnt(6)
	v_perm_b32 v36, v91, v36, s64
	s_waitcnt lgkmcnt(4)
	v_perm_b32 v37, v92, v37, s64
	s_nop 1
	v_mfma_f32_16x16x16_f16 v[90:93], v[36:37], v[174:175], v[170:173]
	s_nop 7
	v_cvt_f16_f32_e32 v36, v90
	v_cvt_f16_f32_e32 v37, v91
	;; [unrolled: 1-line block ×4, first 2 shown]
	v_cvt_f32_f16_e32 v90, v36
	v_cvt_f32_f16_e32 v91, v37
	s_waitcnt lgkmcnt(0)
	v_perm_b32 v37, v153, v150, s64
	v_perm_b32 v36, v149, v148, s64
	v_cvt_f32_f16_e32 v92, v81
	v_cvt_f32_f16_e32 v93, v93
	v_cvt_pk_f16_f32 v150, v154, v155
	v_cvt_pk_f16_f32 v149, v156, v157
	v_mfma_f32_16x16x16_f16 v[170:173], v[36:37], v[176:177], v[90:93]
	ds_read_u16 v36, v95 offset:160
	ds_read_u16 v37, v95 offset:368
	ds_read_u16 v81, v96 offset:160
	ds_read_u16 v148, v97 offset:160
	v_cvt_f32_f16_e32 v90, v35
	v_cvt_f32_f16_sdwa v91, v35 dst_sel:DWORD dst_unused:UNUSED_PAD src0_sel:WORD_1
	v_cvt_f32_f16_e32 v92, v34
	v_cvt_f32_f16_sdwa v93, v34 dst_sel:DWORD dst_unused:UNUSED_PAD src0_sel:WORD_1
	s_waitcnt lgkmcnt(0)
	v_perm_b32 v35, v148, v81, s64
	v_perm_b32 v34, v37, v36, s64
	v_cvt_pk_f16_f32 v148, v158, v159
	s_nop 0
	v_mfma_f32_16x16x16_f16 v[34:37], v[34:35], v[174:175], v[90:93]
	ds_read_u16 v81, v95 offset:6816
	s_nop 1
	ds_read_u16 v90, v95 offset:7024
	ds_read_u16 v91, v96 offset:6816
	;; [unrolled: 1-line block ×3, first 2 shown]
	v_cvt_pk_f16_f32 v93, v160, v161
	s_waitcnt lgkmcnt(0)
	v_cvt_f16_f32_e32 v34, v34
	v_cvt_f16_f32_e32 v35, v35
	;; [unrolled: 1-line block ×4, first 2 shown]
	v_perm_b32 v91, v92, v91, s64
	v_perm_b32 v90, v90, v81, s64
	v_cvt_f32_f16_e32 v34, v34
	v_cvt_f32_f16_e32 v35, v35
	;; [unrolled: 1-line block ×4, first 2 shown]
	v_cvt_pk_f16_f32 v92, v162, v163
	v_cvt_pk_f16_f32 v81, v172, v173
	v_mfma_f32_16x16x16_f16 v[174:177], v[90:91], v[176:177], v[34:37]
	v_cvt_pk_f16_f32 v91, v164, v165
	v_cvt_pk_f16_f32 v90, v170, v171
	s_nop 0
	v_cvt_pk_f16_f32 v34, v166, v167
	v_cvt_pk_f16_f32 v35, v168, v169
	s_nop 2
	v_cvt_pk_f16_f32 v37, v174, v175
	v_cvt_pk_f16_f32 v36, v176, v177
	s_barrier
	s_cbranch_scc1 .LBB14_142
; %bb.143:                              ;   in Loop: Header=BB14_12 Depth=1
	s_lshl_b32 s60, s7, 6
	s_mov_b64 s[10:11], s[60:61]
	s_branch .LBB14_145
.LBB14_144:                             ;   in Loop: Header=BB14_12 Depth=1
	v_mov_b32_e32 v28, 0xfeffffff
	v_mov_b32_e32 v29, 0
	s_mov_b64 s[10:11], 0
	v_mov_b32_e32 v36, 0
	v_mov_b32_e32 v37, 0
	;; [unrolled: 1-line block ×12, first 2 shown]
.LBB14_145:                             ;   in Loop: Header=BB14_12 Depth=1
	v_mad_i64_i32 v[14:15], s[12:13], v48, s14, 0
	s_lshl_b64 s[12:13], s[10:11], 1
	s_add_u32 s12, s78, s12
	s_addc_u32 s13, s79, s13
	v_lshl_add_u64 v[14:15], v[14:15], 1, s[12:13]
	v_lshlrev_b32_e32 v48, 1, v42
	v_lshl_add_u64 v[14:15], v[14:15], 0, v[48:49]
	global_load_dword v14, v[14:15], off
	s_mul_i32 s7, s10, s35
	s_mul_hi_u32 s11, s10, s34
	s_add_i32 s13, s11, s7
	s_mul_i32 s12, s10, s34
	s_lshl_b64 s[12:13], s[12:13], 2
	s_add_u32 s12, s33, s12
	s_addc_u32 s13, s6, s13
	v_lshlrev_b32_e32 v48, 2, v44
	v_lshl_add_u64 v[18:19], v[52:53], 2, s[12:13]
	v_add_u32_e32 v24, v139, v98
	v_add_u32_e32 v151, 0x1800, v24
	v_cmp_lt_i32_e32 vcc, v33, v31
	s_mul_i32 s6, s10, s39
	s_mul_hi_u32 s7, s10, s38
	s_add_i32 s7, s7, s6
	s_mul_i32 s6, s10, s38
	s_lshl_b64 s[6:7], s[6:7], 2
	s_add_u32 s6, s66, s6
	s_addc_u32 s7, s67, s7
	s_cmp_lg_u64 s[76:77], 0
	s_waitcnt vmcnt(0)
	ds_write_b32 v45, v14 offset:13312
	v_lshl_add_u64 v[14:15], v[50:51], 2, s[12:13]
	v_lshl_add_u64 v[16:17], v[14:15], 0, v[48:49]
	v_lshlrev_b32_e32 v14, 2, v46
	v_mov_b32_e32 v15, v49
	v_lshl_add_u64 v[20:21], v[18:19], 0, v[14:15]
	v_lshl_add_u64 v[18:19], v[54:55], 2, s[12:13]
	;; [unrolled: 1-line block ×3, first 2 shown]
	global_load_dwordx4 v[16:19], v[16:17], off offset:128
	s_waitcnt vmcnt(0)
	ds_write_b128 v77, v[16:19]
	global_load_dwordx4 v[16:19], v[20:21], off
	s_waitcnt vmcnt(0)
	ds_write_b128 v79, v[16:19]
	global_load_dwordx4 v[16:19], v[22:23], off
	s_waitcnt vmcnt(0)
	ds_write_b128 v138, v[16:19]
	s_waitcnt lgkmcnt(0)
	s_barrier
	ds_read2_b64 v[16:19], v24 offset1:4
	s_waitcnt lgkmcnt(0)
	v_mfma_f32_16x16x16_f16 v[20:23], v[16:17], v[10:11], 0
	v_mfma_f32_16x16x16_f16 v[16:19], v[18:19], v[12:13], v[20:23]
	s_nop 6
	ds_read2_b64 v[20:23], v24 offset0:8 offset1:12
	s_waitcnt lgkmcnt(0)
	v_mfma_f32_16x16x16_f16 v[16:19], v[20:21], v[6:7], v[16:19]
	v_mfma_f32_16x16x16_f16 v[16:19], v[22:23], v[8:9], v[16:19]
	ds_read2_b64 v[20:23], v24 offset0:16 offset1:20
	s_waitcnt lgkmcnt(0)
	v_mfma_f32_16x16x16_f16 v[16:19], v[20:21], v[2:3], v[16:19]
	v_mfma_f32_16x16x16_f16 v[16:19], v[22:23], v[4:5], v[16:19]
	;; [unrolled: 4-line block ×4, first 2 shown]
	s_nop 6
	ds_read2_b64 v[10:13], v151 offset0:80 offset1:84
	s_waitcnt lgkmcnt(0)
	v_mfma_f32_16x16x16_f16 v[6:9], v[10:11], v[2:3], v[6:9]
	v_add_u32_e32 v2, 0x3400, v94
	s_barrier
	ds_read2_b32 v[2:3], v2 offset1:1
	v_mfma_f32_16x16x16_f16 v[10:13], v[12:13], v[4:5], v[6:9]
	s_waitcnt lgkmcnt(0)
	v_cvt_f32_f16_e32 v4, v2
	v_cvt_f32_f16_sdwa v2, v2 dst_sel:DWORD dst_unused:UNUSED_PAD src0_sel:WORD_1
	s_nop 0
	v_add_f32_e32 v6, v16, v4
	v_add_f32_e32 v7, v17, v2
	v_cvt_f32_f16_e32 v2, v3
	v_cvt_f32_f16_sdwa v3, v3 dst_sel:DWORD dst_unused:UNUSED_PAD src0_sel:WORD_1
	v_add_f32_e32 v8, v18, v2
	ds_read_b32 v2, v100 offset:13312
	v_add_f32_e32 v9, v19, v3
	s_waitcnt lgkmcnt(0)
	v_cvt_f32_f16_e32 v3, v2
	v_cvt_f32_f16_sdwa v2, v2 dst_sel:DWORD dst_unused:UNUSED_PAD src0_sel:WORD_1
	v_add_f32_e32 v5, v10, v3
	v_add_f32_e32 v4, v11, v2
	ds_read_b32 v2, v101 offset:13312
	v_add_f32_e32 v10, 0x40051340, v6
	v_add_f32_e32 v11, 0x40051340, v7
	v_max3_f32 v10, v28, v10, v11
	v_add_f32_e32 v11, 0x40051340, v8
	s_waitcnt lgkmcnt(0)
	v_cvt_f32_f16_e32 v3, v2
	v_cvt_f32_f16_sdwa v2, v2 dst_sel:DWORD dst_unused:UNUSED_PAD src0_sel:WORD_1
	v_add_f32_e32 v3, v12, v3
	v_add_f32_e32 v12, 0x40051340, v9
	;; [unrolled: 1-line block ×3, first 2 shown]
	v_max3_f32 v10, v10, v11, v12
	v_add_f32_e32 v11, 0x40051340, v5
	v_add_f32_e32 v12, 0x40051340, v4
	v_max3_f32 v10, v10, v11, v12
	v_add_f32_e32 v11, 0x40051340, v3
	v_add_f32_e32 v12, 0x40051340, v2
	v_max3_f32 v10, v10, v11, v12
	v_cndmask_b32_e32 v11, v30, v33, vcc
	v_lshlrev_b32_e32 v17, 2, v11
	ds_bpermute_b32 v11, v17, v10
	v_cmp_lt_i32_e32 vcc, v32, v31
	s_waitcnt lgkmcnt(0)
	v_max_f32_e32 v11, v11, v11
	v_max_f32_e32 v10, v10, v11
	v_cndmask_b32_e32 v11, v30, v32, vcc
	v_lshlrev_b32_e32 v20, 2, v11
	ds_bpermute_b32 v11, v20, v10
	s_waitcnt lgkmcnt(0)
	v_max_f32_e32 v11, v11, v11
	v_max_f32_e32 v16, v10, v11
	v_sub_f32_e32 v6, v6, v16
	v_mul_f32_e32 v10, 0x3fb8aa3b, v6
	v_fma_f32 v11, v6, s15, -v10
	v_rndne_f32_e32 v12, v10
	v_fmac_f32_e32 v11, 0x32a5705f, v6
	v_sub_f32_e32 v10, v10, v12
	v_add_f32_e32 v10, v10, v11
	v_exp_f32_e32 v10, v10
	v_cvt_i32_f32_e32 v11, v12
	v_cmp_ngt_f32_e32 vcc, s2, v6
	v_sub_f32_e32 v7, v7, v16
	v_sub_f32_e32 v8, v8, v16
	v_ldexp_f32 v10, v10, v11
	v_cndmask_b32_e32 v10, 0, v10, vcc
	v_cmp_nlt_f32_e32 vcc, s62, v6
	v_sub_f32_e32 v9, v9, v16
	v_sub_f32_e32 v5, v5, v16
	v_cndmask_b32_e32 v6, v147, v10, vcc
	v_mul_f32_e32 v10, 0x3fb8aa3b, v7
	v_fma_f32 v11, v7, s15, -v10
	v_rndne_f32_e32 v12, v10
	v_fmac_f32_e32 v11, 0x32a5705f, v7
	v_sub_f32_e32 v10, v10, v12
	v_add_f32_e32 v10, v10, v11
	v_exp_f32_e32 v10, v10
	v_cvt_i32_f32_e32 v11, v12
	v_cmp_ngt_f32_e32 vcc, s2, v7
	v_sub_f32_e32 v4, v4, v16
	v_sub_f32_e32 v3, v3, v16
	v_ldexp_f32 v10, v10, v11
	v_mul_f32_e32 v11, 0x3fb8aa3b, v8
	v_fma_f32 v12, v8, s15, -v11
	v_rndne_f32_e32 v13, v11
	v_fmac_f32_e32 v12, 0x32a5705f, v8
	v_sub_f32_e32 v11, v11, v13
	v_add_f32_e32 v11, v11, v12
	v_exp_f32_e32 v11, v11
	v_cvt_i32_f32_e32 v12, v13
	v_cndmask_b32_e32 v10, 0, v10, vcc
	v_cmp_nlt_f32_e32 vcc, s62, v7
	v_sub_f32_e32 v2, v2, v16
	v_ldexp_f32 v11, v11, v12
	v_cndmask_b32_e32 v7, v147, v10, vcc
	v_cmp_ngt_f32_e32 vcc, s2, v8
	v_add_f32_e32 v10, v6, v7
	s_nop 0
	v_cndmask_b32_e32 v11, 0, v11, vcc
	v_cmp_nlt_f32_e32 vcc, s62, v8
	s_nop 1
	v_cndmask_b32_e32 v8, v147, v11, vcc
	v_mul_f32_e32 v11, 0x3fb8aa3b, v9
	v_fma_f32 v12, v9, s15, -v11
	v_rndne_f32_e32 v13, v11
	v_fmac_f32_e32 v12, 0x32a5705f, v9
	v_sub_f32_e32 v11, v11, v13
	v_add_f32_e32 v11, v11, v12
	v_exp_f32_e32 v11, v11
	v_cvt_i32_f32_e32 v12, v13
	v_cmp_ngt_f32_e32 vcc, s2, v9
	v_add_f32_e32 v10, v8, v10
	v_ldexp_f32 v11, v11, v12
	v_cndmask_b32_e32 v11, 0, v11, vcc
	v_cmp_nlt_f32_e32 vcc, s62, v9
	s_nop 1
	v_cndmask_b32_e32 v18, v147, v11, vcc
	v_add_f32_e32 v9, v18, v10
	v_mul_f32_e32 v10, 0x3fb8aa3b, v5
	v_fma_f32 v11, v5, s15, -v10
	v_rndne_f32_e32 v12, v10
	v_fmac_f32_e32 v11, 0x32a5705f, v5
	v_sub_f32_e32 v10, v10, v12
	v_add_f32_e32 v10, v10, v11
	v_exp_f32_e32 v10, v10
	v_cvt_i32_f32_e32 v11, v12
	v_cmp_ngt_f32_e32 vcc, s2, v5
	v_ldexp_f32 v10, v10, v11
	s_nop 0
	v_cndmask_b32_e32 v10, 0, v10, vcc
	v_cmp_nlt_f32_e32 vcc, s62, v5
	s_nop 1
	v_cndmask_b32_e32 v22, v147, v10, vcc
	v_add_f32_e32 v5, v22, v9
	v_mul_f32_e32 v9, 0x3fb8aa3b, v4
	v_fma_f32 v10, v4, s15, -v9
	v_rndne_f32_e32 v11, v9
	v_fmac_f32_e32 v10, 0x32a5705f, v4
	v_sub_f32_e32 v9, v9, v11
	v_add_f32_e32 v9, v9, v10
	v_exp_f32_e32 v9, v9
	v_cvt_i32_f32_e32 v10, v11
	v_cmp_ngt_f32_e32 vcc, s2, v4
	v_ldexp_f32 v9, v9, v10
	s_nop 0
	;; [unrolled: 16-line block ×4, first 2 shown]
	v_cndmask_b32_e32 v4, 0, v4, vcc
	v_cmp_nlt_f32_e32 vcc, s62, v2
	v_sub_f32_e32 v2, v28, v16
	s_nop 0
	v_cndmask_b32_e32 v27, v147, v4, vcc
	v_add_f32_e32 v21, v27, v3
	v_mul_f32_e32 v3, 0x3fb8aa3b, v2
	v_fma_f32 v4, v2, s15, -v3
	v_rndne_f32_e32 v5, v3
	v_fmac_f32_e32 v4, 0x32a5705f, v2
	v_sub_f32_e32 v3, v3, v5
	v_add_f32_e32 v3, v3, v4
	v_exp_f32_e32 v3, v3
	v_cvt_i32_f32_e32 v4, v5
	v_cmp_ngt_f32_e32 vcc, s2, v2
	v_ldexp_f32 v3, v3, v4
	s_nop 0
	v_cndmask_b32_e32 v3, 0, v3, vcc
	v_cmp_nlt_f32_e32 vcc, s62, v2
	s_nop 1
	v_cndmask_b32_e32 v3, v147, v3, vcc
	v_cmp_le_f32_e32 vcc, s63, v2
	s_nop 1
	v_cndmask_b32_e32 v2, 0, v3, vcc
	v_fmac_f32_e32 v21, v29, v2
	v_cvt_f16_f32_e32 v2, v2
	v_mul_u32_u24_e32 v2, 0x10001, v2
	v_pk_mul_f16 v31, v150, v2
	v_pk_mul_f16 v19, v149, v2
	;; [unrolled: 1-line block ×12, first 2 shown]
	v_lshl_add_u64 v[2:3], v[56:57], 2, s[6:7]
	v_lshl_add_u64 v[2:3], v[2:3], 0, v[48:49]
	global_load_dwordx4 v[2:5], v[2:3], off offset:128
	v_cvt_f32_f16_sdwa v35, v11 dst_sel:DWORD dst_unused:UNUSED_PAD src0_sel:WORD_1
	v_cvt_f32_f16_e32 v36, v10
	v_cvt_f32_f16_sdwa v37, v10 dst_sel:DWORD dst_unused:UNUSED_PAD src0_sel:WORD_1
	v_cvt_f32_f16_e32 v90, v13
	;; [unrolled: 2-line block ×3, first 2 shown]
	v_cvt_f32_f16_sdwa v93, v12 dst_sel:DWORD dst_unused:UNUSED_PAD src0_sel:WORD_1
	s_waitcnt vmcnt(0)
	ds_write_b128 v77, v[2:5]
	v_lshl_add_u64 v[2:3], v[58:59], 2, s[6:7]
	v_lshl_add_u64 v[2:3], v[2:3], 0, v[14:15]
	global_load_dwordx4 v[2:5], v[2:3], off
	s_waitcnt vmcnt(0)
	ds_write_b128 v79, v[2:5]
	v_lshl_add_u64 v[2:3], v[60:61], 2, s[6:7]
	v_lshl_add_u64 v[2:3], v[2:3], 0, v[14:15]
	global_load_dwordx4 v[2:5], v[2:3], off
	s_cselect_b64 s[6:7], -1, 0
	s_and_b64 s[6:7], s[0:1], s[6:7]
	s_waitcnt vmcnt(0)
	ds_write_b128 v138, v[2:5]
	s_waitcnt lgkmcnt(0)
	s_barrier
	ds_read_u16 v14, v95 offset:208
	v_cvt_f32_f16_e32 v2, v31
	v_cvt_f32_f16_sdwa v3, v31 dst_sel:DWORD dst_unused:UNUSED_PAD src0_sel:WORD_1
	v_cvt_f32_f16_e32 v4, v19
	v_cvt_f32_f16_sdwa v5, v19 dst_sel:DWORD dst_unused:UNUSED_PAD src0_sel:WORD_1
	ds_read_u16 v15, v96
	ds_read_u16 v31, v96 offset:32
	ds_read_u16 v19, v97
	ds_read_u16 v32, v97 offset:32
	s_waitcnt lgkmcnt(1)
	v_perm_b32 v15, v19, v15, s64
	ds_read_u16 v19, v95
	ds_read_u16 v33, v95 offset:32
	s_waitcnt lgkmcnt(2)
	v_perm_b32 v31, v32, v31, s64
	s_waitcnt lgkmcnt(1)
	v_perm_b32 v14, v14, v19, s64
	v_cvt_pk_f16_f32 v19, v8, v18
	v_cvt_pk_f16_f32 v18, v6, v7
	s_nop 1
	v_mfma_f32_16x16x16_f16 v[2:5], v[14:15], v[18:19], v[2:5]
	ds_read_u16 v6, v95 offset:6656
	ds_read_u16 v8, v95 offset:6864
	;; [unrolled: 1-line block ×4, first 2 shown]
	v_cvt_pk_f16_f32 v15, v26, v27
	s_nop 2
	v_cvt_f16_f32_e32 v2, v2
	v_cvt_f16_f32_e32 v3, v3
	;; [unrolled: 1-line block ×4, first 2 shown]
	s_waitcnt lgkmcnt(0)
	v_perm_b32 v7, v14, v7, s64
	v_perm_b32 v6, v8, v6, s64
	v_cvt_f32_f16_e32 v2, v2
	v_cvt_f32_f16_e32 v3, v3
	;; [unrolled: 1-line block ×4, first 2 shown]
	v_cvt_pk_f16_f32 v14, v22, v25
	ds_read_u16 v8, v95 offset:240
	s_nop 0
	v_mfma_f32_16x16x16_f16 v[2:5], v[6:7], v[14:15], v[2:5]
	v_cvt_f32_f16_e32 v6, v29
	v_cvt_f32_f16_sdwa v7, v29 dst_sel:DWORD dst_unused:UNUSED_PAD src0_sel:WORD_1
	s_nop 5
	v_cvt_f16_f32_e32 v4, v4
	v_cvt_f16_f32_e32 v5, v5
	v_cvt_f16_f32_e32 v26, v2
	v_cvt_f16_f32_e32 v27, v3
	v_perm_b32 v22, v5, v4, s64
	v_cvt_f32_f16_e32 v4, v30
	v_cvt_f32_f16_sdwa v5, v30 dst_sel:DWORD dst_unused:UNUSED_PAD src0_sel:WORD_1
	s_waitcnt lgkmcnt(0)
	v_perm_b32 v30, v8, v33, s64
	s_nop 1
	v_mfma_f32_16x16x16_f16 v[4:7], v[30:31], v[18:19], v[4:7]
	ds_read_u16 v8, v95 offset:6688
	ds_read_u16 v25, v95 offset:6896
	;; [unrolled: 1-line block ×4, first 2 shown]
	s_nop 3
	v_cvt_f16_f32_e32 v4, v4
	v_cvt_f16_f32_e32 v5, v5
	;; [unrolled: 1-line block ×4, first 2 shown]
	s_waitcnt lgkmcnt(0)
	v_perm_b32 v31, v30, v29, s64
	v_perm_b32 v30, v25, v8, s64
	v_cvt_f32_f16_e32 v4, v4
	v_cvt_f32_f16_e32 v5, v5
	;; [unrolled: 1-line block ×5, first 2 shown]
	v_cvt_f32_f16_sdwa v9, v9 dst_sel:DWORD dst_unused:UNUSED_PAD src0_sel:WORD_1
	v_mfma_f32_16x16x16_f16 v[4:7], v[30:31], v[14:15], v[4:7]
	ds_read_u16 v31, v95 offset:64
	ds_read_u16 v32, v95 offset:272
	;; [unrolled: 1-line block ×4, first 2 shown]
	s_nop 3
	v_cvt_f16_f32_e32 v6, v6
	v_cvt_f16_f32_e32 v7, v7
	s_waitcnt lgkmcnt(0)
	v_perm_b32 v33, v34, v33, s64
	v_perm_b32 v32, v32, v31, s64
	v_cvt_f32_f16_e32 v34, v11
	v_perm_b32 v25, v7, v6, s64
	v_cvt_f32_f16_e32 v6, v28
	v_cvt_f32_f16_sdwa v7, v28 dst_sel:DWORD dst_unused:UNUSED_PAD src0_sel:WORD_1
	v_cvt_f16_f32_e32 v29, v4
	v_cvt_f16_f32_e32 v30, v5
	v_mfma_f32_16x16x16_f16 v[6:9], v[32:33], v[18:19], v[6:9]
	ds_read_u16 v28, v95 offset:6720
	ds_read_u16 v31, v95 offset:6928
	;; [unrolled: 1-line block ×4, first 2 shown]
	s_nop 3
	v_cvt_f16_f32_e32 v6, v6
	v_cvt_f16_f32_e32 v7, v7
	;; [unrolled: 1-line block ×4, first 2 shown]
	s_waitcnt lgkmcnt(0)
	v_perm_b32 v33, v33, v32, s64
	v_perm_b32 v32, v31, v28, s64
	v_cvt_f32_f16_e32 v6, v6
	v_cvt_f32_f16_e32 v7, v7
	;; [unrolled: 1-line block ×4, first 2 shown]
	s_nop 1
	v_mfma_f32_16x16x16_f16 v[6:9], v[32:33], v[14:15], v[6:9]
	s_nop 7
	v_cvt_f16_f32_e32 v8, v8
	v_cvt_f16_f32_e32 v9, v9
	;; [unrolled: 1-line block ×4, first 2 shown]
	v_perm_b32 v28, v9, v8, s64
	ds_read_u16 v8, v95 offset:96
	ds_read_u16 v31, v95 offset:304
	;; [unrolled: 1-line block ×4, first 2 shown]
	s_waitcnt lgkmcnt(2)
	v_perm_b32 v8, v31, v8, s64
	s_waitcnt lgkmcnt(0)
	v_perm_b32 v9, v48, v9, s64
	s_nop 1
	v_mfma_f32_16x16x16_f16 v[8:11], v[8:9], v[18:19], v[34:37]
	ds_read_u16 v31, v95 offset:6752
	s_nop 1
	ds_read_u16 v34, v95 offset:6960
	ds_read_u16 v35, v96 offset:6752
	;; [unrolled: 1-line block ×3, first 2 shown]
	s_nop 1
	v_cvt_f16_f32_e32 v8, v8
	v_cvt_f16_f32_e32 v9, v9
	;; [unrolled: 1-line block ×4, first 2 shown]
	s_waitcnt lgkmcnt(0)
	v_perm_b32 v35, v36, v35, s64
	v_perm_b32 v34, v34, v31, s64
	v_cvt_f32_f16_e32 v8, v8
	v_cvt_f32_f16_e32 v9, v9
	;; [unrolled: 1-line block ×4, first 2 shown]
	s_nop 1
	v_mfma_f32_16x16x16_f16 v[8:11], v[34:35], v[14:15], v[8:11]
	s_nop 7
	v_cvt_f16_f32_e32 v10, v10
	v_cvt_f16_f32_e32 v11, v11
	;; [unrolled: 1-line block ×4, first 2 shown]
	v_perm_b32 v31, v11, v10, s64
	ds_read_u16 v10, v95 offset:128
	ds_read_u16 v34, v95 offset:336
	;; [unrolled: 1-line block ×4, first 2 shown]
	s_waitcnt lgkmcnt(2)
	v_perm_b32 v10, v34, v10, s64
	s_waitcnt lgkmcnt(0)
	v_perm_b32 v11, v37, v11, s64
	ds_read_u16 v34, v95 offset:6784
	ds_read_u16 v37, v95 offset:6992
	;; [unrolled: 1-line block ×4, first 2 shown]
	v_mfma_f32_16x16x16_f16 v[10:13], v[10:11], v[18:19], v[90:93]
	s_waitcnt lgkmcnt(0)
	s_nop 1
	v_perm_b32 v91, v81, v48, s64
	v_perm_b32 v90, v37, v34, s64
	v_cvt_f32_f16_e32 v92, v23
	s_nop 1
	v_cvt_f16_f32_e32 v10, v10
	v_cvt_f16_f32_e32 v11, v11
	;; [unrolled: 1-line block ×4, first 2 shown]
	v_cvt_f32_f16_e32 v10, v10
	v_cvt_f32_f16_e32 v11, v11
	;; [unrolled: 1-line block ×4, first 2 shown]
	v_cvt_f32_f16_sdwa v93, v23 dst_sel:DWORD dst_unused:UNUSED_PAD src0_sel:WORD_1
	s_nop 0
	v_mfma_f32_16x16x16_f16 v[10:13], v[90:91], v[14:15], v[10:13]
	v_cvt_f32_f16_e32 v90, v24
	v_cvt_f32_f16_sdwa v91, v24 dst_sel:DWORD dst_unused:UNUSED_PAD src0_sel:WORD_1
	s_nop 5
	v_cvt_f16_f32_e32 v12, v12
	v_cvt_f16_f32_e32 v13, v13
	;; [unrolled: 1-line block ×4, first 2 shown]
	v_perm_b32 v34, v13, v12, s64
	ds_read_u16 v12, v95 offset:160
	ds_read_u16 v81, v95 offset:368
	;; [unrolled: 1-line block ×4, first 2 shown]
	s_waitcnt lgkmcnt(2)
	v_perm_b32 v12, v81, v12, s64
	s_waitcnt lgkmcnt(0)
	v_perm_b32 v13, v148, v13, s64
	s_nop 1
	v_mfma_f32_16x16x16_f16 v[90:93], v[12:13], v[18:19], v[90:93]
	ds_read_u16 v12, v95 offset:6816
	ds_read_u16 v13, v95 offset:7024
	;; [unrolled: 1-line block ×4, first 2 shown]
	s_waitcnt lgkmcnt(0)
	s_barrier
	s_nop 1
	v_cvt_f16_f32_e32 v18, v90
	v_cvt_f16_f32_e32 v19, v91
	;; [unrolled: 1-line block ×4, first 2 shown]
	v_cvt_f32_f16_e32 v90, v18
	v_cvt_f32_f16_e32 v91, v19
	v_perm_b32 v19, v148, v81, s64
	v_perm_b32 v18, v13, v12, s64
	v_cvt_f32_f16_e32 v92, v23
	v_cvt_f32_f16_e32 v93, v24
	v_perm_b32 v23, v48, v37, s64
	s_nop 0
	v_mfma_f32_16x16x16_f16 v[12:15], v[18:19], v[14:15], v[90:93]
	v_perm_b32 v18, v33, v32, s64
	v_perm_b32 v19, v30, v29, s64
	s_nop 5
	v_cvt_f16_f32_e32 v14, v14
	v_cvt_f16_f32_e32 v15, v15
	;; [unrolled: 1-line block ×4, first 2 shown]
	v_perm_b32 v14, v15, v14, s64
	ds_bpermute_b32 v15, v17, v21
	v_perm_b32 v24, v81, v24, s64
	s_waitcnt lgkmcnt(0)
	v_add_f32_e32 v15, v21, v15
	ds_bpermute_b32 v17, v20, v15
	v_perm_b32 v21, v27, v26, s64
	s_waitcnt lgkmcnt(0)
	v_add_f32_e32 v17, v15, v17
	v_perm_b32 v15, v36, v35, s64
	s_and_saveexec_b64 s[10:11], s[6:7]
	s_cbranch_execz .LBB14_147
; %bb.146:                              ;   in Loop: Header=BB14_12 Depth=1
	v_lshlrev_b32_e32 v15, 2, v64
	global_load_dword v15, v15, s[76:77]
	v_cvt_pk_f16_f32 v18, v2, v3
	v_max_f32_e32 v2, v16, v16
	v_cvt_pk_f16_f32 v4, v4, v5
	v_cvt_pk_f16_f32 v5, v6, v7
	;; [unrolled: 1-line block ×5, first 2 shown]
	s_waitcnt vmcnt(0)
	v_max_f32_e32 v3, v15, v15
	v_max_f32_e32 v2, v2, v3
	v_sub_f32_e32 v3, v16, v2
	v_sub_f32_e32 v7, v15, v2
	v_mul_f32_e32 v8, 0x3fb8aa3b, v3
	v_mul_f32_e32 v9, 0x3fb8aa3b, v7
	v_fma_f32 v15, v3, s15, -v8
	v_rndne_f32_e32 v16, v8
	v_fma_f32 v19, v7, s15, -v9
	v_rndne_f32_e32 v21, v9
	v_fmac_f32_e32 v15, 0x32a5705f, v3
	v_sub_f32_e32 v8, v8, v16
	v_fmac_f32_e32 v19, 0x32a5705f, v7
	v_sub_f32_e32 v9, v9, v21
	v_add_f32_e32 v8, v8, v15
	v_cvt_i32_f32_e32 v16, v16
	v_add_f32_e32 v9, v9, v19
	v_exp_f32_e32 v8, v8
	v_cvt_i32_f32_e32 v21, v21
	v_exp_f32_e32 v9, v9
	v_cmp_ngt_f32_e32 vcc, s2, v3
	v_ldexp_f32 v8, v8, v16
	v_ldexp_f32 v9, v9, v21
	v_cndmask_b32_e32 v8, 0, v8, vcc
	v_cmp_ngt_f32_e32 vcc, s2, v7
	s_nop 1
	v_cndmask_b32_e32 v9, 0, v9, vcc
	v_cmp_nlt_f32_e32 vcc, s62, v3
	s_nop 1
	v_cndmask_b32_e32 v8, v147, v8, vcc
	v_cmp_le_f32_e32 vcc, s63, v3
	s_nop 1
	v_cndmask_b32_e32 v8, 0, v8, vcc
	v_cvt_f16_f32_e32 v12, v8
	v_cmp_nlt_f32_e32 vcc, s62, v7
	v_mul_u32_u24_e32 v7, 0x10001, v12
	s_nop 0
	v_cndmask_b32_e32 v3, v147, v9, vcc
	v_fmac_f32_e32 v3, v17, v8
	v_pk_mul_f16 v21, v18, v7
	v_pk_mul_f16 v22, v22, v7
	;; [unrolled: 1-line block ×12, first 2 shown]
	v_mov_b64_e32 v[16:17], v[2:3]
.LBB14_147:                             ;   in Loop: Header=BB14_12 Depth=1
	s_or_b64 exec, exec, s[10:11]
	s_and_saveexec_b64 s[10:11], s[4:5]
; %bb.148:                              ;   in Loop: Header=BB14_12 Depth=1
	v_add_u32_e32 v2, 0, v110
	ds_write2_b32 v2, v16, v17 offset0:48 offset1:49
; %bb.149:                              ;   in Loop: Header=BB14_12 Depth=1
	s_or_b64 exec, exec, s[10:11]
	v_readlane_b32 s10, v178, 12
	v_readlane_b32 s11, v178, 13
	s_waitcnt lgkmcnt(0)
	s_barrier
	s_and_saveexec_b64 s[6:7], s[10:11]
	s_xor_b64 s[10:11], exec, s[6:7]
	s_cbranch_execz .LBB14_151
; %bb.150:                              ;   in Loop: Header=BB14_12 Depth=1
	s_barrier
                                        ; implicit-def: $vgpr20
.LBB14_151:                             ;   in Loop: Header=BB14_12 Depth=1
	s_andn2_saveexec_b64 s[10:11], s[10:11]
	s_cbranch_execz .LBB14_155
; %bb.152:                              ;   in Loop: Header=BB14_12 Depth=1
	v_add_u32_e32 v4, 0, v111
	ds_read_b64 v[2:3], v4 offset:192
	s_waitcnt lgkmcnt(0)
	s_barrier
	ds_bpermute_b32 v5, v20, v2
	v_max_f32_e32 v6, v2, v2
	s_waitcnt lgkmcnt(0)
	v_max_f32_e32 v5, v5, v5
	v_max_f32_e32 v5, v6, v5
	v_sub_f32_e32 v2, v2, v5
	v_mul_f32_e32 v5, 0x3fb8aa3b, v2
	v_fma_f32 v6, v2, s15, -v5
	v_rndne_f32_e32 v7, v5
	v_fmac_f32_e32 v6, 0x32a5705f, v2
	v_sub_f32_e32 v5, v5, v7
	v_add_f32_e32 v5, v5, v6
	v_cvt_i32_f32_e32 v7, v7
	v_exp_f32_e32 v5, v5
	v_cmp_ngt_f32_e32 vcc, s2, v2
	v_ldexp_f32 v5, v5, v7
	s_nop 0
	v_cndmask_b32_e32 v5, 0, v5, vcc
	v_cmp_nlt_f32_e32 vcc, s62, v2
	s_nop 1
	v_cndmask_b32_e32 v2, v147, v5, vcc
	v_mul_f32_e32 v3, v3, v2
	ds_bpermute_b32 v5, v20, v3
	s_mov_b64 s[76:77], exec
	v_readlane_b32 s6, v178, 17
	v_readlane_b32 s7, v178, 18
	s_and_b64 s[6:7], s[76:77], s[6:7]
	s_mov_b64 exec, s[6:7]
	s_cbranch_execz .LBB14_154
; %bb.153:                              ;   in Loop: Header=BB14_12 Depth=1
	s_waitcnt lgkmcnt(0)
	v_add_f32_e32 v3, v3, v5
	ds_write_b64 v4, v[2:3] offset:192
.LBB14_154:                             ;   in Loop: Header=BB14_12 Depth=1
	s_or_b64 exec, exec, s[76:77]
.LBB14_155:                             ;   in Loop: Header=BB14_12 Depth=1
	s_or_b64 exec, exec, s[10:11]
	v_add_u32_e32 v2, v99, v112
	ds_write2_b32 v2, v21, v22 offset1:1
	ds_write2_b32 v2, v19, v25 offset0:8 offset1:9
	ds_write2_b32 v2, v18, v28 offset0:16 offset1:17
	;; [unrolled: 1-line block ×5, first 2 shown]
	s_waitcnt lgkmcnt(0)
	s_barrier
	s_and_saveexec_b64 s[76:77], s[0:1]
	s_cbranch_execz .LBB14_10
; %bb.156:                              ;   in Loop: Header=BB14_12 Depth=1
	v_add_u32_e32 v3, s84, v140
	v_or_b32_e32 v2, s59, v78
	v_cmp_gt_i32_e32 vcc, s36, v3
	v_cmp_gt_i32_e64 s[10:11], s3, v2
	s_and_b64 s[6:7], vcc, s[10:11]
	v_mov_b32_e32 v2, 0x47
	s_and_saveexec_b64 s[78:79], s[6:7]
	s_cbranch_execz .LBB14_158
; %bb.157:                              ;   in Loop: Header=BB14_12 Depth=1
	v_mad_u64_u32 v[2:3], s[6:7], v3, s37, v[78:79]
	v_add_u32_e32 v8, 0, v113
	v_add_u32_e32 v3, v136, v113
	ds_read2_b32 v[4:5], v8 offset0:48 offset1:49
	ds_read2st64_b32 v[6:7], v3 offset1:13
	ds_read_b32 v8, v8 offset:3520
	v_mad_u64_u32 v[2:3], s[6:7], v2, 48, v[38:39]
	v_ashrrev_i32_e32 v3, 31, v2
	s_waitcnt lgkmcnt(1)
	v_cvt_f32_f16_e32 v10, v6
	v_cvt_f32_f16_sdwa v11, v6 dst_sel:DWORD dst_unused:UNUSED_PAD src0_sel:WORD_1
	v_cvt_f32_f16_e32 v6, v7
	v_cvt_f32_f16_sdwa v7, v7 dst_sel:DWORD dst_unused:UNUSED_PAD src0_sel:WORD_1
	v_lshl_add_u64 v[2:3], v[2:3], 3, s[74:75]
	v_pk_fma_f32 v[10:11], v[4:5], v[10:11], 0 op_sel_hi:[0,1,0]
	s_waitcnt lgkmcnt(0)
	v_pk_fma_f32 v[6:7], v[8:9], v[6:7], v[10:11] op_sel_hi:[0,1,1]
	v_div_scale_f32 v4, s[6:7], v5, v5, v7
	v_rcp_f32_e32 v8, v4
	s_nop 0
	v_fma_f32 v9, -v4, v8, 1.0
	v_fmac_f32_e32 v8, v9, v8
	v_div_scale_f32 v9, vcc, v7, v5, v7
	v_mul_f32_e32 v10, v9, v8
	v_fma_f32 v11, -v4, v10, v9
	v_fmac_f32_e32 v10, v11, v8
	v_fma_f32 v4, -v4, v10, v9
	v_div_fmas_f32 v4, v4, v8, v10
	v_div_fixup_f32 v7, v4, v5, v7
	v_div_scale_f32 v4, s[6:7], v5, v5, v6
	v_rcp_f32_e32 v8, v4
	s_nop 0
	v_fma_f32 v9, -v4, v8, 1.0
	v_fmac_f32_e32 v8, v9, v8
	v_div_scale_f32 v9, vcc, v6, v5, v6
	v_mul_f32_e32 v10, v9, v8
	v_fma_f32 v11, -v4, v10, v9
	v_fmac_f32_e32 v10, v11, v8
	v_fma_f32 v4, -v4, v10, v9
	v_div_fmas_f32 v4, v4, v8, v10
	v_div_fixup_f32 v6, v4, v5, v6
	global_store_dwordx2 v[2:3], v[6:7], off
	v_mov_b32_e32 v2, 0
.LBB14_158:                             ;   in Loop: Header=BB14_12 Depth=1
	s_or_b64 exec, exec, s[78:79]
	s_movk_i32 s6, 0x47
	v_cmp_gt_i32_e32 vcc, s6, v2
	s_mov_b64 s[80:81], -1
	s_and_saveexec_b64 s[78:79], vcc
; %bb.159:                              ;   in Loop: Header=BB14_12 Depth=1
	v_cmp_eq_u32_e32 vcc, 0, v2
	s_orn2_b64 s[80:81], vcc, exec
; %bb.160:                              ;   in Loop: Header=BB14_12 Depth=1
	s_or_b64 exec, exec, s[78:79]
	s_and_saveexec_b64 s[78:79], s[80:81]
	s_cbranch_execz .LBB14_193
; %bb.161:                              ;   in Loop: Header=BB14_12 Depth=1
	v_add_u32_e32 v3, s84, v114
	v_cmp_gt_i32_e32 vcc, s36, v3
	s_and_b64 s[6:7], vcc, s[10:11]
	v_mov_b32_e32 v2, 0x47
	s_and_saveexec_b64 s[80:81], s[6:7]
	s_cbranch_execz .LBB14_163
; %bb.162:                              ;   in Loop: Header=BB14_12 Depth=1
	v_mad_u64_u32 v[2:3], s[6:7], v3, s37, v[78:79]
	v_add_u32_e32 v8, 0, v115
	v_add_u32_e32 v3, v136, v115
	ds_read2_b32 v[4:5], v8 offset0:48 offset1:49
	ds_read2st64_b32 v[6:7], v3 offset1:13
	ds_read_b32 v8, v8 offset:3520
	v_mad_u64_u32 v[2:3], s[6:7], v2, 48, v[38:39]
	v_ashrrev_i32_e32 v3, 31, v2
	s_waitcnt lgkmcnt(1)
	v_cvt_f32_f16_e32 v10, v6
	v_cvt_f32_f16_sdwa v11, v6 dst_sel:DWORD dst_unused:UNUSED_PAD src0_sel:WORD_1
	v_cvt_f32_f16_e32 v6, v7
	v_cvt_f32_f16_sdwa v7, v7 dst_sel:DWORD dst_unused:UNUSED_PAD src0_sel:WORD_1
	v_lshl_add_u64 v[2:3], v[2:3], 3, s[74:75]
	v_pk_fma_f32 v[10:11], v[4:5], v[10:11], 0 op_sel_hi:[0,1,0]
	s_waitcnt lgkmcnt(0)
	v_pk_fma_f32 v[6:7], v[8:9], v[6:7], v[10:11] op_sel_hi:[0,1,1]
	v_div_scale_f32 v4, s[6:7], v5, v5, v7
	v_rcp_f32_e32 v8, v4
	s_nop 0
	v_fma_f32 v9, -v4, v8, 1.0
	v_fmac_f32_e32 v8, v9, v8
	v_div_scale_f32 v9, vcc, v7, v5, v7
	v_mul_f32_e32 v10, v9, v8
	v_fma_f32 v11, -v4, v10, v9
	v_fmac_f32_e32 v10, v11, v8
	v_fma_f32 v4, -v4, v10, v9
	v_div_fmas_f32 v4, v4, v8, v10
	v_div_fixup_f32 v7, v4, v5, v7
	v_div_scale_f32 v4, s[6:7], v5, v5, v6
	v_rcp_f32_e32 v8, v4
	s_nop 0
	v_fma_f32 v9, -v4, v8, 1.0
	v_fmac_f32_e32 v8, v9, v8
	v_div_scale_f32 v9, vcc, v6, v5, v6
	v_mul_f32_e32 v10, v9, v8
	v_fma_f32 v11, -v4, v10, v9
	v_fmac_f32_e32 v10, v11, v8
	v_fma_f32 v4, -v4, v10, v9
	v_div_fmas_f32 v4, v4, v8, v10
	v_div_fixup_f32 v6, v4, v5, v6
	global_store_dwordx2 v[2:3], v[6:7], off
	v_mov_b32_e32 v2, 0
.LBB14_163:                             ;   in Loop: Header=BB14_12 Depth=1
	s_or_b64 exec, exec, s[80:81]
	s_movk_i32 s6, 0x47
	v_cmp_gt_i32_e32 vcc, s6, v2
	s_mov_b64 s[80:81], -1
	s_and_saveexec_b64 s[82:83], vcc
; %bb.164:                              ;   in Loop: Header=BB14_12 Depth=1
	v_cmp_eq_u32_e32 vcc, 0, v2
	s_orn2_b64 s[80:81], vcc, exec
; %bb.165:                              ;   in Loop: Header=BB14_12 Depth=1
	s_or_b64 exec, exec, s[82:83]
	s_and_b64 exec, exec, s[80:81]
	s_cbranch_execz .LBB14_193
; %bb.166:                              ;   in Loop: Header=BB14_12 Depth=1
	v_add_u32_e32 v3, s84, v116
	v_cmp_gt_i32_e32 vcc, s36, v3
	s_and_b64 s[6:7], vcc, s[10:11]
	v_mov_b32_e32 v2, 0x47
	s_and_saveexec_b64 s[80:81], s[6:7]
	s_cbranch_execz .LBB14_168
; %bb.167:                              ;   in Loop: Header=BB14_12 Depth=1
	v_mad_u64_u32 v[2:3], s[6:7], v3, s37, v[78:79]
	v_add_u32_e32 v8, 0, v117
	v_add_u32_e32 v3, v136, v117
	ds_read2_b32 v[4:5], v8 offset0:48 offset1:49
	ds_read2st64_b32 v[6:7], v3 offset1:13
	ds_read_b32 v8, v8 offset:3520
	v_mad_u64_u32 v[2:3], s[6:7], v2, 48, v[38:39]
	v_ashrrev_i32_e32 v3, 31, v2
	s_waitcnt lgkmcnt(1)
	v_cvt_f32_f16_e32 v10, v6
	v_cvt_f32_f16_sdwa v11, v6 dst_sel:DWORD dst_unused:UNUSED_PAD src0_sel:WORD_1
	v_cvt_f32_f16_e32 v6, v7
	v_cvt_f32_f16_sdwa v7, v7 dst_sel:DWORD dst_unused:UNUSED_PAD src0_sel:WORD_1
	v_lshl_add_u64 v[2:3], v[2:3], 3, s[74:75]
	v_pk_fma_f32 v[10:11], v[4:5], v[10:11], 0 op_sel_hi:[0,1,0]
	s_waitcnt lgkmcnt(0)
	v_pk_fma_f32 v[6:7], v[8:9], v[6:7], v[10:11] op_sel_hi:[0,1,1]
	v_div_scale_f32 v4, s[6:7], v5, v5, v7
	v_rcp_f32_e32 v8, v4
	s_nop 0
	v_fma_f32 v9, -v4, v8, 1.0
	v_fmac_f32_e32 v8, v9, v8
	v_div_scale_f32 v9, vcc, v7, v5, v7
	v_mul_f32_e32 v10, v9, v8
	v_fma_f32 v11, -v4, v10, v9
	v_fmac_f32_e32 v10, v11, v8
	v_fma_f32 v4, -v4, v10, v9
	v_div_fmas_f32 v4, v4, v8, v10
	v_div_fixup_f32 v7, v4, v5, v7
	v_div_scale_f32 v4, s[6:7], v5, v5, v6
	v_rcp_f32_e32 v8, v4
	s_nop 0
	v_fma_f32 v9, -v4, v8, 1.0
	v_fmac_f32_e32 v8, v9, v8
	v_div_scale_f32 v9, vcc, v6, v5, v6
	v_mul_f32_e32 v10, v9, v8
	v_fma_f32 v11, -v4, v10, v9
	v_fmac_f32_e32 v10, v11, v8
	v_fma_f32 v4, -v4, v10, v9
	v_div_fmas_f32 v4, v4, v8, v10
	v_div_fixup_f32 v6, v4, v5, v6
	global_store_dwordx2 v[2:3], v[6:7], off
	v_mov_b32_e32 v2, 0
.LBB14_168:                             ;   in Loop: Header=BB14_12 Depth=1
	s_or_b64 exec, exec, s[80:81]
	s_movk_i32 s6, 0x47
	v_cmp_gt_i32_e32 vcc, s6, v2
	s_mov_b64 s[80:81], -1
	s_and_saveexec_b64 s[82:83], vcc
; %bb.169:                              ;   in Loop: Header=BB14_12 Depth=1
	v_cmp_eq_u32_e32 vcc, 0, v2
	s_orn2_b64 s[80:81], vcc, exec
; %bb.170:                              ;   in Loop: Header=BB14_12 Depth=1
	s_or_b64 exec, exec, s[82:83]
	s_and_b64 exec, exec, s[80:81]
	;; [unrolled: 64-line block ×6, first 2 shown]
	s_cbranch_execz .LBB14_193
; %bb.191:                              ;   in Loop: Header=BB14_12 Depth=1
	v_add_u32_e32 v2, s84, v126
	v_cmp_gt_i32_e32 vcc, s36, v2
	s_and_b64 s[6:7], vcc, s[10:11]
	s_and_b64 exec, exec, s[6:7]
	s_cbranch_execz .LBB14_193
; %bb.192:                              ;   in Loop: Header=BB14_12 Depth=1
	v_add_u32_e32 v3, v136, v127
	ds_read2st64_b32 v[4:5], v3 offset1:13
	v_add_u32_e32 v3, 0, v127
	ds_read2_b32 v[6:7], v3 offset0:48 offset1:49
	ds_read_b32 v8, v3 offset:3520
	v_mad_u64_u32 v[2:3], s[6:7], v2, s37, v[78:79]
	s_waitcnt lgkmcnt(2)
	v_cvt_f32_f16_e32 v10, v4
	v_cvt_f32_f16_sdwa v11, v4 dst_sel:DWORD dst_unused:UNUSED_PAD src0_sel:WORD_1
	v_cvt_f32_f16_e32 v4, v5
	v_cvt_f32_f16_sdwa v5, v5 dst_sel:DWORD dst_unused:UNUSED_PAD src0_sel:WORD_1
	v_mad_u64_u32 v[2:3], s[6:7], v2, 48, v[38:39]
	s_waitcnt lgkmcnt(1)
	v_pk_fma_f32 v[10:11], v[6:7], v[10:11], 0 op_sel_hi:[0,1,0]
	s_waitcnt lgkmcnt(0)
	v_pk_fma_f32 v[4:5], v[8:9], v[4:5], v[10:11] op_sel_hi:[0,1,1]
	v_div_scale_f32 v6, s[6:7], v7, v7, v5
	v_rcp_f32_e32 v8, v6
	v_ashrrev_i32_e32 v3, 31, v2
	v_lshl_add_u64 v[2:3], v[2:3], 3, s[74:75]
	v_fma_f32 v9, -v6, v8, 1.0
	v_fmac_f32_e32 v8, v9, v8
	v_div_scale_f32 v9, vcc, v5, v7, v5
	v_mul_f32_e32 v10, v9, v8
	v_fma_f32 v11, -v6, v10, v9
	v_fmac_f32_e32 v10, v11, v8
	v_fma_f32 v6, -v6, v10, v9
	v_div_scale_f32 v9, s[6:7], v7, v7, v4
	v_rcp_f32_e32 v11, v9
	v_div_fmas_f32 v6, v6, v8, v10
	v_div_fixup_f32 v5, v6, v7, v5
	v_fma_f32 v6, -v9, v11, 1.0
	v_fmac_f32_e32 v11, v6, v11
	v_div_scale_f32 v6, vcc, v4, v7, v4
	v_mul_f32_e32 v8, v6, v11
	v_fma_f32 v10, -v9, v8, v6
	v_fmac_f32_e32 v8, v10, v11
	v_fma_f32 v6, -v9, v8, v6
	v_div_fmas_f32 v6, v6, v11, v8
	v_div_fixup_f32 v4, v6, v7, v4
	global_store_dwordx2 v[2:3], v[4:5], off
.LBB14_193:                             ;   in Loop: Header=BB14_12 Depth=1
	s_or_b64 exec, exec, s[78:79]
	v_add_u32_e32 v2, s84, v128
	v_cmp_gt_i32_e32 vcc, s36, v2
	s_and_b64 s[6:7], vcc, s[8:9]
	v_mov_b32_e32 v3, 0x47
	s_and_saveexec_b64 s[10:11], s[6:7]
	s_cbranch_execz .LBB14_195
; %bb.194:                              ;   in Loop: Header=BB14_12 Depth=1
	v_add_u32_e32 v3, v105, v129
	v_add_u32_e32 v3, 0x80, v3
	ds_read2st64_b32 v[4:5], v3 offset1:13
	v_add_u32_e32 v3, 0, v129
	ds_read2_b32 v[6:7], v3 offset0:48 offset1:49
	ds_read_b32 v8, v3 offset:3520
	v_mad_u64_u32 v[2:3], s[6:7], v2, s37, v[74:75]
	s_waitcnt lgkmcnt(2)
	v_cvt_f32_f16_e32 v10, v4
	v_cvt_f32_f16_sdwa v11, v4 dst_sel:DWORD dst_unused:UNUSED_PAD src0_sel:WORD_1
	v_cvt_f32_f16_e32 v4, v5
	v_cvt_f32_f16_sdwa v5, v5 dst_sel:DWORD dst_unused:UNUSED_PAD src0_sel:WORD_1
	v_mul_lo_u32 v9, v2, 48
	s_waitcnt lgkmcnt(1)
	v_pk_fma_f32 v[2:3], v[6:7], v[10:11], 0 op_sel_hi:[0,1,0]
	s_waitcnt lgkmcnt(0)
	v_pk_fma_f32 v[2:3], v[8:9], v[4:5], v[2:3] op_sel_hi:[0,1,1]
	v_div_scale_f32 v6, s[6:7], v7, v7, v3
	v_rcp_f32_e32 v8, v6
	v_ashrrev_i32_e32 v5, 31, v9
	v_or_b32_e32 v4, v9, v40
	v_lshl_add_u64 v[4:5], v[4:5], 3, s[74:75]
	v_fma_f32 v9, -v6, v8, 1.0
	v_fmac_f32_e32 v8, v9, v8
	v_div_scale_f32 v9, vcc, v3, v7, v3
	v_mul_f32_e32 v10, v9, v8
	v_fma_f32 v11, -v6, v10, v9
	v_fmac_f32_e32 v10, v11, v8
	v_fma_f32 v6, -v6, v10, v9
	v_div_scale_f32 v9, s[6:7], v7, v7, v2
	v_rcp_f32_e32 v11, v9
	v_div_fmas_f32 v6, v6, v8, v10
	v_div_fixup_f32 v3, v6, v7, v3
	v_fma_f32 v6, -v9, v11, 1.0
	v_fmac_f32_e32 v11, v6, v11
	v_div_scale_f32 v6, vcc, v2, v7, v2
	v_mul_f32_e32 v8, v6, v11
	v_fma_f32 v10, -v9, v8, v6
	v_fmac_f32_e32 v8, v10, v11
	v_fma_f32 v6, -v9, v8, v6
	v_div_fmas_f32 v6, v6, v11, v8
	v_div_fixup_f32 v2, v6, v7, v2
	global_store_dwordx2 v[4:5], v[2:3], off offset:256
	v_mov_b32_e32 v3, 0
.LBB14_195:                             ;   in Loop: Header=BB14_12 Depth=1
	s_or_b64 exec, exec, s[10:11]
	s_movk_i32 s6, 0x47
	v_cmp_gt_i32_e32 vcc, s6, v3
	s_mov_b64 s[10:11], -1
	s_and_saveexec_b64 s[78:79], vcc
; %bb.196:                              ;   in Loop: Header=BB14_12 Depth=1
	v_cmp_eq_u32_e32 vcc, 0, v3
	s_orn2_b64 s[10:11], vcc, exec
; %bb.197:                              ;   in Loop: Header=BB14_12 Depth=1
	s_or_b64 exec, exec, s[78:79]
	s_and_b64 exec, exec, s[10:11]
	s_cbranch_execz .LBB14_10
; %bb.198:                              ;   in Loop: Header=BB14_12 Depth=1
	v_add_u32_e32 v2, s84, v130
	v_cmp_gt_i32_e32 vcc, s36, v2
	s_and_b64 s[6:7], vcc, s[8:9]
	v_mov_b32_e32 v3, 0x47
	s_and_saveexec_b64 s[10:11], s[6:7]
	s_cbranch_execz .LBB14_200
; %bb.199:                              ;   in Loop: Header=BB14_12 Depth=1
	v_add_u32_e32 v3, v105, v131
	v_add_u32_e32 v3, 0x80, v3
	ds_read2st64_b32 v[4:5], v3 offset1:13
	v_add_u32_e32 v3, 0, v131
	ds_read2_b32 v[6:7], v3 offset0:48 offset1:49
	ds_read_b32 v8, v3 offset:3520
	v_mad_u64_u32 v[2:3], s[6:7], v2, s37, v[74:75]
	s_waitcnt lgkmcnt(2)
	v_cvt_f32_f16_e32 v10, v4
	v_cvt_f32_f16_sdwa v11, v4 dst_sel:DWORD dst_unused:UNUSED_PAD src0_sel:WORD_1
	v_cvt_f32_f16_e32 v4, v5
	v_cvt_f32_f16_sdwa v5, v5 dst_sel:DWORD dst_unused:UNUSED_PAD src0_sel:WORD_1
	v_mul_lo_u32 v9, v2, 48
	s_waitcnt lgkmcnt(1)
	v_pk_fma_f32 v[2:3], v[6:7], v[10:11], 0 op_sel_hi:[0,1,0]
	s_waitcnt lgkmcnt(0)
	v_pk_fma_f32 v[2:3], v[8:9], v[4:5], v[2:3] op_sel_hi:[0,1,1]
	v_div_scale_f32 v6, s[6:7], v7, v7, v3
	v_rcp_f32_e32 v8, v6
	v_ashrrev_i32_e32 v5, 31, v9
	v_or_b32_e32 v4, v9, v40
	v_lshl_add_u64 v[4:5], v[4:5], 3, s[74:75]
	v_fma_f32 v9, -v6, v8, 1.0
	v_fmac_f32_e32 v8, v9, v8
	v_div_scale_f32 v9, vcc, v3, v7, v3
	v_mul_f32_e32 v10, v9, v8
	v_fma_f32 v11, -v6, v10, v9
	v_fmac_f32_e32 v10, v11, v8
	v_fma_f32 v6, -v6, v10, v9
	v_div_scale_f32 v9, s[6:7], v7, v7, v2
	v_rcp_f32_e32 v11, v9
	v_div_fmas_f32 v6, v6, v8, v10
	v_div_fixup_f32 v3, v6, v7, v3
	v_fma_f32 v6, -v9, v11, 1.0
	v_fmac_f32_e32 v11, v6, v11
	v_div_scale_f32 v6, vcc, v2, v7, v2
	v_mul_f32_e32 v8, v6, v11
	v_fma_f32 v10, -v9, v8, v6
	v_fmac_f32_e32 v8, v10, v11
	v_fma_f32 v6, -v9, v8, v6
	v_div_fmas_f32 v6, v6, v11, v8
	v_div_fixup_f32 v2, v6, v7, v2
	global_store_dwordx2 v[4:5], v[2:3], off offset:256
	v_mov_b32_e32 v3, 0
.LBB14_200:                             ;   in Loop: Header=BB14_12 Depth=1
	s_or_b64 exec, exec, s[10:11]
	s_movk_i32 s6, 0x47
	v_cmp_gt_i32_e32 vcc, s6, v3
	s_mov_b64 s[10:11], -1
	s_and_saveexec_b64 s[78:79], vcc
; %bb.201:                              ;   in Loop: Header=BB14_12 Depth=1
	v_cmp_eq_u32_e32 vcc, 0, v3
	s_orn2_b64 s[10:11], vcc, exec
; %bb.202:                              ;   in Loop: Header=BB14_12 Depth=1
	s_or_b64 exec, exec, s[78:79]
	s_and_b64 exec, exec, s[10:11]
	s_cbranch_execz .LBB14_10
; %bb.203:                              ;   in Loop: Header=BB14_12 Depth=1
	v_add_u32_e32 v2, s84, v132
	v_cmp_gt_i32_e32 vcc, s36, v2
	s_and_b64 s[6:7], vcc, s[8:9]
	v_mov_b32_e32 v3, 0x47
	s_and_saveexec_b64 s[10:11], s[6:7]
	s_cbranch_execz .LBB14_205
; %bb.204:                              ;   in Loop: Header=BB14_12 Depth=1
	v_add_u32_e32 v3, v105, v133
	v_add_u32_e32 v3, 0x80, v3
	ds_read2st64_b32 v[4:5], v3 offset1:13
	v_add_u32_e32 v3, 0, v133
	ds_read2_b32 v[6:7], v3 offset0:48 offset1:49
	ds_read_b32 v8, v3 offset:3520
	v_mad_u64_u32 v[2:3], s[6:7], v2, s37, v[74:75]
	s_waitcnt lgkmcnt(2)
	v_cvt_f32_f16_e32 v10, v4
	v_cvt_f32_f16_sdwa v11, v4 dst_sel:DWORD dst_unused:UNUSED_PAD src0_sel:WORD_1
	v_cvt_f32_f16_e32 v4, v5
	v_cvt_f32_f16_sdwa v5, v5 dst_sel:DWORD dst_unused:UNUSED_PAD src0_sel:WORD_1
	v_mul_lo_u32 v9, v2, 48
	s_waitcnt lgkmcnt(1)
	v_pk_fma_f32 v[2:3], v[6:7], v[10:11], 0 op_sel_hi:[0,1,0]
	s_waitcnt lgkmcnt(0)
	v_pk_fma_f32 v[2:3], v[8:9], v[4:5], v[2:3] op_sel_hi:[0,1,1]
	v_div_scale_f32 v6, s[6:7], v7, v7, v3
	v_rcp_f32_e32 v8, v6
	v_ashrrev_i32_e32 v5, 31, v9
	v_or_b32_e32 v4, v9, v40
	v_lshl_add_u64 v[4:5], v[4:5], 3, s[74:75]
	v_fma_f32 v9, -v6, v8, 1.0
	v_fmac_f32_e32 v8, v9, v8
	v_div_scale_f32 v9, vcc, v3, v7, v3
	v_mul_f32_e32 v10, v9, v8
	v_fma_f32 v11, -v6, v10, v9
	v_fmac_f32_e32 v10, v11, v8
	v_fma_f32 v6, -v6, v10, v9
	v_div_scale_f32 v9, s[6:7], v7, v7, v2
	v_rcp_f32_e32 v11, v9
	v_div_fmas_f32 v6, v6, v8, v10
	v_div_fixup_f32 v3, v6, v7, v3
	v_fma_f32 v6, -v9, v11, 1.0
	v_fmac_f32_e32 v11, v6, v11
	v_div_scale_f32 v6, vcc, v2, v7, v2
	v_mul_f32_e32 v8, v6, v11
	v_fma_f32 v10, -v9, v8, v6
	v_fmac_f32_e32 v8, v10, v11
	v_fma_f32 v6, -v9, v8, v6
	v_div_fmas_f32 v6, v6, v11, v8
	v_div_fixup_f32 v2, v6, v7, v2
	global_store_dwordx2 v[4:5], v[2:3], off offset:256
	v_mov_b32_e32 v3, 0
.LBB14_205:                             ;   in Loop: Header=BB14_12 Depth=1
	s_or_b64 exec, exec, s[10:11]
	s_movk_i32 s6, 0x47
	v_cmp_gt_i32_e32 vcc, s6, v3
	s_mov_b64 s[10:11], -1
	s_and_saveexec_b64 s[78:79], vcc
; %bb.206:                              ;   in Loop: Header=BB14_12 Depth=1
	v_cmp_eq_u32_e32 vcc, 0, v3
	s_orn2_b64 s[10:11], vcc, exec
; %bb.207:                              ;   in Loop: Header=BB14_12 Depth=1
	s_or_b64 exec, exec, s[78:79]
	s_and_b64 exec, exec, s[10:11]
	s_cbranch_execz .LBB14_10
; %bb.208:                              ;   in Loop: Header=BB14_12 Depth=1
	v_add_u32_e32 v2, s84, v134
	v_cmp_gt_i32_e32 vcc, s36, v2
	s_and_b64 s[6:7], vcc, s[8:9]
	s_and_b64 exec, exec, s[6:7]
	s_cbranch_execz .LBB14_10
; %bb.209:                              ;   in Loop: Header=BB14_12 Depth=1
	v_add_u32_e32 v3, v105, v135
	v_add_u32_e32 v3, 0x80, v3
	ds_read2st64_b32 v[4:5], v3 offset1:13
	v_add_u32_e32 v3, 0, v135
	ds_read2_b32 v[6:7], v3 offset0:48 offset1:49
	ds_read_b32 v8, v3 offset:3520
	v_mad_u64_u32 v[2:3], s[6:7], v2, s37, v[74:75]
	s_waitcnt lgkmcnt(2)
	v_cvt_f32_f16_e32 v10, v4
	v_cvt_f32_f16_sdwa v11, v4 dst_sel:DWORD dst_unused:UNUSED_PAD src0_sel:WORD_1
	v_cvt_f32_f16_e32 v4, v5
	v_cvt_f32_f16_sdwa v5, v5 dst_sel:DWORD dst_unused:UNUSED_PAD src0_sel:WORD_1
	v_mul_lo_u32 v9, v2, 48
	s_waitcnt lgkmcnt(1)
	v_pk_fma_f32 v[2:3], v[6:7], v[10:11], 0 op_sel_hi:[0,1,0]
	s_waitcnt lgkmcnt(0)
	v_pk_fma_f32 v[2:3], v[8:9], v[4:5], v[2:3] op_sel_hi:[0,1,1]
	v_div_scale_f32 v6, s[6:7], v7, v7, v3
	v_rcp_f32_e32 v8, v6
	v_ashrrev_i32_e32 v5, 31, v9
	v_or_b32_e32 v4, v9, v40
	v_lshl_add_u64 v[4:5], v[4:5], 3, s[74:75]
	v_fma_f32 v9, -v6, v8, 1.0
	v_fmac_f32_e32 v8, v9, v8
	v_div_scale_f32 v9, vcc, v3, v7, v3
	v_mul_f32_e32 v10, v9, v8
	v_fma_f32 v11, -v6, v10, v9
	v_fmac_f32_e32 v10, v11, v8
	v_fma_f32 v6, -v6, v10, v9
	v_div_scale_f32 v9, s[6:7], v7, v7, v2
	v_rcp_f32_e32 v11, v9
	v_div_fmas_f32 v6, v6, v8, v10
	v_div_fixup_f32 v3, v6, v7, v3
	v_fma_f32 v6, -v9, v11, 1.0
	v_fmac_f32_e32 v11, v6, v11
	v_div_scale_f32 v6, vcc, v2, v7, v2
	v_mul_f32_e32 v8, v6, v11
	v_fma_f32 v10, -v9, v8, v6
	v_fmac_f32_e32 v8, v10, v11
	v_fma_f32 v6, -v9, v8, v6
	v_div_fmas_f32 v6, v6, v11, v8
	v_div_fixup_f32 v2, v6, v7, v2
	global_store_dwordx2 v[4:5], v[2:3], off offset:256
	s_branch .LBB14_10
.LBB14_210:
	v_readlane_b32 s51, v178, 14
	v_readlane_b32 s56, v178, 7
	;; [unrolled: 1-line block ×5, first 2 shown]
	s_andn2_b64 vcc, exec, s[8:9]
	s_cbranch_vccnz .LBB14_8
.LBB14_211:
	v_readlane_b32 s8, v178, 3
	s_abs_i32 s0, s8
	v_cvt_f32_u32_e32 v2, s0
	s_sub_i32 s4, 0, s0
	s_abs_i32 s2, s54
	s_xor_b32 s1, s54, s8
	v_rcp_iflag_f32_e32 v2, v2
	s_ashr_i32 s1, s1, 31
	v_readlane_b32 s10, v178, 2
	v_readlane_b32 s11, v178, 1
	v_mul_f32_e32 v2, 0x4f7ffffe, v2
	v_cvt_u32_f32_e32 v2, v2
	v_mov_b32_e32 v12, s7
	v_readfirstlane_b32 s5, v2
	s_mul_i32 s4, s4, s5
	s_mul_hi_u32 s4, s5, s4
	s_add_i32 s5, s5, s4
	s_mul_hi_u32 s4, s2, s5
	s_mul_i32 s5, s4, s0
	s_sub_i32 s2, s2, s5
	s_add_i32 s6, s4, 1
	s_sub_i32 s5, s2, s0
	s_cmp_ge_u32 s2, s0
	s_cselect_b32 s4, s6, s4
	s_cselect_b32 s2, s5, s2
	s_add_i32 s5, s4, 1
	s_cmp_ge_u32 s2, s0
	s_cselect_b32 s0, s5, s4
	s_abs_i32 s4, s10
	v_cvt_f32_u32_e32 v2, s4
	s_xor_b32 s0, s0, s1
	s_sub_i32 s2, s0, s1
	s_sub_i32 s5, 0, s4
	v_rcp_iflag_f32_e32 v2, v2
	s_mul_i32 s0, s2, s8
	s_sub_i32 s0, s54, s0
	s_abs_i32 s6, s0
	v_mul_f32_e32 v2, 0x4f7ffffe, v2
	v_cvt_u32_f32_e32 v2, v2
	s_xor_b32 s1, s0, s10
	s_ashr_i32 s1, s1, 31
	v_readfirstlane_b32 s8, v2
	s_mul_i32 s5, s5, s8
	s_mul_hi_u32 s5, s8, s5
	s_add_i32 s8, s8, s5
	s_mul_hi_u32 s5, s6, s8
	s_mul_i32 s8, s5, s4
	s_sub_i32 s6, s6, s8
	s_add_i32 s9, s5, 1
	s_sub_i32 s8, s6, s4
	s_cmp_ge_u32 s6, s4
	s_cselect_b32 s5, s9, s5
	s_cselect_b32 s6, s8, s6
	s_add_i32 s8, s5, 1
	s_cmp_ge_u32 s6, s4
	s_cselect_b32 s4, s8, s5
	s_abs_i32 s5, s11
	v_cvt_f32_u32_e32 v2, s5
	s_xor_b32 s4, s4, s1
	s_sub_i32 s6, 0, s5
	s_sub_i32 s8, s4, s1
	v_rcp_iflag_f32_e32 v2, v2
	s_mul_i32 s1, s8, s10
	s_sub_i32 s1, s0, s1
	s_abs_i32 s4, s1
	v_mul_f32_e32 v2, 0x4f7ffffe, v2
	v_cvt_u32_f32_e32 v2, v2
	s_xor_b32 s0, s1, s11
	s_ashr_i32 s0, s0, 31
	v_readfirstlane_b32 s9, v2
	s_mul_i32 s6, s6, s9
	s_mul_hi_u32 s6, s9, s6
	s_add_i32 s9, s9, s6
	s_mul_hi_u32 s6, s4, s9
	s_mul_i32 s9, s6, s5
	s_sub_i32 s4, s4, s9
	s_add_i32 s10, s6, 1
	s_sub_i32 s9, s4, s5
	s_cmp_ge_u32 s4, s5
	s_cselect_b32 s6, s10, s6
	s_cselect_b32 s4, s9, s4
	s_add_i32 s9, s6, 1
	s_cmp_ge_u32 s4, s5
	s_cselect_b32 s4, s9, s6
	s_xor_b32 s4, s4, s0
	s_sub_i32 s0, s4, s0
	s_mul_i32 s4, s0, s11
	s_sub_i32 s1, s1, s4
	s_ashr_i32 s4, s1, 31
	v_readlane_b32 s5, v178, 6
	s_abs_i32 s1, s1
	s_xor_b32 s4, s4, s5
	s_mul_hi_u32 s5, s1, s50
	s_mul_i32 s6, s5, s97
	s_sub_i32 s1, s1, s6
	s_add_i32 s6, s5, 1
	s_sub_i32 s9, s1, s97
	s_cmp_ge_u32 s1, s97
	s_cselect_b32 s5, s6, s5
	s_cselect_b32 s1, s9, s1
	s_add_i32 s6, s5, 1
	s_cmp_ge_u32 s1, s97
	s_cselect_b32 s1, s6, s5
	s_abs_i32 s9, s12
	v_cvt_f32_u32_e32 v2, s9
	s_xor_b32 s1, s1, s4
	s_sub_i32 s1, s1, s4
	s_cmp_eq_u64 s[26:27], 0
	v_rcp_iflag_f32_e32 v2, v2
	s_nop 0
	v_mul_f32_e32 v2, 0x4f7ffffe, v2
	v_cvt_u32_f32_e32 v2, v2
	s_nop 0
	v_readfirstlane_b32 s11, v2
	s_cbranch_scc1 .LBB14_213
; %bb.212:
	v_readlane_b32 s4, v178, 0
	s_mul_i32 s4, s2, s4
	s_add_i32 s4, s1, s4
	s_ashr_i32 s5, s4, 31
	s_lshl_b64 s[4:5], s[4:5], 2
	s_add_u32 s4, s26, s4
	s_addc_u32 s5, s27, s5
	v_mov_b32_e32 v2, 0
	global_load_dword v2, v2, s[4:5]
	s_waitcnt vmcnt(0)
	v_ashrrev_i32_e32 v3, 31, v2
	v_lshrrev_b32_e32 v3, 26, v3
	v_add_u32_e32 v2, v2, v3
	v_ashrrev_i32_e32 v2, 6, v2
	v_min_i32_e32 v12, s7, v2
.LBB14_213:
	s_mul_i32 s4, s8, s3
	s_lshl_b32 s12, s0, 2
	s_add_i32 s0, s12, s4
	s_mul_i32 s4, s2, s53
	s_ashr_i32 s5, s4, 31
	s_add_u32 s4, s16, s4
	s_mul_i32 s0, s0, s52
	s_addc_u32 s5, s17, s5
	s_ashr_i32 s7, s0, 31
	s_add_u32 s6, s4, s0
	v_add_u32_e32 v36, v39, v65
	s_addc_u32 s7, s5, s7
	s_lshl_b32 s10, s1, 3
	v_lshrrev_b32_e32 v3, 2, v36
	v_and_b32_e32 v2, 3, v36
	v_add_u32_e32 v3, s10, v3
	v_or_b32_e32 v4, s12, v2
	v_cmp_le_i32_e64 s[0:1], s36, v3
	v_cmp_le_i32_e64 s[4:5], s3, v4
	s_mov_b32 s13, 0x10001
	v_lshl_add_u32 v46, v38, 2, 0
	v_cmp_gt_i32_e32 vcc, s3, v4
	s_or_b64 s[0:1], s[0:1], s[4:5]
	s_and_saveexec_b64 s[4:5], s[0:1]
	s_xor_b64 s[0:1], exec, s[4:5]
; %bb.214:
	s_movk_i32 s4, 0xd0
	v_mad_u32_u24 v3, v36, s4, v46
	v_mov_b32_e32 v4, 0
	ds_write_b32 v3, v4
                                        ; implicit-def: $vgpr3
; %bb.215:
	s_or_saveexec_b64 s[0:1], s[0:1]
	v_mul_lo_u32 v1, v1, s13
	s_xor_b64 exec, exec, s[0:1]
	s_cbranch_execz .LBB14_217
; %bb.216:
	v_mul_lo_u32 v3, v3, s55
	v_mul_lo_u32 v4, v2, s59
	v_add3_u32 v4, v4, v38, v3
	v_ashrrev_i32_e32 v5, 31, v4
	v_lshl_add_u64 v[4:5], v[4:5], 3, s[6:7]
	global_load_dwordx2 v[4:5], v[4:5], off
	s_movk_i32 s4, 0xd0
	s_waitcnt vmcnt(0)
	v_cvt_pk_f16_f32 v3, v4, v5
	v_pk_mul_f16 v3, v3, v1
	v_mad_u32_u24 v4, v36, s4, v46
	ds_write_b32 v4, v3
.LBB14_217:
	s_or_b64 exec, exec, s[0:1]
	v_add_u32_e32 v3, 8, v36
	v_lshrrev_b32_e32 v4, 2, v3
	v_add_u32_e32 v4, s10, v4
	v_cmp_le_i32_e64 s[0:1], s36, v4
	s_xor_b64 s[4:5], vcc, -1
	s_or_b64 s[0:1], s[0:1], s[4:5]
	s_and_saveexec_b64 s[16:17], s[0:1]
	s_xor_b64 s[0:1], exec, s[16:17]
; %bb.218:
	s_movk_i32 s13, 0xd0
	v_mad_u32_u24 v3, v3, s13, v46
	v_mov_b32_e32 v4, 0
	ds_write_b32 v3, v4
                                        ; implicit-def: $vgpr4
                                        ; implicit-def: $vgpr3
; %bb.219:
	s_andn2_saveexec_b64 s[0:1], s[0:1]
	s_cbranch_execz .LBB14_221
; %bb.220:
	v_mul_lo_u32 v4, v4, s55
	v_mul_lo_u32 v5, v2, s59
	v_add3_u32 v4, v5, v38, v4
	v_ashrrev_i32_e32 v5, 31, v4
	v_lshl_add_u64 v[4:5], v[4:5], 3, s[6:7]
	global_load_dwordx2 v[4:5], v[4:5], off
	s_movk_i32 s13, 0xd0
	v_mad_u32_u24 v3, v3, s13, v46
	s_waitcnt vmcnt(0)
	v_cvt_pk_f16_f32 v4, v4, v5
	v_pk_mul_f16 v4, v4, v1
	ds_write_b32 v3, v4
.LBB14_221:
	s_or_b64 exec, exec, s[0:1]
	v_add_u32_e32 v3, 16, v36
	v_lshrrev_b32_e32 v4, 2, v3
	v_add_u32_e32 v4, s10, v4
	v_cmp_le_i32_e32 vcc, s36, v4
	s_or_b64 s[0:1], vcc, s[4:5]
	s_and_saveexec_b64 s[16:17], s[0:1]
	s_xor_b64 s[0:1], exec, s[16:17]
; %bb.222:
	s_movk_i32 s13, 0xd0
	v_mad_u32_u24 v3, v3, s13, v46
	v_mov_b32_e32 v4, 0
	ds_write_b32 v3, v4
                                        ; implicit-def: $vgpr4
                                        ; implicit-def: $vgpr3
; %bb.223:
	s_andn2_saveexec_b64 s[0:1], s[0:1]
	s_cbranch_execz .LBB14_225
; %bb.224:
	v_mul_lo_u32 v4, v4, s55
	v_mul_lo_u32 v5, v2, s59
	v_add3_u32 v4, v5, v38, v4
	v_ashrrev_i32_e32 v5, 31, v4
	v_lshl_add_u64 v[4:5], v[4:5], 3, s[6:7]
	global_load_dwordx2 v[4:5], v[4:5], off
	s_movk_i32 s13, 0xd0
	v_mad_u32_u24 v3, v3, s13, v46
	s_waitcnt vmcnt(0)
	v_cvt_pk_f16_f32 v4, v4, v5
	v_pk_mul_f16 v4, v4, v1
	ds_write_b32 v3, v4
.LBB14_225:
	s_or_b64 exec, exec, s[0:1]
	v_add_u32_e32 v3, 24, v36
	v_lshrrev_b32_e32 v4, 2, v3
	v_add_u32_e32 v4, s10, v4
	v_cmp_le_i32_e32 vcc, s36, v4
	s_sub_i32 s13, 0, s9
	s_or_b64 s[0:1], vcc, s[4:5]
	s_and_saveexec_b64 s[4:5], s[0:1]
	s_xor_b64 s[0:1], exec, s[4:5]
; %bb.226:
	s_movk_i32 s4, 0xd0
	v_mad_u32_u24 v2, v3, s4, v46
	v_mov_b32_e32 v3, 0
	ds_write_b32 v2, v3
                                        ; implicit-def: $vgpr4
                                        ; implicit-def: $vgpr2
                                        ; implicit-def: $vgpr3
; %bb.227:
	s_or_saveexec_b64 s[0:1], s[0:1]
	s_mul_i32 s13, s13, s11
	v_and_b32_e32 v51, 0x3ff, v0
	s_xor_b64 exec, exec, s[0:1]
	s_cbranch_execz .LBB14_229
; %bb.228:
	v_mul_lo_u32 v0, v4, s55
	v_mul_lo_u32 v2, v2, s59
	v_add3_u32 v4, v2, v38, v0
	v_ashrrev_i32_e32 v5, 31, v4
	v_lshl_add_u64 v[4:5], v[4:5], 3, s[6:7]
	global_load_dwordx2 v[4:5], v[4:5], off
	s_movk_i32 s4, 0xd0
	v_mad_u32_u24 v2, v3, s4, v46
	s_waitcnt vmcnt(0)
	v_cvt_pk_f16_f32 v0, v4, v5
	v_pk_mul_f16 v0, v0, v1
	ds_write_b32 v2, v0
.LBB14_229:
	s_or_b64 exec, exec, s[0:1]
	v_lshrrev_b32_e32 v50, 4, v51
	v_and_b32_e32 v0, 3, v50
	v_lshl_add_u32 v2, v47, 2, v50
	v_or_b32_e32 v3, s12, v0
	v_cmp_gt_i32_e32 vcc, s3, v3
	v_cmp_le_i32_e64 s[0:1], s3, v3
	v_lshrrev_b32_e32 v3, 2, v2
	v_add_u32_e32 v3, s10, v3
	v_cmp_le_i32_e64 s[4:5], s36, v3
	s_mul_hi_u32 s13, s11, s13
	v_and_b32_e32 v49, 15, v51
	v_mul_lo_u32 v0, s59, v0
	s_or_b64 s[0:1], s[4:5], s[0:1]
	s_and_saveexec_b64 s[4:5], s[0:1]
	s_xor_b64 s[0:1], exec, s[4:5]
; %bb.230:
	v_mul_u32_u24_e32 v3, 0xd0, v2
	v_lshlrev_b32_e32 v4, 2, v49
	v_add3_u32 v3, 0, v3, v4
	v_mov_b32_e32 v4, 0
	ds_write_b32 v3, v4 offset:128
                                        ; implicit-def: $vgpr3
; %bb.231:
	s_or_saveexec_b64 s[0:1], s[0:1]
	s_abs_i32 s3, s2
	s_add_i32 s11, s11, s13
	v_add3_u32 v0, v0, v49, 32
	v_lshl_add_u32 v48, v49, 2, 0
	s_xor_b64 exec, exec, s[0:1]
	s_cbranch_execz .LBB14_233
; %bb.232:
	v_mad_u64_u32 v[4:5], s[4:5], v3, s55, v[0:1]
	v_ashrrev_i32_e32 v5, 31, v4
	v_lshl_add_u64 v[4:5], v[4:5], 3, s[6:7]
	global_load_dwordx2 v[4:5], v[4:5], off
	s_movk_i32 s4, 0xd0
	s_waitcnt vmcnt(0)
	v_cvt_pk_f16_f32 v3, v4, v5
	v_pk_mul_f16 v3, v3, v1
	v_mad_u32_u24 v4, v2, s4, v48
	ds_write_b32 v4, v3 offset:128
.LBB14_233:
	s_or_b64 exec, exec, s[0:1]
	v_add_u32_e32 v2, 16, v2
	v_lshrrev_b32_e32 v3, 2, v2
	v_add_u32_e32 v3, s10, v3
	v_cmp_le_i32_e64 s[0:1], s36, v3
	s_xor_b64 s[12:13], vcc, -1
	s_mul_hi_u32 s4, s3, s11
	s_or_b64 s[0:1], s[0:1], s[12:13]
	s_and_saveexec_b64 s[12:13], s[0:1]
	s_xor_b64 s[0:1], exec, s[12:13]
; %bb.234:
	v_mul_u32_u24_e32 v0, 0xd0, v2
	v_lshlrev_b32_e32 v1, 2, v49
	v_add3_u32 v0, 0, v0, v1
	v_mov_b32_e32 v1, 0
	ds_write_b32 v0, v1 offset:128
                                        ; implicit-def: $vgpr0
                                        ; implicit-def: $vgpr3
                                        ; implicit-def: $vgpr1
                                        ; implicit-def: $vgpr2
; %bb.235:
	s_or_saveexec_b64 s[0:1], s[0:1]
	s_ashr_i32 s5, s2, 31
	s_xor_b64 exec, exec, s[0:1]
	s_cbranch_execz .LBB14_237
; %bb.236:
	v_mad_u64_u32 v[4:5], s[12:13], v3, s55, v[0:1]
	v_ashrrev_i32_e32 v5, 31, v4
	v_lshl_add_u64 v[4:5], v[4:5], 3, s[6:7]
	global_load_dwordx2 v[4:5], v[4:5], off
	s_movk_i32 s6, 0xd0
	s_waitcnt vmcnt(0)
	v_cvt_pk_f16_f32 v0, v4, v5
	v_pk_mul_f16 v0, v0, v1
	v_mad_u32_u24 v1, v2, s6, v48
	ds_write_b32 v1, v0 offset:128
.LBB14_237:
	s_or_b64 exec, exec, s[0:1]
	s_mul_hi_u32 s0, s40, s2
	s_mul_i32 s1, s40, s5
	s_add_i32 s0, s0, s1
	s_mul_i32 s1, s41, s2
	v_readlane_b32 s6, v178, 4
	s_add_i32 s0, s0, s1
	s_mul_i32 s1, s40, s2
	v_readlane_b32 s7, v178, 5
	s_add_u32 s1, s18, s1
	s_mul_i32 s6, s8, s7
	s_addc_u32 s0, s19, s0
	s_ashr_i32 s7, s6, 31
	s_add_u32 s24, s1, s6
	s_mul_i32 s4, s4, s9
	s_addc_u32 s25, s0, s7
	s_sub_i32 s0, s3, s4
	s_sub_i32 s1, s0, s9
	s_cmp_ge_u32 s0, s9
	s_cselect_b32 s0, s1, s0
	s_sub_i32 s1, s0, s9
	s_cmp_ge_u32 s0, s9
	s_cselect_b32 s0, s1, s0
	s_xor_b32 s0, s0, s5
	s_sub_i32 s0, s0, s5
	s_ashr_i32 s1, s0, 31
	s_mul_i32 s1, s48, s1
	s_mul_hi_u32 s3, s48, s0
	s_add_i32 s1, s3, s1
	s_mul_i32 s3, s49, s0
	s_add_i32 s1, s1, s3
	s_mul_i32 s0, s48, s0
	s_add_u32 s22, s22, s0
	s_addc_u32 s23, s23, s1
	s_mul_hi_u32 s0, s46, s2
	s_mul_i32 s1, s46, s5
	s_add_i32 s0, s0, s1
	s_mul_i32 s1, s47, s2
	s_add_i32 s0, s0, s1
	s_mul_i32 s1, s46, s2
	s_add_u32 s1, s20, s1
	s_mul_i32 s8, s8, s43
	s_addc_u32 s0, s21, s0
	s_ashr_i32 s2, s8, 31
	s_add_u32 s20, s1, s8
	v_lshrrev_b32_e32 v37, 3, v51
	s_addc_u32 s21, s0, s2
	v_and_b32_e32 v40, 0x1ff0, v75
	s_movk_i32 s0, 0xd0
	v_and_b32_e32 v1, 0x7e, v37
	v_mad_u32_u24 v0, v40, s0, 0
	v_mul_u32_u24_e32 v71, 0xd0, v49
	v_lshlrev_b32_e32 v52, 2, v1
	v_add3_u32 v0, v0, v71, v52
	s_waitcnt lgkmcnt(0)
	s_barrier
	ds_read2_b64 v[8:11], v0 offset1:4
	ds_read2_b64 v[4:7], v0 offset0:8 offset1:12
	ds_read2_b64 v[0:3], v0 offset0:16 offset1:20
	v_add_u32_e32 v87, -1, v12
	v_add_u32_e32 v12, s10, v36
	v_mul_hi_u32 v13, s44, v12
	v_add_u32_e32 v13, v12, v13
	v_lshrrev_b32_e32 v13, s45, v13
	v_cmp_lt_i32_e32 vcc, s84, v87
	v_mul_lo_u32 v13, v13, s36
	v_sub_u32_e32 v41, v12, v13
	s_waitcnt lgkmcnt(0)
	s_barrier
	s_cbranch_vccnz .LBB14_242
; %bb.238:
	v_lshlrev_b32_e32 v12, 1, v51
	v_and_b32_e32 v18, 62, v12
	v_lshlrev_b32_e32 v53, 4, v47
	v_lshrrev_b32_e32 v12, 2, v51
	v_lshlrev_b32_e32 v14, 2, v51
	v_add_u32_e32 v13, v53, v12
	v_and_or_b32 v22, v14, 12, 32
	v_and_b32_e32 v26, 28, v14
	v_and_b32_e32 v14, 16, v53
	;; [unrolled: 1-line block ×3, first 2 shown]
	v_add_u32_e32 v16, v12, v14
	v_add_u16_e32 v12, v12, v14
	v_lshrrev_b16_e32 v83, 1, v12
	v_add_u32_e32 v12, 32, v16
	v_lshrrev_b32_e32 v78, 1, v12
	v_add_u32_e32 v12, 34, v16
	v_lshrrev_b32_e32 v79, 1, v12
	v_mbcnt_lo_u32_b32 v12, -1, 0
	v_add_u32_e32 v15, v75, v37
	v_mbcnt_hi_u32_b32 v72, -1, v12
	v_lshlrev_b32_e32 v34, 1, v37
	v_mul_lo_u32 v28, s34, v15
	v_mov_b32_e32 v32, 0x1a00
	v_mul_u32_u24_e32 v84, 0xd0, v14
	v_and_or_b32 v17, v51, 12, v40
	v_and_b32_e32 v12, 64, v72
	v_mul_lo_u32 v14, s38, v15
	v_and_b32_e32 v35, 0xfc, v34
	v_mov_b32_e32 v19, 0
	s_ashr_i32 s35, s34, 31
	v_mul_lo_u32 v24, s34, v13
	v_mad_u32_u24 v81, v15, s0, v32
	v_lshl_add_u32 v30, s34, 5, v28
	v_lshrrev_b32_e32 v17, 2, v17
	v_add_u32_e32 v74, 64, v12
	s_ashr_i32 s39, s38, 31
	v_mul_lo_u32 v12, s38, v13
	v_lshl_add_u32 v16, s38, 5, v14
	v_and_b32_e32 v33, 8, v75
	v_mul_u32_u24_e32 v55, 0xd0, v35
	v_or_b32_e32 v35, 2, v34
	v_or_b32_e32 v34, 3, v34
	s_movk_i32 s0, 0x1a0
	v_mad_i64_i32 v[20:21], s[2:3], v41, s14, 0
	v_mul_u32_u24_e32 v73, 0xd0, v13
	v_ashrrev_i32_e32 v25, 31, v24
	v_mov_b32_e32 v23, v19
	v_mul_u32_u24_e32 v77, 0xd0, v15
	v_mov_b32_e32 v27, v19
	v_ashrrev_i32_e32 v29, 31, v28
	v_ashrrev_i32_e32 v31, 31, v30
	v_mul_u32_u24_e32 v82, 0x90, v17
	v_xor_b32_e32 v80, 32, v72
	v_xor_b32_e32 v76, 16, v72
	v_ashrrev_i32_e32 v13, 31, v12
	v_ashrrev_i32_e32 v15, 31, v14
	;; [unrolled: 1-line block ×3, first 2 shown]
	v_mul_u32_u24_e32 v56, 0xd0, v35
	v_mul_u32_u24_e32 v57, 0xd0, v34
	;; [unrolled: 1-line block ×3, first 2 shown]
	v_mad_u32_u24 v58, v33, s0, v32
	v_mov_b64_e32 v[32:33], s[38:39]
	v_mov_b64_e32 v[34:35], s[34:35]
	v_mul_u32_u24_e32 v88, 0x90, v36
	v_lshlrev_b32_e32 v54, 1, v49
	s_cbranch_execz .LBB14_243
; %bb.239:
	v_mov_b32_e32 v40, 0xfeffffff
	v_mov_b32_e32 v37, 0
	;; [unrolled: 1-line block ×14, first 2 shown]
	s_branch .LBB14_246
.LBB14_240:
                                        ; implicit-def: $sgpr54_sgpr55
	s_load_dwordx2 s[52:53], s[0:1], 0x74
	v_cvt_f32_u32_e32 v1, s56
	s_branch .LBB14_2
.LBB14_241:
                                        ; implicit-def: $sgpr58_sgpr59
	s_load_dwordx2 s[44:45], s[0:1], 0x5c
	s_branch .LBB14_5
.LBB14_242:
                                        ; implicit-def: $vgpr18
                                        ; implicit-def: $vgpr20_vgpr21
                                        ; implicit-def: $vgpr34_vgpr35
                                        ; implicit-def: $vgpr53
                                        ; implicit-def: $vgpr73
                                        ; implicit-def: $vgpr24_vgpr25
                                        ; implicit-def: $vgpr22
                                        ; implicit-def: $vgpr77
                                        ; implicit-def: $vgpr26
                                        ; implicit-def: $vgpr28_vgpr29
                                        ; implicit-def: $vgpr81
                                        ; implicit-def: $vgpr30_vgpr31
                                        ; implicit-def: $vgpr84
                                        ; implicit-def: $vgpr82
                                        ; implicit-def: $vgpr83
                                        ; implicit-def: $vgpr78
                                        ; implicit-def: $vgpr79
                                        ; implicit-def: $vgpr72
                                        ; implicit-def: $vgpr74
                                        ; implicit-def: $vgpr80
                                        ; implicit-def: $vgpr76
                                        ; implicit-def: $vgpr32_vgpr33
                                        ; implicit-def: $vgpr12_vgpr13
                                        ; implicit-def: $vgpr14_vgpr15
                                        ; implicit-def: $vgpr16_vgpr17
                                        ; implicit-def: $vgpr55
                                        ; implicit-def: $vgpr56
                                        ; implicit-def: $vgpr57
                                        ; implicit-def: $vgpr66
                                        ; implicit-def: $vgpr58
	v_mul_u32_u24_e32 v88, 0x90, v36
	v_lshlrev_b32_e32 v54, 1, v49
.LBB14_243:
	v_lshlrev_b32_e32 v12, 1, v51
	v_and_b32_e32 v18, 62, v12
	v_mad_i64_i32 v[20:21], s[0:1], v41, s14, 0
	v_mov_b32_e32 v33, 0
	v_lshlrev_b32_e32 v32, 1, v18
	v_lshl_add_u64 v[12:13], v[20:21], 1, s[22:23]
	v_lshl_add_u64 v[34:35], v[12:13], 0, v[32:33]
	v_lshlrev_b32_e32 v53, 4, v47
	v_lshrrev_b32_e32 v12, 2, v51
	v_lshlrev_b32_e32 v15, 2, v51
	v_add3_u32 v89, 0, v88, v32
	v_add_u32_e32 v13, v53, v12
	s_movk_i32 s0, 0xd0
	v_and_b32_e32 v32, 12, v15
	v_mad_u32_u24 v14, v13, s0, 0
	v_lshlrev_b32_e32 v16, 2, v32
	s_movk_i32 s1, 0x80
	v_add3_u32 v90, v14, v16, s1
	v_add_u32_e32 v14, v75, v37
	v_and_b32_e32 v26, 28, v15
	v_mul_u32_u24_e32 v77, 0xd0, v14
	v_lshlrev_b32_e32 v15, 2, v26
	v_add3_u32 v91, 0, v77, v15
	v_mov_b32_e32 v36, 0x1a00
	v_and_b32_e32 v15, 16, v53
	v_and_b32_e32 v12, 0xfc, v12
	v_and_or_b32 v17, v51, 12, v40
	v_mad_u32_u24 v81, v14, s0, v36
	v_add_u32_e32 v16, v12, v15
	v_lshrrev_b32_e32 v17, 2, v17
	s_movk_i32 s0, 0x90
	v_add_u16_e32 v12, v12, v15
	v_mul_u32_u24_e32 v82, 0x90, v17
	v_mad_u32_u24 v17, v17, s0, 0
	v_lshrrev_b16_e32 v83, 1, v12
	v_add_u32_e32 v12, 32, v16
	v_lshrrev_b32_e32 v78, 1, v12
	v_lshl_add_u32 v93, v12, 1, v17
	v_add_u32_e32 v12, 34, v16
	v_lshrrev_b32_e32 v79, 1, v12
	v_lshl_add_u32 v94, v12, 1, v17
	v_mbcnt_lo_u32_b32 v12, -1, 0
	v_mbcnt_hi_u32_b32 v72, -1, v12
	v_and_b32_e32 v12, 64, v72
	v_add_u32_e32 v74, 64, v12
	v_xor_b32_e32 v80, 32, v72
	v_cmp_lt_i32_e32 vcc, v80, v74
	v_xor_b32_e32 v76, 16, v72
	v_lshlrev_b32_e32 v37, 1, v37
	v_cndmask_b32_e32 v12, v72, v80, vcc
	v_cmp_lt_i32_e32 vcc, v76, v74
	v_and_b32_e32 v43, 0xfc, v37
	v_mul_lo_u32 v28, s34, v14
	v_lshlrev_b32_e32 v95, 2, v12
	v_cndmask_b32_e32 v12, v72, v76, vcc
	v_mul_lo_u32 v14, s38, v14
	v_and_b32_e32 v40, 8, v75
	v_mul_u32_u24_e32 v55, 0xd0, v43
	v_or_b32_e32 v43, 2, v37
	v_or_b32_e32 v37, 3, v37
	s_movk_i32 s0, 0x1a0
	v_mul_lo_u32 v24, s34, v13
	v_lshl_add_u32 v30, s34, 5, v28
	v_add3_u32 v41, 0, v71, v52
	v_mul_u32_u24_e32 v84, 0xd0, v15
	v_lshl_add_u32 v42, v83, 2, v17
	v_lshlrev_b32_e32 v96, 2, v12
	v_mul_lo_u32 v12, s38, v13
	v_lshl_add_u32 v16, s38, 5, v14
	v_mul_u32_u24_e32 v56, 0xd0, v43
	v_mul_u32_u24_e32 v57, 0xd0, v37
	v_mad_u32_u24 v37, v40, s0, 0
	v_mov_b32_e32 v19, v33
	s_ashr_i32 s35, s34, 31
	v_mul_u32_u24_e32 v73, 0xd0, v13
	v_ashrrev_i32_e32 v25, 31, v24
	v_or_b32_e32 v22, 32, v32
	v_mov_b32_e32 v23, v33
	v_mov_b32_e32 v27, v33
	v_ashrrev_i32_e32 v29, 31, v28
	v_add_u32_e32 v92, 0x1a00, v91
	v_ashrrev_i32_e32 v31, 31, v30
	s_ashr_i32 s39, s38, 31
	v_ashrrev_i32_e32 v13, 31, v12
	v_ashrrev_i32_e32 v15, 31, v14
	;; [unrolled: 1-line block ×3, first 2 shown]
	v_mul_u32_u24_e32 v66, 0x1a0, v40
	v_add3_u32 v97, v37, v55, v54
	v_add3_u32 v98, v37, v56, v54
	v_add3_u32 v99, v37, v57, v54
	v_mad_u32_u24 v58, v40, s0, v36
	s_lshl_b32 s26, s84, 6
	v_mov_b32_e32 v40, 0xfeffffff
	v_lshlrev_b32_e32 v32, 2, v32
	v_lshlrev_b32_e32 v36, 2, v26
	v_add_u32_e32 v100, v41, v84
	v_add_u32_e32 v101, 0x3400, v42
	s_mov_b32 s2, 0x3fb8aa3b
	s_mov_b32 s3, 0xc2ce8ed0
	;; [unrolled: 1-line block ×5, first 2 shown]
	v_mov_b32_e32 v102, 0x7f800000
	v_mov_b32_e32 v37, v33
	;; [unrolled: 1-line block ×14, first 2 shown]
.LBB14_244:                             ; =>This Inner Loop Header: Depth=1
	s_mul_hi_i32 s1, s26, s34
	s_mul_i32 s0, s26, s34
	s_ashr_i32 s27, s26, 31
	s_lshl_b64 s[0:1], s[0:1], 2
	s_add_u32 s0, s24, s0
	v_mov_b32_e32 v104, v40
	v_lshl_add_u64 v[40:41], s[26:27], 1, v[34:35]
	s_addc_u32 s1, s25, s1
	global_load_dword v120, v[40:41], off
	v_lshl_add_u64 v[40:41], v[24:25], 2, s[0:1]
	v_mov_b32_e32 v103, v37
	v_mov_b32_e32 v37, v33
	v_lshl_add_u64 v[42:43], v[28:29], 2, s[0:1]
	v_lshl_add_u64 v[44:45], v[30:31], 2, s[0:1]
	;; [unrolled: 1-line block ×5, first 2 shown]
	global_load_dwordx4 v[106:109], v[40:41], off offset:128
	global_load_dwordx4 v[110:113], v[42:43], off
	global_load_dwordx4 v[114:117], v[44:45], off
	v_add_u32_e32 v105, 0x1800, v100
	s_mul_hi_i32 s5, s26, s38
	s_mul_i32 s4, s26, s38
	s_lshl_b64 s[4:5], s[4:5], 2
	s_add_u32 s0, s20, s4
	s_addc_u32 s1, s21, s5
	v_lshl_add_u64 v[118:119], v[14:15], 2, s[0:1]
	v_lshl_add_u64 v[126:127], v[118:119], 0, v[36:37]
	;; [unrolled: 1-line block ×4, first 2 shown]
	s_add_i32 s84, s84, 1
	v_cmp_lt_i32_e32 vcc, s84, v87
	s_add_i32 s26, s26, 64
	s_and_b64 vcc, exec, vcc
	s_waitcnt vmcnt(3)
	ds_write_b32 v89, v120 offset:13312
	s_waitcnt vmcnt(2)
	ds_write_b128 v90, v[106:109]
	s_waitcnt vmcnt(1)
	ds_write_b128 v91, v[110:113]
	;; [unrolled: 2-line block ×3, first 2 shown]
	s_waitcnt lgkmcnt(0)
	s_barrier
	ds_read2_b64 v[40:43], v100 offset1:4
	ds_read2_b64 v[110:113], v105 offset0:64 offset1:68
	s_waitcnt lgkmcnt(1)
	v_mfma_f32_16x16x16_f16 v[106:109], v[40:41], v[8:9], 0
	s_waitcnt lgkmcnt(0)
	v_mfma_f32_16x16x16_f16 v[114:117], v[110:111], v[8:9], 0
	v_lshl_add_u64 v[110:111], v[16:17], 2, s[0:1]
	v_lshl_add_u64 v[128:129], v[110:111], 0, v[36:37]
	v_mfma_f32_16x16x16_f16 v[40:43], v[42:43], v[10:11], v[106:109]
	v_mfma_f32_16x16x16_f16 v[106:109], v[112:113], v[10:11], v[114:117]
	ds_read2_b64 v[110:113], v100 offset0:8 offset1:12
	s_nop 2
	ds_read2_b64 v[114:117], v105 offset0:72 offset1:76
	ds_read2_b64 v[118:121], v100 offset0:16 offset1:20
	;; [unrolled: 1-line block ×3, first 2 shown]
	s_waitcnt lgkmcnt(3)
	v_mfma_f32_16x16x16_f16 v[40:43], v[110:111], v[4:5], v[40:43]
	s_waitcnt lgkmcnt(0)
	s_barrier
	v_mfma_f32_16x16x16_f16 v[106:109], v[114:115], v[4:5], v[106:109]
	ds_read2_b32 v[130:131], v101 offset1:1
	ds_read_b32 v37, v93 offset:13312
	ds_read_b32 v105, v94 offset:13312
	v_mfma_f32_16x16x16_f16 v[40:43], v[112:113], v[6:7], v[40:43]
	v_mfma_f32_16x16x16_f16 v[106:109], v[116:117], v[6:7], v[106:109]
	global_load_dwordx4 v[110:113], v[44:45], off offset:128
	global_load_dwordx4 v[114:117], v[126:127], off
	s_waitcnt lgkmcnt(2)
	v_cvt_f32_f16_e32 v44, v130
	global_load_dwordx4 v[126:129], v[128:129], off
	v_mfma_f32_16x16x16_f16 v[40:43], v[118:119], v[0:1], v[40:43]
	v_cvt_f32_f16_sdwa v45, v130 dst_sel:DWORD dst_unused:UNUSED_PAD src0_sel:WORD_1
	v_cvt_f32_f16_e32 v118, v131
	v_cvt_f32_f16_sdwa v119, v131 dst_sel:DWORD dst_unused:UNUSED_PAD src0_sel:WORD_1
	v_mfma_f32_16x16x16_f16 v[106:109], v[122:123], v[0:1], v[106:109]
	s_waitcnt lgkmcnt(1)
	v_cvt_f32_f16_e32 v122, v37
	v_cvt_f32_f16_sdwa v37, v37 dst_sel:DWORD dst_unused:UNUSED_PAD src0_sel:WORD_1
	s_waitcnt vmcnt(2)
	ds_write_b128 v90, v[110:113]
	s_waitcnt vmcnt(1)
	ds_write_b128 v91, v[114:117]
	;; [unrolled: 2-line block ×3, first 2 shown]
	v_mfma_f32_16x16x16_f16 v[40:43], v[120:121], v[2:3], v[40:43]
	s_waitcnt lgkmcnt(3)
	v_cvt_f32_f16_e32 v120, v105
	v_cvt_f32_f16_sdwa v105, v105 dst_sel:DWORD dst_unused:UNUSED_PAD src0_sel:WORD_1
	s_waitcnt lgkmcnt(0)
	v_mfma_f32_16x16x16_f16 v[106:109], v[124:125], v[2:3], v[106:109]
	s_barrier
	s_nop 1
	v_add_f32_e32 v44, v40, v44
	v_add_f32_e32 v41, v41, v45
	;; [unrolled: 1-line block ×4, first 2 shown]
	s_nop 0
	v_add_f32_e32 v37, v107, v37
	v_add_f32_e32 v40, 0x40051340, v44
	;; [unrolled: 1-line block ×8, first 2 shown]
	v_max3_f32 v40, v104, v40, v107
	v_add_f32_e32 v118, 0x40051340, v45
	v_add_f32_e32 v119, 0x40051340, v37
	v_max3_f32 v40, v40, v108, v109
	v_add_f32_e32 v120, 0x40051340, v106
	v_add_f32_e32 v121, 0x40051340, v105
	v_max3_f32 v40, v40, v118, v119
	v_max3_f32 v40, v40, v120, v121
	ds_bpermute_b32 v107, v95, v40
	s_waitcnt lgkmcnt(0)
	v_max_f32_e32 v107, v107, v107
	v_max_f32_e32 v40, v40, v107
	ds_bpermute_b32 v107, v96, v40
	s_waitcnt lgkmcnt(0)
	v_max_f32_e32 v107, v107, v107
	v_max_f32_e32 v40, v40, v107
	v_sub_f32_e32 v44, v44, v40
	v_sub_f32_e32 v41, v41, v40
	;; [unrolled: 1-line block ×9, first 2 shown]
	v_mul_f32_e32 v107, 0x3fb8aa3b, v44
	v_mul_f32_e32 v108, 0x3fb8aa3b, v41
	v_mul_f32_e32 v109, 0x3fb8aa3b, v42
	v_mul_f32_e32 v118, 0x3fb8aa3b, v43
	v_mul_f32_e32 v119, 0x3fb8aa3b, v45
	v_mul_f32_e32 v120, 0x3fb8aa3b, v37
	v_mul_f32_e32 v121, 0x3fb8aa3b, v106
	v_mul_f32_e32 v122, 0x3fb8aa3b, v105
	v_mul_f32_e32 v123, 0x3fb8aa3b, v104
	v_fma_f32 v124, v44, s2, -v107
	v_rndne_f32_e32 v125, v107
	v_fma_f32 v130, v41, s2, -v108
	v_rndne_f32_e32 v131, v108
	;; [unrolled: 2-line block ×9, first 2 shown]
	v_fmac_f32_e32 v124, 0x32a5705f, v44
	v_sub_f32_e32 v107, v107, v125
	v_fmac_f32_e32 v130, 0x32a5705f, v41
	v_sub_f32_e32 v108, v108, v131
	;; [unrolled: 2-line block ×9, first 2 shown]
	v_add_f32_e32 v107, v107, v124
	v_add_f32_e32 v108, v108, v130
	;; [unrolled: 1-line block ×9, first 2 shown]
	v_cvt_i32_f32_e32 v125, v125
	v_cvt_i32_f32_e32 v131, v131
	;; [unrolled: 1-line block ×9, first 2 shown]
	v_exp_f32_e32 v107, v107
	v_exp_f32_e32 v108, v108
	;; [unrolled: 1-line block ×9, first 2 shown]
	v_ldexp_f32 v107, v107, v125
	v_ldexp_f32 v108, v108, v131
	v_cmp_ngt_f32_e64 s[0:1], s3, v41
	v_ldexp_f32 v109, v109, v133
	v_cmp_ngt_f32_e64 s[4:5], s3, v42
	v_ldexp_f32 v118, v118, v135
	v_cmp_ngt_f32_e64 s[6:7], s3, v43
	v_ldexp_f32 v119, v119, v137
	v_cmp_ngt_f32_e64 s[8:9], s3, v45
	v_ldexp_f32 v120, v120, v139
	v_cmp_ngt_f32_e64 s[10:11], s3, v37
	v_ldexp_f32 v121, v121, v141
	v_cmp_ngt_f32_e64 s[12:13], s3, v106
	v_ldexp_f32 v122, v122, v143
	v_cmp_ngt_f32_e64 s[14:15], s3, v105
	v_ldexp_f32 v123, v123, v145
	v_cmp_ngt_f32_e64 s[16:17], s3, v104
	v_cmp_ngt_f32_e64 s[18:19], s3, v44
	v_cndmask_b32_e64 v108, 0, v108, s[0:1]
	v_cmp_nlt_f32_e64 s[0:1], s28, v41
	v_cndmask_b32_e64 v107, 0, v107, s[18:19]
	v_cndmask_b32_e64 v41, 0, v109, s[4:5]
	v_cmp_nlt_f32_e64 s[4:5], s28, v42
	v_cndmask_b32_e64 v42, 0, v118, s[6:7]
	v_cmp_nlt_f32_e64 s[6:7], s28, v43
	;; [unrolled: 2-line block ×7, first 2 shown]
	v_cmp_nlt_f32_e64 s[18:19], s28, v44
	v_cndmask_b32_e64 v41, v102, v41, s[4:5]
	v_cndmask_b32_e64 v105, v102, v105, s[16:17]
	;; [unrolled: 1-line block ×4, first 2 shown]
	v_cmp_le_f32_e64 s[0:1], s29, v104
	v_cndmask_b32_e64 v42, v102, v42, s[6:7]
	v_add_f32_e32 v104, v44, v107
	v_cndmask_b32_e64 v105, 0, v105, s[0:1]
	v_cvt_pk_f16_f32 v135, v41, v42
	v_cvt_pk_f16_f32 v134, v44, v107
	v_add_f32_e32 v41, v41, v104
	v_cvt_f16_f32_e32 v44, v105
	v_cndmask_b32_e64 v43, v102, v43, s[8:9]
	v_add_f32_e32 v41, v42, v41
	v_cndmask_b32_e64 v45, v102, v45, s[10:11]
	v_add_f32_e32 v41, v43, v41
	v_cndmask_b32_e64 v37, v102, v37, s[12:13]
	v_cndmask_b32_e64 v106, v102, v106, s[14:15]
	v_add_f32_e32 v41, v45, v41
	v_cvt_pk_f16_f32 v137, v37, v106
	v_add_f32_e32 v37, v37, v41
	v_mul_u32_u24_e32 v41, 0x10001, v44
	v_cvt_pk_f16_f32 v136, v43, v45
	v_add_f32_e32 v37, v106, v37
	v_pk_mul_f16 v43, v86, v41
	v_pk_mul_f16 v45, v85, v41
	v_pk_mul_f16 v70, v70, v41
	v_pk_mul_f16 v69, v69, v41
	v_pk_mul_f16 v68, v68, v41
	v_pk_mul_f16 v67, v67, v41
	v_pk_mul_f16 v64, v64, v41
	v_pk_mul_f16 v85, v63, v41
	v_pk_mul_f16 v86, v62, v41
	v_pk_mul_f16 v108, v61, v41
	v_pk_mul_f16 v109, v60, v41
	v_pk_mul_f16 v41, v59, v41
	v_fmac_f32_e32 v37, v103, v105
	v_cvt_f32_f16_e32 v60, v70
	v_cvt_f32_f16_sdwa v61, v70 dst_sel:DWORD dst_unused:UNUSED_PAD src0_sel:WORD_1
	v_cvt_f32_f16_e32 v62, v69
	v_cvt_f32_f16_sdwa v63, v69 dst_sel:DWORD dst_unused:UNUSED_PAD src0_sel:WORD_1
	;; [unrolled: 2-line block ×10, first 2 shown]
	ds_read_u16 v41, v97 offset:208
	ds_read_u16 v59, v97
	ds_read_u16 v64, v97 offset:32
	ds_read_u16 v67, v97 offset:240
	;; [unrolled: 1-line block ×14, first 2 shown]
	ds_read_u16 v68, v98
	ds_read_u16 v109, v98 offset:32
	ds_read_u16 v111, v98 offset:6656
	;; [unrolled: 1-line block ×23, first 2 shown]
	ds_read_u16 v69, v99
	ds_read_u16 v156, v99 offset:32
	ds_read_u16 v157, v99 offset:64
	;; [unrolled: 1-line block ×7, first 2 shown]
	s_waitcnt lgkmcnt(7)
	v_perm_b32 v69, v69, v68, s33
	v_perm_b32 v68, v41, v59, s33
	;; [unrolled: 1-line block ×4, first 2 shown]
	s_waitcnt lgkmcnt(6)
	v_perm_b32 v109, v156, v109, s33
	v_perm_b32 v108, v67, v64, s33
	v_cvt_f32_f16_e32 v42, v43
	v_cvt_f32_f16_sdwa v43, v43 dst_sel:DWORD dst_unused:UNUSED_PAD src0_sel:WORD_1
	v_cvt_f32_f16_e32 v44, v45
	v_cvt_f32_f16_sdwa v45, v45 dst_sel:DWORD dst_unused:UNUSED_PAD src0_sel:WORD_1
	v_perm_b32 v129, v128, v117, s33
	v_perm_b32 v128, v149, v110, s33
	s_waitcnt lgkmcnt(5)
	v_perm_b32 v111, v157, v138, s33
	v_mfma_f32_16x16x16_f16 v[42:45], v[68:69], v[134:135], v[42:45]
	v_perm_b32 v110, v112, v70, s33
	v_perm_b32 v68, v150, v113, s33
	;; [unrolled: 1-line block ×3, first 2 shown]
	v_mfma_f32_16x16x16_f16 v[60:63], v[108:109], v[134:135], v[60:63]
	s_waitcnt lgkmcnt(3)
	v_perm_b32 v109, v159, v139, s33
	v_perm_b32 v108, v114, v85, s33
	;; [unrolled: 1-line block ×5, first 2 shown]
	v_mfma_f32_16x16x16_f16 v[104:107], v[110:111], v[134:135], v[104:107]
	v_perm_b32 v138, v151, v115, s33
	v_cvt_f16_f32_e32 v59, v60
	v_cvt_f16_f32_e32 v61, v61
	v_mfma_f32_16x16x16_f16 v[108:111], v[108:109], v[134:135], v[118:121]
	v_cvt_f16_f32_e32 v62, v62
	v_cvt_f16_f32_e32 v63, v63
	v_cvt_f16_f32_e32 v41, v42
	v_mfma_f32_16x16x16_f16 v[112:115], v[112:113], v[134:135], v[122:125]
	v_cvt_f16_f32_e32 v43, v43
	;; [unrolled: 4-line block ×3, first 2 shown]
	v_cvt_f16_f32_e32 v67, v105
	v_cvt_f16_f32_e32 v70, v106
	;; [unrolled: 1-line block ×15, first 2 shown]
	v_cvt_f32_f16_e32 v60, v59
	v_cvt_f32_f16_e32 v61, v61
	;; [unrolled: 1-line block ×4, first 2 shown]
	v_perm_b32 v69, v143, v158, s33
	s_waitcnt lgkmcnt(2)
	v_perm_b32 v139, v144, v160, s33
	s_waitcnt lgkmcnt(1)
	v_perm_b32 v121, v146, v161, s33
	v_perm_b32 v120, v153, v152, s33
	s_waitcnt lgkmcnt(0)
	v_perm_b32 v125, v147, v162, s33
	v_perm_b32 v124, v154, v155, s33
	v_cvt_f32_f16_e32 v42, v41
	v_cvt_f32_f16_e32 v43, v43
	v_cvt_f32_f16_e32 v44, v44
	v_cvt_f32_f16_e32 v45, v45
	v_cvt_f32_f16_e32 v104, v64
	v_cvt_f32_f16_e32 v105, v67
	v_cvt_f32_f16_e32 v106, v70
	v_cvt_f32_f16_e32 v107, v85
	v_cvt_f32_f16_e32 v108, v86
	v_cvt_f32_f16_e32 v109, v103
	v_mfma_f32_16x16x16_f16 v[112:115], v[128:129], v[136:137], v[60:63]
	v_cvt_f32_f16_e32 v110, v110
	v_cvt_f32_f16_e32 v111, v111
	;; [unrolled: 1-line block ×10, first 2 shown]
	v_mfma_f32_16x16x16_f16 v[42:45], v[126:127], v[136:137], v[42:45]
	v_cvt_pk_f16_f32 v70, v112, v113
	s_barrier
	v_mfma_f32_16x16x16_f16 v[104:107], v[68:69], v[136:137], v[104:107]
	v_cvt_pk_f16_f32 v69, v114, v115
	s_nop 3
	v_cvt_pk_f16_f32 v86, v42, v43
	v_cvt_pk_f16_f32 v85, v44, v45
	v_mfma_f32_16x16x16_f16 v[108:111], v[138:139], v[136:137], v[108:111]
	v_cvt_pk_f16_f32 v68, v104, v105
	v_cvt_pk_f16_f32 v67, v106, v107
	v_mfma_f32_16x16x16_f16 v[120:123], v[120:121], v[136:137], v[60:63]
	v_mfma_f32_16x16x16_f16 v[116:119], v[124:125], v[136:137], v[116:119]
	s_nop 3
	v_cvt_pk_f16_f32 v64, v108, v109
	v_cvt_pk_f16_f32 v63, v110, v111
	s_nop 0
	v_cvt_pk_f16_f32 v62, v120, v121
	v_cvt_pk_f16_f32 v61, v122, v123
	;; [unrolled: 1-line block ×4, first 2 shown]
	s_cbranch_vccnz .LBB14_244
; %bb.245:
	v_mov_b64_e32 v[32:33], s[38:39]
	v_mov_b64_e32 v[34:35], s[34:35]
.LBB14_246:
	s_lshl_b32 s0, s84, 6
	s_ashr_i32 s1, s0, 31
	s_lshl_b64 s[2:3], s[0:1], 1
	s_add_u32 s2, s22, s2
	s_addc_u32 s3, s23, s3
	v_lshl_add_u64 v[20:21], v[20:21], 1, s[2:3]
	v_lshl_add_u64 v[20:21], v[18:19], 1, v[20:21]
	global_load_dword v19, v[20:21], off
	v_mul_lo_u32 v20, v34, s1
	v_mul_hi_u32 v21, v34, s0
	v_add_u32_e32 v20, v21, v20
	v_mul_lo_u32 v21, v35, s0
	v_add_u32_e32 v21, v20, v21
	v_mul_lo_u32 v20, v34, s0
	v_lshlrev_b64 v[20:21], 2, v[20:21]
	v_lshl_add_u64 v[34:35], s[24:25], 0, v[20:21]
	v_lshl_add_u64 v[20:21], v[24:25], 2, v[34:35]
	v_lshlrev_b64 v[24:25], 2, v[22:23]
	v_lshl_add_u64 v[94:95], v[20:21], 0, v[24:25]
	v_lshl_add_u64 v[28:29], v[28:29], 2, v[34:35]
	;; [unrolled: 3-line block ×3, first 2 shown]
	v_lshl_add_u64 v[34:35], v[28:29], 0, v[20:21]
	global_load_dwordx4 v[28:31], v[94:95], off
	global_load_dwordx4 v[42:45], v[96:97], off
	global_load_dwordx4 v[90:93], v[34:35], off
	v_lshlrev_b32_e32 v18, 1, v18
	v_lshlrev_b32_e32 v22, 2, v22
	;; [unrolled: 1-line block ×3, first 2 shown]
	v_add_u32_e32 v26, 0, v71
	v_add3_u32 v18, 0, v88, v18
	v_add3_u32 v34, 0, v73, v22
	;; [unrolled: 1-line block ×5, first 2 shown]
	v_cmp_lt_i32_e32 vcc, v80, v74
	v_lshlrev_b32_e32 v23, 2, v83
	s_movk_i32 s2, 0x3400
	s_mov_b32 s4, 0x3fb8aa3b
	s_mov_b32 s3, 0x42b17218
	s_waitcnt vmcnt(3)
	ds_write_b32 v18, v19 offset:13312
	s_waitcnt vmcnt(2)
	ds_write_b128 v34, v[28:31]
	s_waitcnt vmcnt(1)
	ds_write_b128 v35, v[42:45]
	;; [unrolled: 2-line block ×3, first 2 shown]
	s_waitcnt lgkmcnt(0)
	s_barrier
	ds_read2_b64 v[26:29], v22 offset1:4
	v_add_u32_e32 v18, 0x1800, v22
	ds_read2_b64 v[88:91], v18 offset0:64 offset1:68
	s_waitcnt lgkmcnt(1)
	v_mfma_f32_16x16x16_f16 v[42:45], v[26:27], v[8:9], 0
	v_add_u32_e32 v19, 0, v82
	v_cndmask_b32_e32 v30, v72, v80, vcc
	v_lshl_add_u32 v31, v78, 2, v19
	v_mfma_f32_16x16x16_f16 v[26:29], v[28:29], v[10:11], v[42:45]
	s_nop 3
	ds_read2_b64 v[42:45], v22 offset0:8 offset1:12
	ds_read2_b64 v[96:99], v18 offset0:72 offset1:76
	v_lshl_add_u32 v41, v79, 2, v19
	ds_read2_b64 v[78:81], v22 offset0:16 offset1:20
	s_waitcnt lgkmcnt(3)
	v_mfma_f32_16x16x16_f16 v[92:95], v[88:89], v[8:9], 0
	v_add3_u32 v23, v19, v23, s2
	v_lshlrev_b32_e32 v22, 2, v30
	v_cmp_lt_i32_e32 vcc, v76, v74
	s_waitcnt lgkmcnt(2)
	v_mfma_f32_16x16x16_f16 v[26:29], v[42:43], v[4:5], v[26:29]
	s_mov_b32 s2, 0xc2ce8ed0
	v_mfma_f32_16x16x16_f16 v[8:11], v[90:91], v[10:11], v[92:95]
	v_mfma_f32_16x16x16_f16 v[26:29], v[44:45], v[6:7], v[26:29]
	ds_read2_b64 v[42:45], v18 offset0:80 offset1:84
	s_waitcnt lgkmcnt(0)
	s_barrier
	v_mfma_f32_16x16x16_f16 v[8:11], v[96:97], v[4:5], v[8:11]
	ds_read2_b32 v[18:19], v23 offset1:1
	v_mfma_f32_16x16x16_f16 v[4:7], v[98:99], v[6:7], v[8:11]
	v_mfma_f32_16x16x16_f16 v[8:11], v[78:79], v[0:1], v[26:29]
	ds_read_b32 v23, v31 offset:13312
	s_nop 1
	ds_read_b32 v26, v41 offset:13312
	s_waitcnt lgkmcnt(2)
	v_cvt_f32_f16_e32 v27, v18
	v_cvt_f32_f16_sdwa v18, v18 dst_sel:DWORD dst_unused:UNUSED_PAD src0_sel:WORD_1
	v_mfma_f32_16x16x16_f16 v[4:7], v[42:43], v[0:1], v[4:7]
	v_cvt_f32_f16_e32 v28, v19
	v_cvt_f32_f16_sdwa v19, v19 dst_sel:DWORD dst_unused:UNUSED_PAD src0_sel:WORD_1
	s_waitcnt lgkmcnt(1)
	v_cvt_f32_f16_e32 v29, v23
	v_mfma_f32_16x16x16_f16 v[8:11], v[80:81], v[2:3], v[8:11]
	v_cvt_f32_f16_sdwa v23, v23 dst_sel:DWORD dst_unused:UNUSED_PAD src0_sel:WORD_1
	s_waitcnt lgkmcnt(0)
	v_cvt_f32_f16_e32 v30, v26
	v_cvt_f32_f16_sdwa v26, v26 dst_sel:DWORD dst_unused:UNUSED_PAD src0_sel:WORD_1
	v_mfma_f32_16x16x16_f16 v[0:3], v[44:45], v[2:3], v[4:7]
	v_mov_b32_e32 v31, 0x7f800000
	s_nop 1
	v_add_f32_e32 v4, v8, v27
	v_add_f32_e32 v5, v9, v18
	;; [unrolled: 1-line block ×4, first 2 shown]
	s_nop 0
	v_add_f32_e32 v0, v0, v29
	v_add_f32_e32 v28, v1, v23
	v_add_f32_e32 v29, v2, v30
	v_add_f32_e32 v1, 0x40051340, v4
	v_add_f32_e32 v2, 0x40051340, v5
	v_add_f32_e32 v30, v3, v26
	v_add_f32_e32 v3, 0x40051340, v6
	v_add_f32_e32 v8, 0x40051340, v7
	v_max3_f32 v1, v40, v1, v2
	v_add_f32_e32 v9, 0x40051340, v0
	v_add_f32_e32 v10, 0x40051340, v28
	v_max3_f32 v1, v1, v3, v8
	v_add_f32_e32 v11, 0x40051340, v29
	v_add_f32_e32 v18, 0x40051340, v30
	v_max3_f32 v1, v1, v9, v10
	v_max3_f32 v1, v1, v11, v18
	ds_bpermute_b32 v2, v22, v1
	v_cndmask_b32_e32 v3, v72, v76, vcc
	v_lshlrev_b32_e32 v27, 2, v3
	s_waitcnt lgkmcnt(0)
	v_max_f32_e32 v2, v2, v2
	v_max_f32_e32 v1, v1, v2
	ds_bpermute_b32 v2, v27, v1
	s_waitcnt lgkmcnt(0)
	v_max_f32_e32 v2, v2, v2
	v_max_f32_e32 v26, v1, v2
	v_sub_f32_e32 v1, v4, v26
	v_sub_f32_e32 v2, v5, v26
	v_mul_f32_e32 v4, 0x3fb8aa3b, v1
	v_mul_f32_e32 v5, 0x3fb8aa3b, v2
	v_fma_f32 v8, v1, s4, -v4
	v_rndne_f32_e32 v9, v4
	v_fma_f32 v10, v2, s4, -v5
	v_rndne_f32_e32 v11, v5
	v_fmac_f32_e32 v8, 0x32a5705f, v1
	v_sub_f32_e32 v4, v4, v9
	v_sub_f32_e32 v3, v6, v26
	v_fmac_f32_e32 v10, 0x32a5705f, v2
	v_sub_f32_e32 v5, v5, v11
	v_add_f32_e32 v4, v4, v8
	v_mul_f32_e32 v6, 0x3fb8aa3b, v3
	v_cvt_i32_f32_e32 v9, v9
	v_add_f32_e32 v5, v5, v10
	v_exp_f32_e32 v4, v4
	v_fma_f32 v18, v3, s4, -v6
	v_rndne_f32_e32 v19, v6
	v_cvt_i32_f32_e32 v11, v11
	v_exp_f32_e32 v5, v5
	v_fmac_f32_e32 v18, 0x32a5705f, v3
	v_sub_f32_e32 v6, v6, v19
	v_add_f32_e32 v6, v6, v18
	v_cvt_i32_f32_e32 v23, v19
	v_exp_f32_e32 v6, v6
	v_ldexp_f32 v4, v4, v9
	v_cmp_ngt_f32_e32 vcc, s2, v1
	v_ldexp_f32 v5, v5, v11
	v_sub_f32_e32 v41, v7, v26
	v_cndmask_b32_e32 v4, 0, v4, vcc
	v_cmp_ngt_f32_e32 vcc, s2, v2
	v_sub_f32_e32 v43, v0, v26
	v_mul_lo_u32 v0, v32, s1
	v_cndmask_b32_e32 v5, 0, v5, vcc
	v_cmp_nlt_f32_e32 vcc, s3, v1
	v_ldexp_f32 v1, v6, v23
	v_mul_f32_e32 v44, 0x3fb8aa3b, v43
	v_cndmask_b32_e32 v18, v31, v4, vcc
	v_cmp_nlt_f32_e32 vcc, s3, v2
	v_mul_f32_e32 v2, 0x3fb8aa3b, v41
	v_fma_f32 v4, v41, s4, -v2
	v_cndmask_b32_e32 v19, v31, v5, vcc
	v_cmp_ngt_f32_e32 vcc, s2, v3
	v_rndne_f32_e32 v5, v2
	v_fmac_f32_e32 v4, 0x32a5705f, v41
	v_cndmask_b32_e32 v1, 0, v1, vcc
	v_cmp_nlt_f32_e32 vcc, s3, v3
	v_sub_f32_e32 v2, v2, v5
	v_add_f32_e32 v2, v2, v4
	v_cndmask_b32_e32 v23, v31, v1, vcc
	v_mul_hi_u32 v1, v32, s0
	v_add_u32_e32 v0, v1, v0
	v_mul_lo_u32 v1, v33, s0
	v_add_u32_e32 v1, v0, v1
	v_mul_lo_u32 v0, v32, s0
	v_exp_f32_e32 v2, v2
	v_cvt_i32_f32_e32 v4, v5
	v_lshlrev_b64 v[0:1], 2, v[0:1]
	v_lshl_add_u64 v[8:9], s[20:21], 0, v[0:1]
	v_lshl_add_u64 v[0:1], v[12:13], 2, v[8:9]
	;; [unrolled: 1-line block ×4, first 2 shown]
	v_ldexp_f32 v42, v2, v4
	v_lshl_add_u64 v[12:13], v[0:1], 0, v[20:21]
	global_load_dwordx4 v[0:3], v[10:11], off
	global_load_dwordx4 v[4:7], v[12:13], off
	v_lshl_add_u64 v[8:9], v[16:17], 2, v[8:9]
	v_lshl_add_u64 v[8:9], v[8:9], 0, v[20:21]
	global_load_dwordx4 v[8:11], v[8:9], off
	v_fma_f32 v45, v43, s4, -v44
	v_rndne_f32_e32 v12, v44
	v_fmac_f32_e32 v45, 0x32a5705f, v43
	v_sub_f32_e32 v13, v44, v12
	v_add_f32_e32 v13, v13, v45
	v_exp_f32_e32 v13, v13
	v_cvt_i32_f32_e32 v12, v12
	v_cmp_ngt_f32_e32 vcc, s2, v41
	s_mov_b32 s0, 0xc1a00000
	s_waitcnt vmcnt(2)
	ds_write_b128 v34, v[0:3]
	s_waitcnt vmcnt(1)
	ds_write_b128 v35, v[4:7]
	;; [unrolled: 2-line block ×3, first 2 shown]
	v_cndmask_b32_e32 v14, 0, v42, vcc
	v_cmp_nlt_f32_e32 vcc, s3, v41
	v_ldexp_f32 v12, v13, v12
	v_sub_f32_e32 v13, v28, v26
	v_cndmask_b32_e32 v32, v31, v14, vcc
	v_mul_f32_e32 v14, 0x3fb8aa3b, v13
	v_fma_f32 v15, v13, s4, -v14
	v_rndne_f32_e32 v16, v14
	v_fmac_f32_e32 v15, 0x32a5705f, v13
	v_sub_f32_e32 v14, v14, v16
	v_add_f32_e32 v14, v14, v15
	v_exp_f32_e32 v14, v14
	v_cvt_i32_f32_e32 v15, v16
	v_cmp_ngt_f32_e32 vcc, s2, v43
	v_add_u32_e32 v0, 0, v66
	v_add3_u32 v28, v0, v56, v54
	v_cndmask_b32_e32 v12, 0, v12, vcc
	v_cmp_nlt_f32_e32 vcc, s3, v43
	s_waitcnt lgkmcnt(0)
	s_barrier
	v_cndmask_b32_e32 v33, v31, v12, vcc
	v_ldexp_f32 v12, v14, v15
	v_sub_f32_e32 v14, v29, v26
	v_mul_f32_e32 v15, 0x3fb8aa3b, v14
	v_fma_f32 v16, v14, s4, -v15
	v_rndne_f32_e32 v17, v15
	v_fmac_f32_e32 v16, 0x32a5705f, v14
	v_sub_f32_e32 v15, v15, v17
	v_add_f32_e32 v15, v15, v16
	v_exp_f32_e32 v15, v15
	v_cvt_i32_f32_e32 v16, v17
	v_cmp_ngt_f32_e32 vcc, s2, v13
	v_add3_u32 v10, v0, v55, v54
	s_nop 0
	v_cndmask_b32_e32 v12, 0, v12, vcc
	v_cmp_nlt_f32_e32 vcc, s3, v13
	v_sub_f32_e32 v13, v30, v26
	v_add3_u32 v3, v0, v57, v54
	v_cndmask_b32_e32 v41, v31, v12, vcc
	v_ldexp_f32 v12, v15, v16
	v_mul_f32_e32 v15, 0x3fb8aa3b, v13
	v_fma_f32 v16, v13, s4, -v15
	v_rndne_f32_e32 v17, v15
	v_fmac_f32_e32 v16, 0x32a5705f, v13
	v_sub_f32_e32 v15, v15, v17
	v_add_f32_e32 v15, v15, v16
	v_cvt_i32_f32_e32 v16, v17
	v_sub_f32_e32 v17, v40, v26
	v_mul_f32_e32 v20, 0x3fb8aa3b, v17
	v_fma_f32 v21, v17, s4, -v20
	v_rndne_f32_e32 v24, v20
	v_fmac_f32_e32 v21, 0x32a5705f, v17
	v_sub_f32_e32 v20, v20, v24
	v_add_f32_e32 v20, v20, v21
	v_exp_f32_e32 v20, v20
	v_cvt_i32_f32_e32 v21, v24
	v_cmp_ngt_f32_e32 vcc, s2, v14
	v_exp_f32_e32 v15, v15
	v_cvt_pk_f16_f32 v24, v33, v41
	v_cndmask_b32_e32 v12, 0, v12, vcc
	v_cmp_nlt_f32_e32 vcc, s3, v14
	v_ldexp_f32 v14, v20, v21
	v_cvt_pk_f16_f32 v21, v23, v32
	v_cndmask_b32_e32 v40, v31, v12, vcc
	v_cmp_ngt_f32_e32 vcc, s2, v17
	v_ldexp_f32 v12, v15, v16
	v_cvt_pk_f16_f32 v20, v18, v19
	v_cndmask_b32_e32 v14, 0, v14, vcc
	v_cmp_nlt_f32_e32 vcc, s3, v17
	s_nop 1
	v_cndmask_b32_e32 v14, v31, v14, vcc
	v_cmp_le_f32_e32 vcc, s0, v17
	s_mov_b32 s0, 0x5040100
	s_nop 0
	v_cndmask_b32_e32 v42, 0, v14, vcc
	v_cvt_f16_f32_e32 v14, v42
	v_cmp_ngt_f32_e32 vcc, s2, v13
	v_mul_u32_u24_e32 v30, 0x10001, v14
	s_nop 0
	v_cndmask_b32_e32 v12, 0, v12, vcc
	v_cmp_nlt_f32_e32 vcc, s3, v13
	v_pk_mul_f16 v13, v85, v30
	v_pk_mul_f16 v6, v70, v30
	v_cndmask_b32_e32 v43, v31, v12, vcc
	v_pk_mul_f16 v12, v86, v30
	v_cvt_f32_f16_e32 v2, v13
	v_cvt_f32_f16_e32 v0, v12
	v_cvt_f32_f16_sdwa v1, v12 dst_sel:DWORD dst_unused:UNUSED_PAD src0_sel:WORD_1
	ds_read_u16 v4, v28
	ds_read_u16 v7, v28 offset:32
	ds_read_u16 v11, v28 offset:64
	;; [unrolled: 1-line block ×4, first 2 shown]
	ds_read_u16 v5, v3
	ds_read_u16 v8, v3 offset:32
	ds_read_u16 v12, v3 offset:64
	;; [unrolled: 1-line block ×6, first 2 shown]
	s_waitcnt lgkmcnt(6)
	v_perm_b32 v5, v5, v4, s0
	ds_read_u16 v3, v10 offset:208
	ds_read_u16 v4, v10
	ds_read_u16 v14, v10 offset:32
	ds_read_u16 v17, v10 offset:240
	;; [unrolled: 1-line block ×6, first 2 shown]
	s_waitcnt lgkmcnt(6)
	v_perm_b32 v4, v3, v4, s0
	v_cvt_f32_f16_sdwa v3, v13 dst_sel:DWORD dst_unused:UNUSED_PAD src0_sel:WORD_1
	v_pk_mul_f16 v69, v69, v30
	v_cvt_pk_f16_f32 v25, v40, v43
	v_mfma_f32_16x16x16_f16 v[0:3], v[4:5], v[20:21], v[0:3]
	v_add_u32_e32 v4, 0, v58
	v_add3_u32 v56, v4, v56, v54
	v_add3_u32 v55, v4, v55, v54
	;; [unrolled: 1-line block ×3, first 2 shown]
	s_nop 3
	v_cvt_f16_f32_e32 v0, v0
	v_cvt_f16_f32_e32 v1, v1
	;; [unrolled: 1-line block ×4, first 2 shown]
	ds_read_u16 v5, v56
	ds_read_u16 v13, v56 offset:32
	ds_read_u16 v54, v56 offset:64
	;; [unrolled: 1-line block ×4, first 2 shown]
	ds_read_u16 v9, v4
	ds_read_u16 v70, v4 offset:32
	ds_read_u16 v71, v4 offset:64
	;; [unrolled: 1-line block ×6, first 2 shown]
	s_waitcnt lgkmcnt(6)
	v_perm_b32 v5, v9, v5, s0
	ds_read_u16 v4, v55 offset:208
	ds_read_u16 v9, v55
	ds_read_u16 v77, v55 offset:32
	ds_read_u16 v78, v55 offset:240
	;; [unrolled: 1-line block ×6, first 2 shown]
	s_waitcnt lgkmcnt(6)
	v_perm_b32 v4, v4, v9, s0
	v_cvt_f32_f16_e32 v0, v0
	v_cvt_f32_f16_e32 v1, v1
	;; [unrolled: 1-line block ×4, first 2 shown]
	v_perm_b32 v9, v8, v7, s0
	v_perm_b32 v8, v17, v14, s0
	v_mfma_f32_16x16x16_f16 v[0:3], v[4:5], v[24:25], v[0:3]
	v_cvt_f32_f16_e32 v4, v6
	v_cvt_f32_f16_sdwa v5, v6 dst_sel:DWORD dst_unused:UNUSED_PAD src0_sel:WORD_1
	v_cvt_f32_f16_e32 v6, v69
	v_cvt_f32_f16_sdwa v7, v69 dst_sel:DWORD dst_unused:UNUSED_PAD src0_sel:WORD_1
	v_pk_mul_f16 v17, v67, v30
	s_nop 0
	v_mfma_f32_16x16x16_f16 v[4:7], v[8:9], v[20:21], v[4:7]
	v_perm_b32 v9, v70, v13, s0
	s_waitcnt lgkmcnt(4)
	v_perm_b32 v8, v78, v77, s0
	ds_read_u16 v14, v10 offset:272
	ds_read_u16 v69, v10 offset:304
	;; [unrolled: 1-line block ×3, first 2 shown]
	s_nop 1
	v_cvt_f16_f32_e32 v4, v4
	v_cvt_f16_f32_e32 v5, v5
	;; [unrolled: 1-line block ×4, first 2 shown]
	v_cvt_f32_f16_e32 v4, v4
	v_cvt_f32_f16_e32 v5, v5
	;; [unrolled: 1-line block ×4, first 2 shown]
	v_pk_mul_f16 v10, v68, v30
	v_perm_b32 v13, v12, v11, s0
	s_waitcnt lgkmcnt(2)
	v_perm_b32 v12, v14, v36, s0
	v_mfma_f32_16x16x16_f16 v[4:7], v[8:9], v[24:25], v[4:7]
	v_cvt_f32_f16_e32 v8, v10
	v_cvt_f32_f16_sdwa v9, v10 dst_sel:DWORD dst_unused:UNUSED_PAD src0_sel:WORD_1
	v_cvt_f32_f16_e32 v10, v17
	v_cvt_f32_f16_sdwa v11, v17 dst_sel:DWORD dst_unused:UNUSED_PAD src0_sel:WORD_1
	ds_read_u16 v14, v55 offset:272
	ds_read_u16 v36, v55 offset:304
	;; [unrolled: 1-line block ×3, first 2 shown]
	v_mfma_f32_16x16x16_f16 v[8:11], v[12:13], v[20:21], v[8:11]
	v_perm_b32 v13, v71, v54, s0
	s_waitcnt lgkmcnt(2)
	v_perm_b32 v12, v14, v79, s0
	v_pk_mul_f16 v14, v64, v30
	s_nop 3
	v_cvt_f16_f32_e32 v8, v8
	v_cvt_f16_f32_e32 v9, v9
	;; [unrolled: 1-line block ×4, first 2 shown]
	v_cvt_f32_f16_e32 v8, v8
	v_cvt_f32_f16_e32 v9, v9
	;; [unrolled: 1-line block ×4, first 2 shown]
	v_pk_mul_f16 v54, v63, v30
	v_perm_b32 v17, v16, v15, s0
	v_perm_b32 v16, v69, v44, s0
	v_mfma_f32_16x16x16_f16 v[8:11], v[12:13], v[24:25], v[8:11]
	v_cvt_f32_f16_e32 v12, v14
	v_cvt_f32_f16_sdwa v13, v14 dst_sel:DWORD dst_unused:UNUSED_PAD src0_sel:WORD_1
	v_cvt_f32_f16_e32 v14, v54
	v_cvt_f32_f16_sdwa v15, v54 dst_sel:DWORD dst_unused:UNUSED_PAD src0_sel:WORD_1
	ds_read_u16 v28, v28 offset:128
	ds_read_u16 v44, v56 offset:128
	v_mfma_f32_16x16x16_f16 v[12:15], v[16:17], v[20:21], v[12:15]
	v_perm_b32 v17, v72, v57, s0
	s_waitcnt lgkmcnt(3)
	v_perm_b32 v16, v36, v80, s0
	v_add_f32_e32 v36, v18, v19
	s_nop 3
	v_cvt_f16_f32_e32 v12, v12
	v_cvt_f16_f32_e32 v13, v13
	v_cvt_f16_f32_e32 v14, v14
	v_cvt_f16_f32_e32 v15, v15
	v_cvt_f32_f16_e32 v12, v12
	v_cvt_f32_f16_e32 v13, v13
	;; [unrolled: 1-line block ×4, first 2 shown]
	v_pk_mul_f16 v18, v62, v30
	v_pk_mul_f16 v19, v61, v30
	s_waitcnt lgkmcnt(1)
	v_perm_b32 v29, v29, v28, s0
	v_perm_b32 v28, v70, v45, s0
	v_mfma_f32_16x16x16_f16 v[12:15], v[16:17], v[24:25], v[12:15]
	v_cvt_f32_f16_e32 v16, v18
	v_cvt_f32_f16_sdwa v17, v18 dst_sel:DWORD dst_unused:UNUSED_PAD src0_sel:WORD_1
	v_cvt_f32_f16_e32 v18, v19
	v_cvt_f32_f16_sdwa v19, v19 dst_sel:DWORD dst_unused:UNUSED_PAD src0_sel:WORD_1
	v_add_f32_e32 v23, v23, v36
	v_add_f32_e32 v23, v32, v23
	v_mfma_f32_16x16x16_f16 v[16:19], v[28:29], v[20:21], v[16:19]
	s_waitcnt lgkmcnt(0)
	v_perm_b32 v29, v73, v44, s0
	v_perm_b32 v28, v55, v81, s0
	v_pk_mul_f16 v32, v60, v30
	v_add_f32_e32 v23, v33, v23
	s_nop 2
	v_cvt_f16_f32_e32 v16, v16
	v_cvt_f16_f32_e32 v17, v17
	;; [unrolled: 1-line block ×4, first 2 shown]
	v_cvt_f32_f16_e32 v16, v16
	v_cvt_f32_f16_e32 v17, v17
	;; [unrolled: 1-line block ×4, first 2 shown]
	v_pk_mul_f16 v36, v59, v30
	v_perm_b32 v33, v34, v35, s0
	v_mfma_f32_16x16x16_f16 v[16:19], v[28:29], v[24:25], v[16:19]
	v_cvt_f32_f16_e32 v28, v32
	v_cvt_f32_f16_sdwa v29, v32 dst_sel:DWORD dst_unused:UNUSED_PAD src0_sel:WORD_1
	v_perm_b32 v32, v31, v66, s0
	v_cvt_f32_f16_e32 v30, v36
	v_cvt_f32_f16_sdwa v31, v36 dst_sel:DWORD dst_unused:UNUSED_PAD src0_sel:WORD_1
	v_add_f32_e32 v23, v41, v23
	v_add_f32_e32 v23, v40, v23
	v_mfma_f32_16x16x16_f16 v[28:31], v[32:33], v[20:21], v[28:31]
	v_add_f32_e32 v34, v43, v23
	v_fmac_f32_e32 v34, v37, v42
	ds_bpermute_b32 v32, v22, v34
	s_waitcnt lgkmcnt(0)
	s_nop 3
	v_cvt_f16_f32_e32 v20, v28
	v_cvt_f16_f32_e32 v21, v29
	;; [unrolled: 1-line block ×4, first 2 shown]
	v_cvt_f32_f16_e32 v28, v20
	v_cvt_f32_f16_e32 v29, v21
	v_perm_b32 v21, v74, v76, s0
	v_perm_b32 v20, v58, v82, s0
	v_cvt_f32_f16_e32 v30, v23
	v_cvt_f32_f16_e32 v31, v31
	v_cmp_gt_u32_e64 s[0:1], 16, v51
	s_barrier
	v_mfma_f32_16x16x16_f16 v[20:23], v[20:21], v[24:25], v[28:31]
	v_add_f32_e32 v24, v34, v32
	ds_bpermute_b32 v25, v27, v24
	s_waitcnt lgkmcnt(0)
	s_and_saveexec_b64 s[4:5], s[0:1]
; %bb.247:
	v_add_f32_e32 v24, v24, v25
	v_or_b32_e32 v25, v53, v51
	s_movk_i32 s2, 0xd0
	v_mad_i32_i24 v25, v25, s2, 0
	ds_write2_b32 v25, v26, v24 offset0:48 offset1:49
; %bb.248:
	s_or_b64 exec, exec, s[4:5]
	v_and_b32_e32 v24, 1, v47
	v_cmp_eq_u32_e32 vcc, 0, v24
	v_cmp_eq_u32_e64 s[4:5], 1, v24
	s_waitcnt lgkmcnt(0)
	s_barrier
	s_and_saveexec_b64 s[2:3], s[4:5]
	s_xor_b64 s[4:5], exec, s[2:3]
	s_cbranch_execz .LBB14_250
; %bb.249:
	s_barrier
                                        ; implicit-def: $vgpr75
                                        ; implicit-def: $vgpr51
                                        ; implicit-def: $vgpr27
.LBB14_250:
	s_andn2_saveexec_b64 s[6:7], s[4:5]
	s_cbranch_execz .LBB14_256
; %bb.251:
	v_add_u32_e32 v25, v53, v38
	s_movk_i32 s2, 0xd0
	v_mad_i32_i24 v24, v25, s2, 0
	ds_read_b64 v[28:29], v24 offset:192
	s_mov_b32 s2, 0x3fb8aa3b
	s_mov_b32 s3, 0x42b17218
	s_waitcnt lgkmcnt(0)
	s_barrier
	ds_bpermute_b32 v24, v27, v28
	v_max_f32_e32 v26, v28, v28
	s_waitcnt lgkmcnt(0)
	v_max_f32_e32 v24, v24, v24
	v_max_f32_e32 v24, v26, v24
	v_sub_f32_e32 v26, v28, v24
	v_mul_f32_e32 v28, 0x3fb8aa3b, v26
	v_fma_f32 v30, v26, s2, -v28
	v_rndne_f32_e32 v31, v28
	v_fmamk_f32 v30, v26, 0x32a5705f, v30
	v_sub_f32_e32 v28, v28, v31
	v_add_f32_e32 v28, v28, v30
	v_cvt_i32_f32_e32 v31, v31
	v_exp_f32_e32 v28, v28
	s_mov_b32 s2, 0xc2ce8ed0
	v_cmp_ngt_f32_e64 s[4:5], s2, v26
	v_mov_b32_e32 v30, 0x7f800000
	v_ldexp_f32 v28, v28, v31
	v_cndmask_b32_e64 v28, 0, v28, s[4:5]
	v_cmp_nlt_f32_e64 s[4:5], s3, v26
	s_nop 1
	v_cndmask_b32_e64 v26, v30, v28, s[4:5]
	v_mul_f32_e32 v28, v29, v26
	ds_bpermute_b32 v27, v27, v28
	v_cmp_gt_u32_e64 s[4:5], 32, v51
	s_waitcnt lgkmcnt(0)
	v_fmac_f32_e32 v27, v29, v26
	s_and_saveexec_b64 s[8:9], s[4:5]
; %bb.252:
	v_mul_i32_i24_e32 v25, 0xd0, v25
	v_add_u32_e32 v25, 0, v25
	ds_write_b64 v25, v[26:27] offset:192
; %bb.253:
	s_or_b64 exec, exec, s[8:9]
	s_and_saveexec_b64 s[4:5], s[0:1]
	s_cbranch_execz .LBB14_255
; %bb.254:
	s_add_i32 s0, s56, s51
	s_lshl_b32 s0, s0, 5
	s_mov_b32 s1, 0
	s_lshl_b64 s[0:1], s[0:1], 3
	s_add_u32 s0, s30, s0
	v_or_b32_e32 v25, v75, v51
	s_addc_u32 s1, s31, s1
	v_lshlrev_b32_e32 v26, 3, v25
	v_mov_b32_e32 v25, v27
	global_store_dwordx2 v26, v[24:25], s[0:1]
.LBB14_255:
	s_or_b64 exec, exec, s[4:5]
.LBB14_256:
	s_or_b64 exec, exec, s[6:7]
	v_cvt_pk_f16_f32 v0, v0, v1
	v_cvt_pk_f16_f32 v1, v6, v7
	;; [unrolled: 1-line block ×3, first 2 shown]
	v_or_b32_e32 v12, v53, v49
	v_mul_i32_i24_e32 v12, 0xd0, v12
	v_cvt_pk_f16_f32 v2, v2, v3
	s_movk_i32 s4, 0xd0
	s_mov_b32 s3, 0
	v_add3_u32 v12, 0, v12, v52
	v_cvt_pk_f16_f32 v3, v4, v5
	v_cvt_pk_f16_f32 v4, v10, v11
	;; [unrolled: 1-line block ×8, first 2 shown]
	ds_write2_b32 v12, v0, v2 offset1:1
	ds_write2_b32 v12, v3, v1 offset0:8 offset1:9
	ds_write2_b32 v12, v5, v4 offset0:16 offset1:17
	;; [unrolled: 1-line block ×5, first 2 shown]
	s_waitcnt lgkmcnt(0)
	s_barrier
	s_and_saveexec_b64 s[0:1], vcc
	s_cbranch_execz .LBB14_258
; %bb.257:
	s_mul_i32 s2, s51, 0x600
	s_lshl_b64 s[6:7], s[2:3], 3
	s_add_u32 s5, s30, s6
	s_addc_u32 s6, s31, s7
	s_lshl_b32 s2, s56, 6
	s_lshl_b64 s[2:3], s[2:3], 3
	v_add_u32_e32 v8, v65, v47
	s_add_u32 s2, s5, s2
	v_lshlrev_b32_e32 v9, 1, v8
	v_and_b32_e32 v10, 15, v8
	s_movk_i32 s5, 0xfe0
	v_and_or_b32 v2, v9, s5, v10
	v_mad_u32_u24 v0, v2, s4, v46
	ds_read2st64_b32 v[0:1], v0 offset1:13
	v_mad_u32_u24 v2, v2, s4, 0
	v_add_u32_e32 v2, 0xc0, v2
	ds_read2st64_b32 v[2:3], v2 offset1:13
	s_movk_i32 s5, 0x1fe0
	s_waitcnt lgkmcnt(1)
	v_cvt_f32_f16_e32 v4, v0
	v_cvt_f32_f16_sdwa v5, v0 dst_sel:DWORD dst_unused:UNUSED_PAD src0_sel:WORD_1
	v_cvt_f32_f16_e32 v0, v1
	v_cvt_f32_f16_sdwa v1, v1 dst_sel:DWORD dst_unused:UNUSED_PAD src0_sel:WORD_1
	v_mul_u32_u24_e32 v6, 48, v8
	s_waitcnt lgkmcnt(0)
	v_pk_fma_f32 v[4:5], v[2:3], v[4:5], 0 op_sel_hi:[0,1,0]
	v_mov_b32_e32 v2, v3
	v_pk_fma_f32 v[0:1], v[2:3], v[0:1], v[4:5] op_sel_hi:[0,1,1]
	v_add_u32_e32 v2, 4, v8
	v_lshlrev_b32_e32 v3, 1, v2
	v_and_b32_e32 v2, 15, v2
	v_and_or_b32 v4, v3, s5, v2
	v_mad_u32_u24 v2, v4, s4, v46
	ds_read2st64_b32 v[2:3], v2 offset1:13
	v_mad_u32_u24 v4, v4, s4, 0
	v_add_u32_e32 v4, 0xc0, v4
	ds_read2st64_b32 v[4:5], v4 offset1:13
	v_add_lshl_u32 v11, v6, v38, 3
	s_waitcnt lgkmcnt(1)
	v_cvt_f32_f16_e32 v6, v2
	v_cvt_f32_f16_sdwa v7, v2 dst_sel:DWORD dst_unused:UNUSED_PAD src0_sel:WORD_1
	v_cvt_f32_f16_e32 v2, v3
	v_cvt_f32_f16_sdwa v3, v3 dst_sel:DWORD dst_unused:UNUSED_PAD src0_sel:WORD_1
	s_addc_u32 s3, s6, s3
	global_store_dwordx2 v11, v[0:1], s[2:3]
	s_waitcnt lgkmcnt(0)
	v_pk_fma_f32 v[0:1], v[4:5], v[6:7], 0 op_sel_hi:[0,1,0]
	v_mov_b32_e32 v4, v5
	v_pk_fma_f32 v[0:1], v[4:5], v[2:3], v[0:1] op_sel_hi:[0,1,1]
	v_add_u32_e32 v2, 8, v8
	v_lshlrev_b32_e32 v3, 1, v2
	v_and_b32_e32 v2, 15, v2
	v_and_or_b32 v4, v3, s5, v2
	v_mad_u32_u24 v2, v4, s4, v46
	ds_read2st64_b32 v[2:3], v2 offset1:13
	global_store_dwordx2 v11, v[0:1], s[2:3] offset:1536
	v_mad_u32_u24 v0, v4, s4, 0
	v_add_u32_e32 v0, 0xc0, v0
	ds_read2st64_b32 v[0:1], v0 offset1:13
	s_waitcnt lgkmcnt(1)
	v_cvt_f32_f16_e32 v4, v2
	v_cvt_f32_f16_sdwa v5, v2 dst_sel:DWORD dst_unused:UNUSED_PAD src0_sel:WORD_1
	v_cvt_f32_f16_e32 v2, v3
	v_cvt_f32_f16_sdwa v3, v3 dst_sel:DWORD dst_unused:UNUSED_PAD src0_sel:WORD_1
	v_add_u32_e32 v6, 0xc00, v11
	s_waitcnt lgkmcnt(0)
	v_pk_fma_f32 v[4:5], v[0:1], v[4:5], 0 op_sel_hi:[0,1,0]
	v_mov_b32_e32 v0, v1
	v_pk_fma_f32 v[0:1], v[0:1], v[2:3], v[4:5] op_sel_hi:[0,1,1]
	v_add_u32_e32 v2, 12, v8
	v_lshlrev_b32_e32 v3, 1, v2
	v_and_b32_e32 v2, 15, v2
	v_and_or_b32 v4, v3, s5, v2
	v_mad_u32_u24 v2, v4, s4, v46
	ds_read2st64_b32 v[2:3], v2 offset1:13
	global_store_dwordx2 v6, v[0:1], s[2:3]
	v_mad_u32_u24 v0, v4, s4, 0
	v_add_u32_e32 v0, 0xc0, v0
	ds_read2st64_b32 v[0:1], v0 offset1:13
	s_waitcnt lgkmcnt(1)
	v_cvt_f32_f16_e32 v4, v2
	v_cvt_f32_f16_sdwa v5, v2 dst_sel:DWORD dst_unused:UNUSED_PAD src0_sel:WORD_1
	v_cvt_f32_f16_e32 v2, v3
	v_cvt_f32_f16_sdwa v3, v3 dst_sel:DWORD dst_unused:UNUSED_PAD src0_sel:WORD_1
	v_add_u32_e32 v6, 0x1200, v11
	s_waitcnt lgkmcnt(0)
	v_pk_fma_f32 v[4:5], v[0:1], v[4:5], 0 op_sel_hi:[0,1,0]
	v_mov_b32_e32 v0, v1
	v_pk_fma_f32 v[0:1], v[0:1], v[2:3], v[4:5] op_sel_hi:[0,1,1]
	v_add_u32_e32 v2, 32, v9
	v_and_or_b32 v4, v2, s5, v10
	v_mad_u32_u24 v2, v4, s4, v46
	ds_read2st64_b32 v[2:3], v2 offset1:13
	global_store_dwordx2 v6, v[0:1], s[2:3]
	v_mad_u32_u24 v0, v4, s4, 0
	v_add_u32_e32 v0, 0xc0, v0
	ds_read2st64_b32 v[0:1], v0 offset1:13
	s_waitcnt lgkmcnt(1)
	v_cvt_f32_f16_e32 v4, v2
	v_cvt_f32_f16_sdwa v5, v2 dst_sel:DWORD dst_unused:UNUSED_PAD src0_sel:WORD_1
	v_cvt_f32_f16_e32 v2, v3
	v_cvt_f32_f16_sdwa v3, v3 dst_sel:DWORD dst_unused:UNUSED_PAD src0_sel:WORD_1
	v_add_u32_e32 v6, 0x1800, v11
	s_waitcnt lgkmcnt(0)
	v_pk_fma_f32 v[4:5], v[0:1], v[4:5], 0 op_sel_hi:[0,1,0]
	v_mov_b32_e32 v0, v1
	v_pk_fma_f32 v[0:1], v[0:1], v[2:3], v[4:5] op_sel_hi:[0,1,1]
	v_add_u32_e32 v2, 20, v8
	v_lshlrev_b32_e32 v3, 1, v2
	v_and_b32_e32 v2, 15, v2
	v_and_or_b32 v4, v3, s5, v2
	v_mad_u32_u24 v2, v4, s4, v46
	ds_read2st64_b32 v[2:3], v2 offset1:13
	global_store_dwordx2 v6, v[0:1], s[2:3]
	v_mad_u32_u24 v0, v4, s4, 0
	v_add_u32_e32 v0, 0xc0, v0
	ds_read2st64_b32 v[0:1], v0 offset1:13
	s_waitcnt lgkmcnt(1)
	v_cvt_f32_f16_e32 v4, v2
	v_cvt_f32_f16_sdwa v5, v2 dst_sel:DWORD dst_unused:UNUSED_PAD src0_sel:WORD_1
	v_cvt_f32_f16_e32 v2, v3
	v_cvt_f32_f16_sdwa v3, v3 dst_sel:DWORD dst_unused:UNUSED_PAD src0_sel:WORD_1
	v_add_u32_e32 v6, 0x1e00, v11
	s_waitcnt lgkmcnt(0)
	v_pk_fma_f32 v[4:5], v[0:1], v[4:5], 0 op_sel_hi:[0,1,0]
	v_mov_b32_e32 v0, v1
	v_pk_fma_f32 v[0:1], v[0:1], v[2:3], v[4:5] op_sel_hi:[0,1,1]
	v_add_u32_e32 v2, 24, v8
	v_lshlrev_b32_e32 v3, 1, v2
	v_and_b32_e32 v2, 15, v2
	;; [unrolled: 20-line block ×3, first 2 shown]
	v_and_or_b32 v4, v3, s5, v2
	v_mad_u32_u24 v2, v4, s4, v46
	ds_read2st64_b32 v[2:3], v2 offset1:13
	global_store_dwordx2 v6, v[0:1], s[2:3]
	v_mad_u32_u24 v0, v4, s4, 0
	v_add_u32_e32 v0, 0xc0, v0
	ds_read2st64_b32 v[0:1], v0 offset1:13
	s_waitcnt lgkmcnt(1)
	v_cvt_f32_f16_e32 v4, v2
	v_cvt_f32_f16_sdwa v5, v2 dst_sel:DWORD dst_unused:UNUSED_PAD src0_sel:WORD_1
	v_cvt_f32_f16_e32 v2, v3
	v_cvt_f32_f16_sdwa v3, v3 dst_sel:DWORD dst_unused:UNUSED_PAD src0_sel:WORD_1
	v_add_u32_e32 v10, v39, v50
	s_waitcnt lgkmcnt(0)
	v_pk_fma_f32 v[4:5], v[0:1], v[4:5], 0 op_sel_hi:[0,1,0]
	v_mov_b32_e32 v0, v1
	v_add_u32_e32 v6, 0x2a00, v11
	v_pk_fma_f32 v[0:1], v[0:1], v[2:3], v[4:5] op_sel_hi:[0,1,1]
	v_lshlrev_b32_e32 v11, 1, v10
	v_and_b32_e32 v12, 15, v10
	global_store_dwordx2 v6, v[0:1], s[2:3]
	v_and_or_b32 v0, v11, s5, v12
	v_mad_u32_u24 v2, v0, s4, 0
	v_mad_u32_u24 v0, v0, s4, v48
	v_add_u32_e32 v0, 0x80, v0
	ds_read2st64_b32 v[0:1], v0 offset1:13
	v_add_u32_e32 v2, 0xc0, v2
	ds_read2st64_b32 v[2:3], v2 offset1:13
	v_mul_u32_u24_e32 v4, 48, v10
	v_or_b32_e32 v4, v4, v49
	s_waitcnt lgkmcnt(1)
	v_cvt_f32_f16_e32 v6, v0
	v_cvt_f32_f16_sdwa v7, v0 dst_sel:DWORD dst_unused:UNUSED_PAD src0_sel:WORD_1
	v_cvt_f32_f16_e32 v0, v1
	v_cvt_f32_f16_sdwa v1, v1 dst_sel:DWORD dst_unused:UNUSED_PAD src0_sel:WORD_1
	v_mov_b32_e32 v5, 0
	s_waitcnt lgkmcnt(0)
	v_pk_fma_f32 v[6:7], v[2:3], v[6:7], 0 op_sel_hi:[0,1,0]
	v_mov_b32_e32 v2, v3
	v_lshl_add_u64 v[8:9], v[4:5], 3, s[2:3]
	v_pk_fma_f32 v[0:1], v[2:3], v[0:1], v[6:7] op_sel_hi:[0,1,1]
	global_store_dwordx2 v[8:9], v[0:1], off offset:256
	v_add_u32_e32 v0, 8, v10
	v_lshlrev_b32_e32 v1, 1, v0
	v_and_b32_e32 v0, 15, v0
	s_movk_i32 s5, 0x3fe0
	v_and_or_b32 v0, v1, s5, v0
	v_mad_u32_u24 v2, v0, s4, 0
	v_mad_u32_u24 v0, v0, s4, v48
	v_add_u32_e32 v0, 0x80, v0
	ds_read2st64_b32 v[0:1], v0 offset1:13
	v_add_u32_e32 v2, 0xc0, v2
	ds_read2st64_b32 v[2:3], v2 offset1:13
	v_add_u32_e32 v6, 0x180, v4
	v_mov_b32_e32 v7, v5
	s_waitcnt lgkmcnt(1)
	v_cvt_f32_f16_e32 v8, v0
	v_cvt_f32_f16_sdwa v9, v0 dst_sel:DWORD dst_unused:UNUSED_PAD src0_sel:WORD_1
	v_cvt_f32_f16_e32 v0, v1
	v_cvt_f32_f16_sdwa v1, v1 dst_sel:DWORD dst_unused:UNUSED_PAD src0_sel:WORD_1
	v_lshl_add_u64 v[6:7], v[6:7], 3, s[2:3]
	s_waitcnt lgkmcnt(0)
	v_pk_fma_f32 v[8:9], v[2:3], v[8:9], 0 op_sel_hi:[0,1,0]
	v_mov_b32_e32 v2, v3
	v_pk_fma_f32 v[0:1], v[2:3], v[0:1], v[8:9] op_sel_hi:[0,1,1]
	global_store_dwordx2 v[6:7], v[0:1], off offset:256
	v_add_u32_e32 v0, 32, v11
	v_and_or_b32 v0, v0, s5, v12
	v_mad_u32_u24 v2, v0, s4, 0
	v_mad_u32_u24 v0, v0, s4, v48
	v_add_u32_e32 v0, 0x80, v0
	ds_read2st64_b32 v[0:1], v0 offset1:13
	v_add_u32_e32 v2, 0xc0, v2
	ds_read2st64_b32 v[2:3], v2 offset1:13
	v_add_u32_e32 v6, 0x300, v4
	v_mov_b32_e32 v7, v5
	s_waitcnt lgkmcnt(1)
	v_cvt_f32_f16_e32 v8, v0
	v_cvt_f32_f16_sdwa v9, v0 dst_sel:DWORD dst_unused:UNUSED_PAD src0_sel:WORD_1
	v_cvt_f32_f16_e32 v0, v1
	v_cvt_f32_f16_sdwa v1, v1 dst_sel:DWORD dst_unused:UNUSED_PAD src0_sel:WORD_1
	v_lshl_add_u64 v[6:7], v[6:7], 3, s[2:3]
	s_waitcnt lgkmcnt(0)
	v_pk_fma_f32 v[8:9], v[2:3], v[8:9], 0 op_sel_hi:[0,1,0]
	v_mov_b32_e32 v2, v3
	v_pk_fma_f32 v[0:1], v[2:3], v[0:1], v[8:9] op_sel_hi:[0,1,1]
	global_store_dwordx2 v[6:7], v[0:1], off offset:256
	v_add_u32_e32 v0, 24, v10
	v_lshlrev_b32_e32 v1, 1, v0
	v_and_b32_e32 v0, 15, v0
	v_and_or_b32 v2, v1, s5, v0
	v_mad_u32_u24 v0, v2, s4, v48
	v_add_u32_e32 v0, 0x80, v0
	ds_read2st64_b32 v[0:1], v0 offset1:13
	v_mad_u32_u24 v2, v2, s4, 0
	v_add_u32_e32 v2, 0xc0, v2
	ds_read2st64_b32 v[2:3], v2 offset1:13
	v_add_u32_e32 v4, 0x480, v4
	s_waitcnt lgkmcnt(1)
	v_cvt_f32_f16_e32 v6, v0
	v_cvt_f32_f16_sdwa v7, v0 dst_sel:DWORD dst_unused:UNUSED_PAD src0_sel:WORD_1
	v_cvt_f32_f16_e32 v0, v1
	v_cvt_f32_f16_sdwa v1, v1 dst_sel:DWORD dst_unused:UNUSED_PAD src0_sel:WORD_1
	v_lshl_add_u64 v[4:5], v[4:5], 3, s[2:3]
	s_waitcnt lgkmcnt(0)
	v_pk_fma_f32 v[6:7], v[2:3], v[6:7], 0 op_sel_hi:[0,1,0]
	v_mov_b32_e32 v2, v3
	v_pk_fma_f32 v[0:1], v[2:3], v[0:1], v[6:7] op_sel_hi:[0,1,1]
	global_store_dwordx2 v[4:5], v[0:1], off offset:256
.LBB14_258:
	s_or_b64 exec, exec, s[0:1]
	s_barrier
	s_endpgm
	.section	.rodata,"a",@progbits
	.p2align	6, 0x0
	.amdhsa_kernel _ZL18flash_attn_ext_f16ILi96ELi96ELi8ELi4ELb0ELb0EEvPKcS1_S1_S1_S1_PKiPfP15HIP_vector_typeIfLj2EEffffjfiS5_IjLj3EEiiiiiiiiiiiliiliiiiil
		.amdhsa_group_segment_fixed_size 0
		.amdhsa_private_segment_fixed_size 0
		.amdhsa_kernarg_size 464
		.amdhsa_user_sgpr_count 2
		.amdhsa_user_sgpr_dispatch_ptr 0
		.amdhsa_user_sgpr_queue_ptr 0
		.amdhsa_user_sgpr_kernarg_segment_ptr 1
		.amdhsa_user_sgpr_dispatch_id 0
		.amdhsa_user_sgpr_kernarg_preload_length 0
		.amdhsa_user_sgpr_kernarg_preload_offset 0
		.amdhsa_user_sgpr_private_segment_size 0
		.amdhsa_uses_dynamic_stack 0
		.amdhsa_enable_private_segment 0
		.amdhsa_system_sgpr_workgroup_id_x 1
		.amdhsa_system_sgpr_workgroup_id_y 0
		.amdhsa_system_sgpr_workgroup_id_z 0
		.amdhsa_system_sgpr_workgroup_info 0
		.amdhsa_system_vgpr_workitem_id 1
		.amdhsa_next_free_vgpr 179
		.amdhsa_next_free_sgpr 100
		.amdhsa_accum_offset 180
		.amdhsa_reserve_vcc 1
		.amdhsa_float_round_mode_32 0
		.amdhsa_float_round_mode_16_64 0
		.amdhsa_float_denorm_mode_32 3
		.amdhsa_float_denorm_mode_16_64 3
		.amdhsa_dx10_clamp 1
		.amdhsa_ieee_mode 1
		.amdhsa_fp16_overflow 0
		.amdhsa_tg_split 0
		.amdhsa_exception_fp_ieee_invalid_op 0
		.amdhsa_exception_fp_denorm_src 0
		.amdhsa_exception_fp_ieee_div_zero 0
		.amdhsa_exception_fp_ieee_overflow 0
		.amdhsa_exception_fp_ieee_underflow 0
		.amdhsa_exception_fp_ieee_inexact 0
		.amdhsa_exception_int_div_zero 0
	.end_amdhsa_kernel
	.section	.text._ZL18flash_attn_ext_f16ILi96ELi96ELi8ELi4ELb0ELb0EEvPKcS1_S1_S1_S1_PKiPfP15HIP_vector_typeIfLj2EEffffjfiS5_IjLj3EEiiiiiiiiiiiliiliiiiil,"axG",@progbits,_ZL18flash_attn_ext_f16ILi96ELi96ELi8ELi4ELb0ELb0EEvPKcS1_S1_S1_S1_PKiPfP15HIP_vector_typeIfLj2EEffffjfiS5_IjLj3EEiiiiiiiiiiiliiliiiiil,comdat
.Lfunc_end14:
	.size	_ZL18flash_attn_ext_f16ILi96ELi96ELi8ELi4ELb0ELb0EEvPKcS1_S1_S1_S1_PKiPfP15HIP_vector_typeIfLj2EEffffjfiS5_IjLj3EEiiiiiiiiiiiliiliiiiil, .Lfunc_end14-_ZL18flash_attn_ext_f16ILi96ELi96ELi8ELi4ELb0ELb0EEvPKcS1_S1_S1_S1_PKiPfP15HIP_vector_typeIfLj2EEffffjfiS5_IjLj3EEiiiiiiiiiiiliiliiiiil
                                        ; -- End function
	.set _ZL18flash_attn_ext_f16ILi96ELi96ELi8ELi4ELb0ELb0EEvPKcS1_S1_S1_S1_PKiPfP15HIP_vector_typeIfLj2EEffffjfiS5_IjLj3EEiiiiiiiiiiiliiliiiiil.num_vgpr, 179
	.set _ZL18flash_attn_ext_f16ILi96ELi96ELi8ELi4ELb0ELb0EEvPKcS1_S1_S1_S1_PKiPfP15HIP_vector_typeIfLj2EEffffjfiS5_IjLj3EEiiiiiiiiiiiliiliiiiil.num_agpr, 0
	.set _ZL18flash_attn_ext_f16ILi96ELi96ELi8ELi4ELb0ELb0EEvPKcS1_S1_S1_S1_PKiPfP15HIP_vector_typeIfLj2EEffffjfiS5_IjLj3EEiiiiiiiiiiiliiliiiiil.numbered_sgpr, 100
	.set _ZL18flash_attn_ext_f16ILi96ELi96ELi8ELi4ELb0ELb0EEvPKcS1_S1_S1_S1_PKiPfP15HIP_vector_typeIfLj2EEffffjfiS5_IjLj3EEiiiiiiiiiiiliiliiiiil.num_named_barrier, 0
	.set _ZL18flash_attn_ext_f16ILi96ELi96ELi8ELi4ELb0ELb0EEvPKcS1_S1_S1_S1_PKiPfP15HIP_vector_typeIfLj2EEffffjfiS5_IjLj3EEiiiiiiiiiiiliiliiiiil.private_seg_size, 0
	.set _ZL18flash_attn_ext_f16ILi96ELi96ELi8ELi4ELb0ELb0EEvPKcS1_S1_S1_S1_PKiPfP15HIP_vector_typeIfLj2EEffffjfiS5_IjLj3EEiiiiiiiiiiiliiliiiiil.uses_vcc, 1
	.set _ZL18flash_attn_ext_f16ILi96ELi96ELi8ELi4ELb0ELb0EEvPKcS1_S1_S1_S1_PKiPfP15HIP_vector_typeIfLj2EEffffjfiS5_IjLj3EEiiiiiiiiiiiliiliiiiil.uses_flat_scratch, 0
	.set _ZL18flash_attn_ext_f16ILi96ELi96ELi8ELi4ELb0ELb0EEvPKcS1_S1_S1_S1_PKiPfP15HIP_vector_typeIfLj2EEffffjfiS5_IjLj3EEiiiiiiiiiiiliiliiiiil.has_dyn_sized_stack, 0
	.set _ZL18flash_attn_ext_f16ILi96ELi96ELi8ELi4ELb0ELb0EEvPKcS1_S1_S1_S1_PKiPfP15HIP_vector_typeIfLj2EEffffjfiS5_IjLj3EEiiiiiiiiiiiliiliiiiil.has_recursion, 0
	.set _ZL18flash_attn_ext_f16ILi96ELi96ELi8ELi4ELb0ELb0EEvPKcS1_S1_S1_S1_PKiPfP15HIP_vector_typeIfLj2EEffffjfiS5_IjLj3EEiiiiiiiiiiiliiliiiiil.has_indirect_call, 0
	.section	.AMDGPU.csdata,"",@progbits
; Kernel info:
; codeLenInByte = 37560
; TotalNumSgprs: 106
; NumVgprs: 179
; NumAgprs: 0
; TotalNumVgprs: 179
; ScratchSize: 0
; MemoryBound: 0
; FloatMode: 240
; IeeeMode: 1
; LDSByteSize: 0 bytes/workgroup (compile time only)
; SGPRBlocks: 13
; VGPRBlocks: 22
; NumSGPRsForWavesPerEU: 106
; NumVGPRsForWavesPerEU: 179
; AccumOffset: 180
; Occupancy: 2
; WaveLimiterHint : 1
; COMPUTE_PGM_RSRC2:SCRATCH_EN: 0
; COMPUTE_PGM_RSRC2:USER_SGPR: 2
; COMPUTE_PGM_RSRC2:TRAP_HANDLER: 0
; COMPUTE_PGM_RSRC2:TGID_X_EN: 1
; COMPUTE_PGM_RSRC2:TGID_Y_EN: 0
; COMPUTE_PGM_RSRC2:TGID_Z_EN: 0
; COMPUTE_PGM_RSRC2:TIDIG_COMP_CNT: 1
; COMPUTE_PGM_RSRC3_GFX90A:ACCUM_OFFSET: 44
; COMPUTE_PGM_RSRC3_GFX90A:TG_SPLIT: 0
	.section	.text._ZL18flash_attn_ext_f16ILi96ELi96ELi8ELi4ELb1ELb0EEvPKcS1_S1_S1_S1_PKiPfP15HIP_vector_typeIfLj2EEffffjfiS5_IjLj3EEiiiiiiiiiiiliiliiiiil,"axG",@progbits,_ZL18flash_attn_ext_f16ILi96ELi96ELi8ELi4ELb1ELb0EEvPKcS1_S1_S1_S1_PKiPfP15HIP_vector_typeIfLj2EEffffjfiS5_IjLj3EEiiiiiiiiiiiliiliiiiil,comdat
	.globl	_ZL18flash_attn_ext_f16ILi96ELi96ELi8ELi4ELb1ELb0EEvPKcS1_S1_S1_S1_PKiPfP15HIP_vector_typeIfLj2EEffffjfiS5_IjLj3EEiiiiiiiiiiiliiliiiiil ; -- Begin function _ZL18flash_attn_ext_f16ILi96ELi96ELi8ELi4ELb1ELb0EEvPKcS1_S1_S1_S1_PKiPfP15HIP_vector_typeIfLj2EEffffjfiS5_IjLj3EEiiiiiiiiiiiliiliiiiil
	.p2align	8
	.type	_ZL18flash_attn_ext_f16ILi96ELi96ELi8ELi4ELb1ELb0EEvPKcS1_S1_S1_S1_PKiPfP15HIP_vector_typeIfLj2EEffffjfiS5_IjLj3EEiiiiiiiiiiiliiliiiiil,@function
_ZL18flash_attn_ext_f16ILi96ELi96ELi8ELi4ELb1ELb0EEvPKcS1_S1_S1_S1_PKiPfP15HIP_vector_typeIfLj2EEffffjfiS5_IjLj3EEiiiiiiiiiiiliiliiiiil: ; @_ZL18flash_attn_ext_f16ILi96ELi96ELi8ELi4ELb1ELb0EEvPKcS1_S1_S1_S1_PKiPfP15HIP_vector_typeIfLj2EEffffjfiS5_IjLj3EEiiiiiiiiiiiliiliiiiil
; %bb.0:
	s_add_u32 s8, s0, 0xd0
	s_addc_u32 s9, s1, 0
	s_getpc_b64 s[0:1]
	s_add_u32 s0, s0, _ZL14no_device_codePKciS0_iS0_@rel32@lo+4
	s_addc_u32 s1, s1, _ZL14no_device_codePKciS0_iS0_@rel32@hi+12
	v_mov_b32_e32 v0, 0x6cc
	s_mov_b32 s32, 0
	s_swappc_b64 s[30:31], s[0:1]
	.section	.rodata,"a",@progbits
	.p2align	6, 0x0
	.amdhsa_kernel _ZL18flash_attn_ext_f16ILi96ELi96ELi8ELi4ELb1ELb0EEvPKcS1_S1_S1_S1_PKiPfP15HIP_vector_typeIfLj2EEffffjfiS5_IjLj3EEiiiiiiiiiiiliiliiiiil
		.amdhsa_group_segment_fixed_size 0
		.amdhsa_private_segment_fixed_size 16
		.amdhsa_kernarg_size 464
		.amdhsa_user_sgpr_count 2
		.amdhsa_user_sgpr_dispatch_ptr 0
		.amdhsa_user_sgpr_queue_ptr 0
		.amdhsa_user_sgpr_kernarg_segment_ptr 1
		.amdhsa_user_sgpr_dispatch_id 0
		.amdhsa_user_sgpr_kernarg_preload_length 0
		.amdhsa_user_sgpr_kernarg_preload_offset 0
		.amdhsa_user_sgpr_private_segment_size 0
		.amdhsa_uses_dynamic_stack 0
		.amdhsa_enable_private_segment 1
		.amdhsa_system_sgpr_workgroup_id_x 1
		.amdhsa_system_sgpr_workgroup_id_y 0
		.amdhsa_system_sgpr_workgroup_id_z 0
		.amdhsa_system_sgpr_workgroup_info 0
		.amdhsa_system_vgpr_workitem_id 0
		.amdhsa_next_free_vgpr 52
		.amdhsa_next_free_sgpr 34
		.amdhsa_accum_offset 52
		.amdhsa_reserve_vcc 1
		.amdhsa_float_round_mode_32 0
		.amdhsa_float_round_mode_16_64 0
		.amdhsa_float_denorm_mode_32 3
		.amdhsa_float_denorm_mode_16_64 3
		.amdhsa_dx10_clamp 1
		.amdhsa_ieee_mode 1
		.amdhsa_fp16_overflow 0
		.amdhsa_tg_split 0
		.amdhsa_exception_fp_ieee_invalid_op 0
		.amdhsa_exception_fp_denorm_src 0
		.amdhsa_exception_fp_ieee_div_zero 0
		.amdhsa_exception_fp_ieee_overflow 0
		.amdhsa_exception_fp_ieee_underflow 0
		.amdhsa_exception_fp_ieee_inexact 0
		.amdhsa_exception_int_div_zero 0
	.end_amdhsa_kernel
	.section	.text._ZL18flash_attn_ext_f16ILi96ELi96ELi8ELi4ELb1ELb0EEvPKcS1_S1_S1_S1_PKiPfP15HIP_vector_typeIfLj2EEffffjfiS5_IjLj3EEiiiiiiiiiiiliiliiiiil,"axG",@progbits,_ZL18flash_attn_ext_f16ILi96ELi96ELi8ELi4ELb1ELb0EEvPKcS1_S1_S1_S1_PKiPfP15HIP_vector_typeIfLj2EEffffjfiS5_IjLj3EEiiiiiiiiiiiliiliiiiil,comdat
.Lfunc_end15:
	.size	_ZL18flash_attn_ext_f16ILi96ELi96ELi8ELi4ELb1ELb0EEvPKcS1_S1_S1_S1_PKiPfP15HIP_vector_typeIfLj2EEffffjfiS5_IjLj3EEiiiiiiiiiiiliiliiiiil, .Lfunc_end15-_ZL18flash_attn_ext_f16ILi96ELi96ELi8ELi4ELb1ELb0EEvPKcS1_S1_S1_S1_PKiPfP15HIP_vector_typeIfLj2EEffffjfiS5_IjLj3EEiiiiiiiiiiiliiliiiiil
                                        ; -- End function
	.set _ZL18flash_attn_ext_f16ILi96ELi96ELi8ELi4ELb1ELb0EEvPKcS1_S1_S1_S1_PKiPfP15HIP_vector_typeIfLj2EEffffjfiS5_IjLj3EEiiiiiiiiiiiliiliiiiil.num_vgpr, max(1, .L_ZL14no_device_codePKciS0_iS0_.num_vgpr)
	.set _ZL18flash_attn_ext_f16ILi96ELi96ELi8ELi4ELb1ELb0EEvPKcS1_S1_S1_S1_PKiPfP15HIP_vector_typeIfLj2EEffffjfiS5_IjLj3EEiiiiiiiiiiiliiliiiiil.num_agpr, max(0, .L_ZL14no_device_codePKciS0_iS0_.num_agpr)
	.set _ZL18flash_attn_ext_f16ILi96ELi96ELi8ELi4ELb1ELb0EEvPKcS1_S1_S1_S1_PKiPfP15HIP_vector_typeIfLj2EEffffjfiS5_IjLj3EEiiiiiiiiiiiliiliiiiil.numbered_sgpr, max(33, .L_ZL14no_device_codePKciS0_iS0_.numbered_sgpr)
	.set _ZL18flash_attn_ext_f16ILi96ELi96ELi8ELi4ELb1ELb0EEvPKcS1_S1_S1_S1_PKiPfP15HIP_vector_typeIfLj2EEffffjfiS5_IjLj3EEiiiiiiiiiiiliiliiiiil.num_named_barrier, max(0, .L_ZL14no_device_codePKciS0_iS0_.num_named_barrier)
	.set _ZL18flash_attn_ext_f16ILi96ELi96ELi8ELi4ELb1ELb0EEvPKcS1_S1_S1_S1_PKiPfP15HIP_vector_typeIfLj2EEffffjfiS5_IjLj3EEiiiiiiiiiiiliiliiiiil.private_seg_size, 0+max(.L_ZL14no_device_codePKciS0_iS0_.private_seg_size)
	.set _ZL18flash_attn_ext_f16ILi96ELi96ELi8ELi4ELb1ELb0EEvPKcS1_S1_S1_S1_PKiPfP15HIP_vector_typeIfLj2EEffffjfiS5_IjLj3EEiiiiiiiiiiiliiliiiiil.uses_vcc, or(1, .L_ZL14no_device_codePKciS0_iS0_.uses_vcc)
	.set _ZL18flash_attn_ext_f16ILi96ELi96ELi8ELi4ELb1ELb0EEvPKcS1_S1_S1_S1_PKiPfP15HIP_vector_typeIfLj2EEffffjfiS5_IjLj3EEiiiiiiiiiiiliiliiiiil.uses_flat_scratch, or(0, .L_ZL14no_device_codePKciS0_iS0_.uses_flat_scratch)
	.set _ZL18flash_attn_ext_f16ILi96ELi96ELi8ELi4ELb1ELb0EEvPKcS1_S1_S1_S1_PKiPfP15HIP_vector_typeIfLj2EEffffjfiS5_IjLj3EEiiiiiiiiiiiliiliiiiil.has_dyn_sized_stack, or(0, .L_ZL14no_device_codePKciS0_iS0_.has_dyn_sized_stack)
	.set _ZL18flash_attn_ext_f16ILi96ELi96ELi8ELi4ELb1ELb0EEvPKcS1_S1_S1_S1_PKiPfP15HIP_vector_typeIfLj2EEffffjfiS5_IjLj3EEiiiiiiiiiiiliiliiiiil.has_recursion, or(0, .L_ZL14no_device_codePKciS0_iS0_.has_recursion)
	.set _ZL18flash_attn_ext_f16ILi96ELi96ELi8ELi4ELb1ELb0EEvPKcS1_S1_S1_S1_PKiPfP15HIP_vector_typeIfLj2EEffffjfiS5_IjLj3EEiiiiiiiiiiiliiliiiiil.has_indirect_call, or(0, .L_ZL14no_device_codePKciS0_iS0_.has_indirect_call)
	.section	.AMDGPU.csdata,"",@progbits
; Kernel info:
; codeLenInByte = 48
; TotalNumSgprs: 40
; NumVgprs: 52
; NumAgprs: 0
; TotalNumVgprs: 52
; ScratchSize: 16
; MemoryBound: 0
; FloatMode: 240
; IeeeMode: 1
; LDSByteSize: 0 bytes/workgroup (compile time only)
; SGPRBlocks: 4
; VGPRBlocks: 6
; NumSGPRsForWavesPerEU: 40
; NumVGPRsForWavesPerEU: 52
; AccumOffset: 52
; Occupancy: 8
; WaveLimiterHint : 1
; COMPUTE_PGM_RSRC2:SCRATCH_EN: 1
; COMPUTE_PGM_RSRC2:USER_SGPR: 2
; COMPUTE_PGM_RSRC2:TRAP_HANDLER: 0
; COMPUTE_PGM_RSRC2:TGID_X_EN: 1
; COMPUTE_PGM_RSRC2:TGID_Y_EN: 0
; COMPUTE_PGM_RSRC2:TGID_Z_EN: 0
; COMPUTE_PGM_RSRC2:TIDIG_COMP_CNT: 0
; COMPUTE_PGM_RSRC3_GFX90A:ACCUM_OFFSET: 12
; COMPUTE_PGM_RSRC3_GFX90A:TG_SPLIT: 0
	.section	.text._ZL33flash_attn_stream_k_fixup_uniformILi96ELi8ELi4EEvPfPK15HIP_vector_typeIfLj2EEiiiiiiS1_IjLj3EES5_S5_,"axG",@progbits,_ZL33flash_attn_stream_k_fixup_uniformILi96ELi8ELi4EEvPfPK15HIP_vector_typeIfLj2EEiiiiiiS1_IjLj3EES5_S5_,comdat
	.globl	_ZL33flash_attn_stream_k_fixup_uniformILi96ELi8ELi4EEvPfPK15HIP_vector_typeIfLj2EEiiiiiiS1_IjLj3EES5_S5_ ; -- Begin function _ZL33flash_attn_stream_k_fixup_uniformILi96ELi8ELi4EEvPfPK15HIP_vector_typeIfLj2EEiiiiiiS1_IjLj3EES5_S5_
	.p2align	8
	.type	_ZL33flash_attn_stream_k_fixup_uniformILi96ELi8ELi4EEvPfPK15HIP_vector_typeIfLj2EEiiiiiiS1_IjLj3EES5_S5_,@function
_ZL33flash_attn_stream_k_fixup_uniformILi96ELi8ELi4EEvPfPK15HIP_vector_typeIfLj2EEiiiiiiS1_IjLj3EES5_S5_: ; @_ZL33flash_attn_stream_k_fixup_uniformILi96ELi8ELi4EEvPfPK15HIP_vector_typeIfLj2EEiiiiiiS1_IjLj3EES5_S5_
; %bb.0:
	s_load_dwordx8 s[8:15], s[0:1], 0x1c
	s_load_dwordx2 s[6:7], s[0:1], 0x10
	s_load_dwordx4 s[16:19], s[0:1], 0x3c
	s_waitcnt lgkmcnt(0)
	s_mul_hi_u32 s5, s11, s2
	s_add_i32 s5, s2, s5
	s_lshr_b32 s5, s5, s12
	s_mul_i32 s11, s5, s13
	s_sub_i32 s12, s2, s11
	s_mul_hi_u32 s11, s12, s14
	s_add_i32 s11, s12, s11
	s_lshr_b32 s11, s11, s15
	s_mul_i32 s13, s11, s16
	s_sub_i32 s12, s12, s13
	;; [unrolled: 5-line block ×3, first 2 shown]
	s_lshl_b32 s12, s16, 3
	s_lshl_b32 s17, s13, 2
	s_add_i32 s12, s12, s3
	s_cmp_lt_i32 s12, s6
	s_cselect_b64 s[12:13], -1, 0
	s_add_i32 s17, s17, s4
	s_cmp_lt_i32 s17, s9
	s_cselect_b64 s[14:15], -1, 0
	s_and_b64 s[12:13], s[12:13], s[14:15]
	s_andn2_b64 vcc, exec, s[12:13]
	s_cbranch_vccnz .LBB16_6
; %bb.1:
	s_load_dwordx4 s[12:15], s[0:1], 0x0
	s_mul_i32 s0, s5, s6
	s_mul_i32 s11, s11, s9
	s_add_i32 s0, s0, s3
	s_mul_i32 s0, s0, s7
	s_add_i32 s5, s17, s11
	;; [unrolled: 2-line block ×3, first 2 shown]
	s_mulk_i32 s1, 0x300
	s_mulk_i32 s0, 0x60
	s_add_i32 s0, s0, s1
	v_add_u32_e32 v4, s0, v0
	s_waitcnt lgkmcnt(0)
	v_mov_b32_e32 v2, s12
	v_mov_b32_e32 v3, s13
	v_ashrrev_i32_e32 v5, 31, v4
	v_lshl_add_u64 v[2:3], v[4:5], 2, v[2:3]
	global_load_dword v5, v[2:3], off
	s_mul_i32 s5, s10, s2
	s_lshl_b32 s11, s3, 2
	s_add_i32 s9, s5, s10
	s_add_i32 s0, s11, s4
	s_lshl_b32 s1, s9, 5
	s_add_i32 s0, s0, s1
	s_sub_i32 s0, s0, 32
	s_ashr_i32 s1, s0, 31
	s_lshl_b64 s[0:1], s[0:1], 3
	s_add_u32 s0, s14, s0
	s_addc_u32 s1, s15, s1
	s_load_dword s12, s[0:1], 0x4
	s_add_i32 s6, s9, -2
	s_cmp_lt_i32 s6, s5
	s_cbranch_scc1 .LBB16_4
; %bb.2:
	s_lshl_b32 s6, s8, 7
	s_ashr_i32 s7, s6, 31
	s_lshl_b64 s[6:7], s[6:7], 2
	s_add_u32 s6, s14, s6
	s_addc_u32 s7, s15, s7
	s_add_i32 s2, s2, 1
	s_load_dword s0, s[0:1], 0x0
	s_mul_i32 s1, s10, s2
	s_lshl_b32 s2, s1, 5
	s_add_i32 s2, s4, s2
	s_mulk_i32 s3, 0x180
	s_mulk_i32 s4, 0x60
	s_lshl_b32 s8, s8, 5
	s_mulk_i32 s1, 0xc00
	s_add_i32 s3, s4, s3
	s_add_i32 s2, s2, s8
	;; [unrolled: 1-line block ×4, first 2 shown]
	v_add_u32_e32 v0, s3, v0
	s_add_i32 s9, s9, -1
	s_sub_i32 s2, s2, 64
	v_add_u32_e32 v0, 0xffffe800, v0
	s_waitcnt lgkmcnt(0)
	v_mov_b32_e32 v7, s0
	v_mov_b32_e32 v4, s12
	s_mov_b32 s4, 0x3fb8aa3b
	s_mov_b32 s8, 0xc2ce8ed0
	;; [unrolled: 1-line block ×3, first 2 shown]
	v_mov_b32_e32 v6, 0x7f800000
	s_mov_b32 s11, 0xc1a00000
.LBB16_3:                               ; =>This Inner Loop Header: Depth=1
	v_ashrrev_i32_e32 v1, 31, v0
	v_lshl_add_u64 v[8:9], v[0:1], 2, s[6:7]
	global_load_dword v9, v[8:9], off
	s_ashr_i32 s3, s2, 31
	s_lshl_b64 s[0:1], s[2:3], 3
	s_add_u32 s0, s14, s0
	s_addc_u32 s1, s15, s1
	s_load_dwordx2 s[0:1], s[0:1], 0x0
	v_max_f32_e32 v1, v7, v7
	s_add_i32 s9, s9, -1
	s_sub_i32 s2, s2, 32
	v_add_u32_e32 v0, 0xfffff400, v0
	s_waitcnt lgkmcnt(0)
	v_max_f32_e64 v10, s0, s0
	v_max_f32_e32 v1, v1, v10
	v_sub_f32_e32 v11, s0, v1
	v_sub_f32_e32 v10, v7, v1
	v_mul_f32_e32 v12, 0x3fb8aa3b, v11
	v_mov_b32_e32 v7, v1
	v_mul_f32_e32 v1, 0x3fb8aa3b, v10
	v_fma_f32 v15, v11, s4, -v12
	v_rndne_f32_e32 v16, v12
	v_fma_f32 v13, v10, s4, -v1
	v_rndne_f32_e32 v14, v1
	v_fmac_f32_e32 v15, 0x32a5705f, v11
	v_sub_f32_e32 v12, v12, v16
	v_fmac_f32_e32 v13, 0x32a5705f, v10
	v_sub_f32_e32 v1, v1, v14
	v_add_f32_e32 v12, v12, v15
	v_cvt_i32_f32_e32 v16, v16
	v_add_f32_e32 v1, v1, v13
	v_exp_f32_e32 v12, v12
	v_cvt_i32_f32_e32 v14, v14
	v_exp_f32_e32 v1, v1
	v_cmp_ngt_f32_e32 vcc, s8, v11
	v_ldexp_f32 v12, v12, v16
	v_mov_b32_e32 v8, s1
	v_ldexp_f32 v1, v1, v14
	v_cmp_ngt_f32_e64 s[0:1], s8, v10
	v_cndmask_b32_e32 v12, 0, v12, vcc
	v_cmp_nlt_f32_e32 vcc, s10, v11
	v_cndmask_b32_e64 v1, 0, v1, s[0:1]
	v_cmp_nlt_f32_e64 s[0:1], s10, v10
	v_cndmask_b32_e32 v12, v6, v12, vcc
	v_cmp_le_f32_e32 vcc, s11, v11
	v_cndmask_b32_e64 v1, v6, v1, s[0:1]
	v_cmp_le_f32_e64 s[0:1], s11, v10
	v_cndmask_b32_e32 v12, 0, v12, vcc
	s_cmp_le_i32 s9, s5
	v_cndmask_b32_e64 v10, 0, v1, s[0:1]
	s_waitcnt vmcnt(0)
	v_pk_mul_f32 v[8:9], v[8:9], v[12:13] op_sel_hi:[1,0]
	s_nop 0
	v_pk_fma_f32 v[4:5], v[4:5], v[10:11], v[8:9] op_sel_hi:[1,0,1]
	s_cbranch_scc0 .LBB16_3
	s_branch .LBB16_5
.LBB16_4:
	s_waitcnt lgkmcnt(0)
	v_mov_b32_e32 v4, s12
.LBB16_5:
	s_waitcnt vmcnt(0)
	v_div_scale_f32 v0, s[0:1], v4, v4, v5
	v_rcp_f32_e32 v1, v0
	v_div_scale_f32 v6, vcc, v5, v4, v5
	v_fma_f32 v7, -v0, v1, 1.0
	v_fmac_f32_e32 v1, v7, v1
	v_mul_f32_e32 v7, v6, v1
	v_fma_f32 v8, -v0, v7, v6
	v_fmac_f32_e32 v7, v8, v1
	v_fma_f32 v0, -v0, v7, v6
	v_div_fmas_f32 v0, v0, v1, v7
	v_div_fixup_f32 v0, v0, v4, v5
	global_store_dword v[2:3], v0, off
.LBB16_6:
	s_endpgm
	.section	.rodata,"a",@progbits
	.p2align	6, 0x0
	.amdhsa_kernel _ZL33flash_attn_stream_k_fixup_uniformILi96ELi8ELi4EEvPfPK15HIP_vector_typeIfLj2EEiiiiiiS1_IjLj3EES5_S5_
		.amdhsa_group_segment_fixed_size 0
		.amdhsa_private_segment_fixed_size 0
		.amdhsa_kernarg_size 76
		.amdhsa_user_sgpr_count 2
		.amdhsa_user_sgpr_dispatch_ptr 0
		.amdhsa_user_sgpr_queue_ptr 0
		.amdhsa_user_sgpr_kernarg_segment_ptr 1
		.amdhsa_user_sgpr_dispatch_id 0
		.amdhsa_user_sgpr_kernarg_preload_length 0
		.amdhsa_user_sgpr_kernarg_preload_offset 0
		.amdhsa_user_sgpr_private_segment_size 0
		.amdhsa_uses_dynamic_stack 0
		.amdhsa_enable_private_segment 0
		.amdhsa_system_sgpr_workgroup_id_x 1
		.amdhsa_system_sgpr_workgroup_id_y 1
		.amdhsa_system_sgpr_workgroup_id_z 1
		.amdhsa_system_sgpr_workgroup_info 0
		.amdhsa_system_vgpr_workitem_id 0
		.amdhsa_next_free_vgpr 17
		.amdhsa_next_free_sgpr 20
		.amdhsa_accum_offset 20
		.amdhsa_reserve_vcc 1
		.amdhsa_float_round_mode_32 0
		.amdhsa_float_round_mode_16_64 0
		.amdhsa_float_denorm_mode_32 3
		.amdhsa_float_denorm_mode_16_64 3
		.amdhsa_dx10_clamp 1
		.amdhsa_ieee_mode 1
		.amdhsa_fp16_overflow 0
		.amdhsa_tg_split 0
		.amdhsa_exception_fp_ieee_invalid_op 0
		.amdhsa_exception_fp_denorm_src 0
		.amdhsa_exception_fp_ieee_div_zero 0
		.amdhsa_exception_fp_ieee_overflow 0
		.amdhsa_exception_fp_ieee_underflow 0
		.amdhsa_exception_fp_ieee_inexact 0
		.amdhsa_exception_int_div_zero 0
	.end_amdhsa_kernel
	.section	.text._ZL33flash_attn_stream_k_fixup_uniformILi96ELi8ELi4EEvPfPK15HIP_vector_typeIfLj2EEiiiiiiS1_IjLj3EES5_S5_,"axG",@progbits,_ZL33flash_attn_stream_k_fixup_uniformILi96ELi8ELi4EEvPfPK15HIP_vector_typeIfLj2EEiiiiiiS1_IjLj3EES5_S5_,comdat
.Lfunc_end16:
	.size	_ZL33flash_attn_stream_k_fixup_uniformILi96ELi8ELi4EEvPfPK15HIP_vector_typeIfLj2EEiiiiiiS1_IjLj3EES5_S5_, .Lfunc_end16-_ZL33flash_attn_stream_k_fixup_uniformILi96ELi8ELi4EEvPfPK15HIP_vector_typeIfLj2EEiiiiiiS1_IjLj3EES5_S5_
                                        ; -- End function
	.set _ZL33flash_attn_stream_k_fixup_uniformILi96ELi8ELi4EEvPfPK15HIP_vector_typeIfLj2EEiiiiiiS1_IjLj3EES5_S5_.num_vgpr, 17
	.set _ZL33flash_attn_stream_k_fixup_uniformILi96ELi8ELi4EEvPfPK15HIP_vector_typeIfLj2EEiiiiiiS1_IjLj3EES5_S5_.num_agpr, 0
	.set _ZL33flash_attn_stream_k_fixup_uniformILi96ELi8ELi4EEvPfPK15HIP_vector_typeIfLj2EEiiiiiiS1_IjLj3EES5_S5_.numbered_sgpr, 20
	.set _ZL33flash_attn_stream_k_fixup_uniformILi96ELi8ELi4EEvPfPK15HIP_vector_typeIfLj2EEiiiiiiS1_IjLj3EES5_S5_.num_named_barrier, 0
	.set _ZL33flash_attn_stream_k_fixup_uniformILi96ELi8ELi4EEvPfPK15HIP_vector_typeIfLj2EEiiiiiiS1_IjLj3EES5_S5_.private_seg_size, 0
	.set _ZL33flash_attn_stream_k_fixup_uniformILi96ELi8ELi4EEvPfPK15HIP_vector_typeIfLj2EEiiiiiiS1_IjLj3EES5_S5_.uses_vcc, 1
	.set _ZL33flash_attn_stream_k_fixup_uniformILi96ELi8ELi4EEvPfPK15HIP_vector_typeIfLj2EEiiiiiiS1_IjLj3EES5_S5_.uses_flat_scratch, 0
	.set _ZL33flash_attn_stream_k_fixup_uniformILi96ELi8ELi4EEvPfPK15HIP_vector_typeIfLj2EEiiiiiiS1_IjLj3EES5_S5_.has_dyn_sized_stack, 0
	.set _ZL33flash_attn_stream_k_fixup_uniformILi96ELi8ELi4EEvPfPK15HIP_vector_typeIfLj2EEiiiiiiS1_IjLj3EES5_S5_.has_recursion, 0
	.set _ZL33flash_attn_stream_k_fixup_uniformILi96ELi8ELi4EEvPfPK15HIP_vector_typeIfLj2EEiiiiiiS1_IjLj3EES5_S5_.has_indirect_call, 0
	.section	.AMDGPU.csdata,"",@progbits
; Kernel info:
; codeLenInByte = 832
; TotalNumSgprs: 26
; NumVgprs: 17
; NumAgprs: 0
; TotalNumVgprs: 17
; ScratchSize: 0
; MemoryBound: 0
; FloatMode: 240
; IeeeMode: 1
; LDSByteSize: 0 bytes/workgroup (compile time only)
; SGPRBlocks: 3
; VGPRBlocks: 2
; NumSGPRsForWavesPerEU: 26
; NumVGPRsForWavesPerEU: 17
; AccumOffset: 20
; Occupancy: 8
; WaveLimiterHint : 0
; COMPUTE_PGM_RSRC2:SCRATCH_EN: 0
; COMPUTE_PGM_RSRC2:USER_SGPR: 2
; COMPUTE_PGM_RSRC2:TRAP_HANDLER: 0
; COMPUTE_PGM_RSRC2:TGID_X_EN: 1
; COMPUTE_PGM_RSRC2:TGID_Y_EN: 1
; COMPUTE_PGM_RSRC2:TGID_Z_EN: 1
; COMPUTE_PGM_RSRC2:TIDIG_COMP_CNT: 0
; COMPUTE_PGM_RSRC3_GFX90A:ACCUM_OFFSET: 4
; COMPUTE_PGM_RSRC3_GFX90A:TG_SPLIT: 0
	.section	.text._ZL33flash_attn_stream_k_fixup_generalILi96ELi8ELi4EEvPfPK15HIP_vector_typeIfLj2EEiiiiS1_IjLj3EES5_S5_S5_,"axG",@progbits,_ZL33flash_attn_stream_k_fixup_generalILi96ELi8ELi4EEvPfPK15HIP_vector_typeIfLj2EEiiiiS1_IjLj3EES5_S5_S5_,comdat
	.globl	_ZL33flash_attn_stream_k_fixup_generalILi96ELi8ELi4EEvPfPK15HIP_vector_typeIfLj2EEiiiiS1_IjLj3EES5_S5_S5_ ; -- Begin function _ZL33flash_attn_stream_k_fixup_generalILi96ELi8ELi4EEvPfPK15HIP_vector_typeIfLj2EEiiiiS1_IjLj3EES5_S5_S5_
	.p2align	8
	.type	_ZL33flash_attn_stream_k_fixup_generalILi96ELi8ELi4EEvPfPK15HIP_vector_typeIfLj2EEiiiiS1_IjLj3EES5_S5_S5_,@function
_ZL33flash_attn_stream_k_fixup_generalILi96ELi8ELi4EEvPfPK15HIP_vector_typeIfLj2EEiiiiS1_IjLj3EES5_S5_S5_: ; @_ZL33flash_attn_stream_k_fixup_generalILi96ELi8ELi4EEvPfPK15HIP_vector_typeIfLj2EEiiiiS1_IjLj3EES5_S5_S5_
; %bb.0:
	s_load_dwordx4 s[8:11], s[0:1], 0x10
	s_load_dword s22, s[0:1], 0x50
	s_mov_b32 s12, 0
	s_waitcnt lgkmcnt(0)
	s_mul_hi_i32 s13, s11, s2
	s_cmp_lg_u64 s[12:13], 0
	s_mul_i32 s5, s11, s2
	s_cbranch_scc0 .LBB17_20
; %bb.1:
	s_add_u32 s6, s22, 0
	s_addc_u32 s7, 0, 0
	s_xor_b64 s[6:7], s[6:7], 0
	v_cvt_f32_u32_e32 v1, s6
	v_cvt_f32_u32_e32 v2, s7
	s_sub_u32 s12, 0, s6
	s_subb_u32 s18, 0, s7
	v_fmamk_f32 v1, v2, 0x4f800000, v1
	v_rcp_f32_e32 v1, v1
	s_nop 0
	v_mul_f32_e32 v1, 0x5f7ffffc, v1
	v_mul_f32_e32 v2, 0x2f800000, v1
	v_trunc_f32_e32 v2, v2
	v_fmamk_f32 v1, v2, 0xcf800000, v1
	v_cvt_u32_f32_e32 v2, v2
	v_cvt_u32_f32_e32 v1, v1
	v_readfirstlane_b32 s19, v2
	v_readfirstlane_b32 s14, v1
	s_mul_i32 s15, s12, s19
	s_mul_hi_u32 s21, s12, s14
	s_mul_i32 s20, s18, s14
	s_add_i32 s15, s21, s15
	s_add_i32 s15, s15, s20
	s_mul_i32 s23, s12, s14
	s_mul_i32 s21, s14, s15
	s_mul_hi_u32 s24, s14, s23
	s_mul_hi_u32 s20, s14, s15
	s_add_u32 s21, s24, s21
	s_addc_u32 s20, 0, s20
	s_mul_hi_u32 s25, s19, s23
	s_mul_i32 s23, s19, s23
	s_add_u32 s21, s21, s23
	s_mul_hi_u32 s24, s19, s15
	s_addc_u32 s20, s20, s25
	s_addc_u32 s21, s24, 0
	s_mul_i32 s15, s19, s15
	s_add_u32 s15, s20, s15
	s_addc_u32 s20, 0, s21
	s_add_u32 s21, s14, s15
	s_cselect_b64 s[14:15], -1, 0
	s_cmp_lg_u64 s[14:15], 0
	s_addc_u32 s19, s19, s20
	s_mul_i32 s14, s12, s19
	s_mul_hi_u32 s15, s12, s21
	s_add_i32 s14, s15, s14
	s_mul_i32 s18, s18, s21
	s_add_i32 s14, s14, s18
	s_mul_i32 s12, s12, s21
	s_mul_hi_u32 s18, s19, s12
	s_mul_i32 s20, s19, s12
	s_mul_i32 s24, s21, s14
	s_mul_hi_u32 s12, s21, s12
	s_mul_hi_u32 s23, s21, s14
	s_add_u32 s12, s12, s24
	s_addc_u32 s23, 0, s23
	s_add_u32 s12, s12, s20
	s_mul_hi_u32 s15, s19, s14
	s_addc_u32 s12, s23, s18
	s_addc_u32 s15, s15, 0
	s_mul_i32 s14, s19, s14
	s_add_u32 s12, s12, s14
	s_addc_u32 s18, 0, s15
	s_add_u32 s20, s21, s12
	s_cselect_b64 s[14:15], -1, 0
	s_cmp_lg_u64 s[14:15], 0
	s_addc_u32 s18, s19, s18
	s_ashr_i32 s14, s13, 31
	s_add_u32 s12, s5, s14
	s_mov_b32 s15, s14
	s_addc_u32 s13, s13, s14
	s_xor_b64 s[12:13], s[12:13], s[14:15]
	s_mul_i32 s21, s12, s18
	s_mul_hi_u32 s23, s12, s20
	s_mul_hi_u32 s19, s12, s18
	s_add_u32 s21, s23, s21
	s_addc_u32 s19, 0, s19
	s_mul_hi_u32 s24, s13, s20
	s_mul_i32 s20, s13, s20
	s_add_u32 s20, s21, s20
	s_mul_hi_u32 s23, s13, s18
	s_addc_u32 s19, s19, s24
	s_addc_u32 s20, s23, 0
	s_mul_i32 s18, s13, s18
	s_add_u32 s23, s19, s18
	s_addc_u32 s24, 0, s20
	s_mul_i32 s18, s6, s24
	s_mul_hi_u32 s19, s6, s23
	s_add_i32 s18, s19, s18
	s_mul_i32 s19, s7, s23
	s_add_i32 s25, s18, s19
	s_sub_i32 s20, s13, s25
	s_mul_i32 s18, s6, s23
	s_sub_u32 s12, s12, s18
	s_cselect_b64 s[18:19], -1, 0
	s_cmp_lg_u64 s[18:19], 0
	s_subb_u32 s26, s20, s7
	s_sub_u32 s27, s12, s6
	s_cselect_b64 s[20:21], -1, 0
	s_cmp_lg_u64 s[20:21], 0
	s_subb_u32 s20, s26, 0
	s_cmp_ge_u32 s20, s7
	s_cselect_b32 s21, -1, 0
	s_cmp_ge_u32 s27, s6
	s_cselect_b32 s26, -1, 0
	s_cmp_eq_u32 s20, s7
	s_cselect_b32 s20, s26, s21
	s_add_u32 s21, s23, 1
	s_addc_u32 s26, s24, 0
	s_add_u32 s27, s23, 2
	s_addc_u32 s28, s24, 0
	s_cmp_lg_u32 s20, 0
	s_cselect_b32 s20, s27, s21
	s_cselect_b32 s21, s28, s26
	s_cmp_lg_u64 s[18:19], 0
	s_subb_u32 s13, s13, s25
	s_cmp_ge_u32 s13, s7
	s_cselect_b32 s18, -1, 0
	s_cmp_ge_u32 s12, s6
	s_cselect_b32 s6, -1, 0
	s_cmp_eq_u32 s13, s7
	s_cselect_b32 s6, s6, s18
	s_cmp_lg_u32 s6, 0
	s_cselect_b32 s7, s21, s24
	s_cselect_b32 s6, s20, s23
	s_xor_b64 s[12:13], s[14:15], 0
	s_xor_b64 s[6:7], s[6:7], s[12:13]
	s_sub_u32 s6, s6, s12
	s_load_dwordx4 s[12:15], s[0:1], 0x44
	s_cbranch_execnz .LBB17_3
.LBB17_2:
	v_cvt_f32_u32_e32 v1, s22
	s_sub_i32 s6, 0, s22
	v_rcp_iflag_f32_e32 v1, v1
	s_nop 0
	v_mul_f32_e32 v1, 0x4f7ffffe, v1
	v_cvt_u32_f32_e32 v1, v1
	s_nop 0
	v_readfirstlane_b32 s7, v1
	s_mul_i32 s6, s6, s7
	s_mul_hi_u32 s6, s7, s6
	s_add_i32 s7, s7, s6
	s_mul_hi_u32 s6, s5, s7
	s_waitcnt lgkmcnt(0)
	s_mul_i32 s15, s6, s22
	s_sub_i32 s5, s5, s15
	s_add_i32 s7, s6, 1
	s_sub_i32 s15, s5, s22
	s_cmp_ge_u32 s5, s22
	s_cselect_b32 s6, s7, s6
	s_cselect_b32 s5, s15, s5
	s_add_i32 s7, s6, 1
	s_cmp_ge_u32 s5, s22
	s_cselect_b32 s6, s7, s6
.LBB17_3:
	s_add_i32 s5, s2, 1
	s_mul_hi_i32 s21, s11, s5
	s_mov_b32 s20, 0
	s_cmp_lg_u64 s[20:21], 0
	s_mul_i32 s5, s11, s5
	s_cbranch_scc0 .LBB17_21
; %bb.4:
	s_add_u32 s16, s22, 0
	s_addc_u32 s17, 0, 0
	s_xor_b64 s[18:19], s[16:17], 0
	v_cvt_f32_u32_e32 v1, s18
	v_cvt_f32_u32_e32 v2, s19
	s_sub_u32 s7, 0, s18
	s_waitcnt lgkmcnt(0)
	s_subb_u32 s15, 0, s19
	v_fmamk_f32 v1, v2, 0x4f800000, v1
	v_rcp_f32_e32 v1, v1
	s_nop 0
	v_mul_f32_e32 v1, 0x5f7ffffc, v1
	v_mul_f32_e32 v2, 0x2f800000, v1
	v_trunc_f32_e32 v2, v2
	v_fmamk_f32 v1, v2, 0xcf800000, v1
	v_cvt_u32_f32_e32 v2, v2
	v_cvt_u32_f32_e32 v1, v1
	v_readfirstlane_b32 s20, v2
	v_readfirstlane_b32 s23, v1
	s_mul_i32 s24, s7, s20
	s_mul_hi_u32 s26, s7, s23
	s_mul_i32 s25, s15, s23
	s_add_i32 s24, s26, s24
	s_add_i32 s24, s24, s25
	s_mul_i32 s27, s7, s23
	s_mul_i32 s26, s23, s24
	s_mul_hi_u32 s28, s23, s27
	s_mul_hi_u32 s25, s23, s24
	s_add_u32 s26, s28, s26
	s_addc_u32 s25, 0, s25
	s_mul_hi_u32 s29, s20, s27
	s_mul_i32 s27, s20, s27
	s_add_u32 s26, s26, s27
	s_mul_hi_u32 s28, s20, s24
	s_addc_u32 s25, s25, s29
	s_addc_u32 s26, s28, 0
	s_mul_i32 s24, s20, s24
	s_add_u32 s24, s25, s24
	s_addc_u32 s26, 0, s26
	s_add_u32 s23, s23, s24
	s_cselect_b64 s[24:25], -1, 0
	s_cmp_lg_u64 s[24:25], 0
	s_addc_u32 s20, s20, s26
	s_mul_i32 s24, s7, s20
	s_mul_hi_u32 s25, s7, s23
	s_add_i32 s24, s25, s24
	s_mul_i32 s15, s15, s23
	s_add_i32 s24, s24, s15
	s_mul_i32 s7, s7, s23
	s_mul_hi_u32 s25, s20, s7
	s_mul_i32 s26, s20, s7
	s_mul_i32 s28, s23, s24
	s_mul_hi_u32 s7, s23, s7
	s_mul_hi_u32 s27, s23, s24
	s_add_u32 s7, s7, s28
	s_addc_u32 s27, 0, s27
	s_add_u32 s7, s7, s26
	s_mul_hi_u32 s15, s20, s24
	s_addc_u32 s7, s27, s25
	s_addc_u32 s15, s15, 0
	s_mul_i32 s24, s20, s24
	s_add_u32 s7, s7, s24
	s_addc_u32 s15, 0, s15
	s_add_u32 s7, s23, s7
	s_cselect_b64 s[24:25], -1, 0
	s_cmp_lg_u64 s[24:25], 0
	s_addc_u32 s15, s20, s15
	s_ashr_i32 s24, s21, 31
	s_add_u32 s20, s5, s24
	s_mov_b32 s25, s24
	s_addc_u32 s21, s21, s24
	s_xor_b64 s[20:21], s[20:21], s[24:25]
	s_mul_i32 s26, s20, s15
	s_mul_hi_u32 s27, s20, s7
	s_mul_hi_u32 s23, s20, s15
	s_add_u32 s26, s27, s26
	s_addc_u32 s23, 0, s23
	s_mul_hi_u32 s28, s21, s7
	s_mul_i32 s7, s21, s7
	s_add_u32 s7, s26, s7
	s_mul_hi_u32 s27, s21, s15
	s_addc_u32 s7, s23, s28
	s_addc_u32 s23, s27, 0
	s_mul_i32 s15, s21, s15
	s_add_u32 s7, s7, s15
	s_addc_u32 s15, 0, s23
	s_mul_i32 s23, s18, s15
	s_mul_hi_u32 s26, s18, s7
	s_add_i32 s23, s26, s23
	s_mul_i32 s26, s19, s7
	s_add_i32 s23, s23, s26
	s_sub_i32 s28, s21, s23
	s_mul_i32 s26, s18, s7
	s_sub_u32 s20, s20, s26
	s_cselect_b64 s[26:27], -1, 0
	s_cmp_lg_u64 s[26:27], 0
	s_subb_u32 s30, s28, s19
	s_sub_u32 s31, s20, s18
	s_cselect_b64 s[28:29], -1, 0
	s_cmp_lg_u64 s[28:29], 0
	s_subb_u32 s28, s30, 0
	s_cmp_ge_u32 s28, s19
	s_cselect_b32 s29, -1, 0
	s_cmp_ge_u32 s31, s18
	s_cselect_b32 s30, -1, 0
	s_cmp_eq_u32 s28, s19
	s_cselect_b32 s28, s30, s29
	s_add_u32 s29, s7, 1
	s_addc_u32 s30, s15, 0
	s_add_u32 s31, s7, 2
	s_addc_u32 s33, s15, 0
	s_cmp_lg_u32 s28, 0
	s_cselect_b32 s28, s31, s29
	s_cselect_b32 s29, s33, s30
	s_cmp_lg_u64 s[26:27], 0
	s_subb_u32 s21, s21, s23
	s_cmp_ge_u32 s21, s19
	s_cselect_b32 s23, -1, 0
	s_cmp_ge_u32 s20, s18
	s_cselect_b32 s18, -1, 0
	s_cmp_eq_u32 s21, s19
	s_cselect_b32 s18, s18, s23
	s_cmp_lg_u32 s18, 0
	s_cselect_b32 s19, s29, s15
	s_cselect_b32 s18, s28, s7
	s_xor_b64 s[20:21], s[24:25], 0
	s_xor_b64 s[18:19], s[18:19], s[20:21]
	s_sub_u32 s18, s18, s20
	s_cbranch_execnz .LBB17_6
.LBB17_5:
	v_cvt_f32_u32_e32 v1, s22
	s_sub_i32 s7, 0, s22
	v_rcp_iflag_f32_e32 v1, v1
	s_nop 0
	v_mul_f32_e32 v1, 0x4f7ffffe, v1
	v_cvt_u32_f32_e32 v1, v1
	s_waitcnt lgkmcnt(0)
	v_readfirstlane_b32 s15, v1
	s_mul_i32 s7, s7, s15
	s_mul_hi_u32 s7, s15, s7
	s_add_i32 s15, s15, s7
	s_mul_hi_u32 s7, s5, s15
	s_mul_i32 s16, s7, s22
	s_sub_i32 s5, s5, s16
	s_add_i32 s15, s7, 1
	s_sub_i32 s16, s5, s22
	s_cmp_ge_u32 s5, s22
	s_cselect_b32 s7, s15, s7
	s_cselect_b32 s5, s16, s5
	s_add_i32 s15, s7, 1
	s_cmp_ge_u32 s5, s22
	s_cselect_b32 s18, s15, s7
.LBB17_6:
	s_cmp_eq_u32 s6, s18
	s_waitcnt lgkmcnt(0)
	s_mul_hi_u32 s5, s6, s12
	s_cselect_b64 s[16:17], -1, 0
	s_add_i32 s5, s5, s6
	s_lshr_b32 s7, s5, s13
	s_mul_i32 s5, s7, s14
	s_cmp_eq_u32 s5, s6
	s_mul_hi_u32 s5, s18, s12
	s_cselect_b64 s[20:21], -1, 0
	s_add_i32 s5, s5, s18
	s_lshr_b32 s5, s5, s13
	s_cmp_eq_u32 s7, s5
	s_mul_i32 s5, s5, s14
	s_cselect_b64 s[24:25], -1, 0
	s_cmp_lg_u32 s5, s18
	s_cselect_b64 s[18:19], -1, 0
	s_and_b64 s[18:19], s[24:25], s[18:19]
	s_or_b64 s[16:17], s[16:17], s[20:21]
	s_or_b64 s[16:17], s[16:17], s[18:19]
	s_and_b64 vcc, exec, s[16:17]
	s_cbranch_vccnz .LBB17_23
; %bb.7:
	s_load_dwordx8 s[24:31], s[0:1], 0x20
	s_load_dword s5, s[0:1], 0x40
	s_waitcnt lgkmcnt(0)
	s_mul_hi_u32 s15, s6, s24
	s_add_i32 s15, s15, s6
	s_lshr_b32 s20, s15, s25
	s_mul_i32 s15, s20, s26
	s_sub_i32 s15, s6, s15
	s_mul_hi_u32 s16, s15, s27
	s_add_i32 s16, s15, s16
	s_lshr_b32 s21, s16, s28
	s_mul_i32 s16, s21, s29
	s_sub_i32 s15, s15, s16
	;; [unrolled: 5-line block ×3, first 2 shown]
	s_mul_hi_u32 s15, s5, s12
	s_add_i32 s5, s5, s15
	s_lshr_b32 s23, s5, s13
	s_lshl_b32 s5, s23, 3
	s_lshl_b32 s24, s16, 2
	s_add_i32 s5, s5, s3
	s_cmp_lt_i32 s5, s8
	s_cselect_b64 s[16:17], -1, 0
	s_add_i32 s24, s24, s4
	s_cmp_lt_i32 s24, s10
	s_cselect_b64 s[18:19], -1, 0
	s_and_b64 s[16:17], s[16:17], s[18:19]
	s_andn2_b64 vcc, exec, s[16:17]
	s_cbranch_vccnz .LBB17_23
; %bb.8:
	s_load_dwordx4 s[16:19], s[0:1], 0x0
	s_mov_b32 s0, 0
	s_lshl_b32 s15, s3, 2
	s_lshl_b32 s26, s22, 7
	s_mov_b32 s27, s0
	s_add_i32 s15, s15, s4
	s_lshl_b64 s[4:5], s[26:27], 2
	s_waitcnt lgkmcnt(0)
	s_add_u32 s4, s18, s4
	s_mul_i32 s1, s20, s8
	s_addc_u32 s5, s19, s5
	s_mul_i32 s21, s21, s10
	s_add_i32 s1, s1, s3
	s_mul_i32 s1, s1, s9
	s_add_i32 s3, s24, s21
	;; [unrolled: 2-line block ×3, first 2 shown]
	s_mulk_i32 s8, 0x300
	s_mulk_i32 s1, 0x60
	s_add_i32 s8, s8, s1
	v_add_u32_e32 v4, s8, v0
	v_mov_b32_e32 v2, s16
	v_mov_b32_e32 v3, s17
	v_ashrrev_i32_e32 v5, 31, v4
	v_lshl_add_u64 v[2:3], v[4:5], 2, v[2:3]
	global_load_dword v1, v[2:3], off
	v_cvt_f32_u32_e32 v4, s22
	s_lshl_b32 s1, s2, 5
	s_add_i32 s8, s15, s1
	s_ashr_i32 s9, s8, 31
	s_lshl_b64 s[8:9], s[8:9], 3
	v_rcp_iflag_f32_e32 v4, v4
	s_add_u32 s8, s18, s8
	s_addc_u32 s9, s19, s9
	s_load_dwordx2 s[8:9], s[8:9], 0x0
	v_mul_f32_e32 v4, 0x4f7ffffe, v4
	v_cvt_u32_f32_e32 v7, v4
	s_mul_i32 s1, s15, 0x60
	s_add_i32 s21, s2, -1
	v_add_u32_e32 v6, s1, v0
	s_waitcnt lgkmcnt(0)
	v_mov_b32_e32 v0, s9
	v_mov_b32_e32 v9, s8
	s_mov_b32 s10, 0x3fb8aa3b
	s_mov_b32 s20, 0xc2ce8ed0
	;; [unrolled: 1-line block ×4, first 2 shown]
	v_mov_b32_e32 v8, 0x7f800000
	s_mul_hi_i32 s1, s21, s11
	s_cmp_lg_u64 s[0:1], 0
	s_mul_i32 s16, s21, s11
	s_cbranch_scc0 .LBB17_19
.LBB17_9:
	s_add_u32 s2, s22, 0
	s_addc_u32 s3, 0, 0
	s_xor_b64 s[2:3], s[2:3], 0
	v_cvt_f32_u32_e32 v4, s2
	v_cvt_f32_u32_e32 v5, s3
	s_sub_u32 s17, 0, s2
	s_subb_u32 s25, 0, s3
	v_fmac_f32_e32 v4, 0x4f800000, v5
	v_rcp_f32_e32 v4, v4
	s_nop 0
	v_mul_f32_e32 v4, 0x5f7ffffc, v4
	v_mul_f32_e32 v5, 0x2f800000, v4
	v_trunc_f32_e32 v5, v5
	v_fmac_f32_e32 v4, 0xcf800000, v5
	v_cvt_u32_f32_e32 v5, v5
	v_cvt_u32_f32_e32 v4, v4
	v_readfirstlane_b32 s26, v5
	v_readfirstlane_b32 s8, v4
	s_mul_i32 s9, s17, s26
	s_mul_hi_u32 s28, s17, s8
	s_mul_i32 s27, s25, s8
	s_add_i32 s9, s28, s9
	s_mul_i32 s29, s17, s8
	s_add_i32 s9, s9, s27
	s_mul_i32 s28, s8, s9
	s_mul_hi_u32 s30, s8, s29
	s_mul_hi_u32 s27, s8, s9
	s_add_u32 s28, s30, s28
	s_addc_u32 s27, 0, s27
	s_mul_hi_u32 s31, s26, s29
	s_mul_i32 s29, s26, s29
	s_add_u32 s28, s28, s29
	s_mul_hi_u32 s30, s26, s9
	s_addc_u32 s27, s27, s31
	s_addc_u32 s28, s30, 0
	s_mul_i32 s9, s26, s9
	s_add_u32 s9, s27, s9
	s_addc_u32 s27, 0, s28
	s_add_u32 s28, s8, s9
	s_cselect_b64 s[8:9], -1, 0
	s_cmp_lg_u64 s[8:9], 0
	s_addc_u32 s26, s26, s27
	s_mul_i32 s8, s17, s26
	s_mul_hi_u32 s9, s17, s28
	s_add_i32 s8, s9, s8
	s_mul_i32 s25, s25, s28
	s_add_i32 s8, s8, s25
	s_mul_i32 s17, s17, s28
	s_mul_hi_u32 s25, s26, s17
	s_mul_i32 s27, s26, s17
	s_mul_i32 s30, s28, s8
	s_mul_hi_u32 s17, s28, s17
	s_mul_hi_u32 s29, s28, s8
	s_add_u32 s17, s17, s30
	s_addc_u32 s29, 0, s29
	s_add_u32 s17, s17, s27
	s_mul_hi_u32 s9, s26, s8
	s_addc_u32 s17, s29, s25
	s_addc_u32 s9, s9, 0
	s_mul_i32 s8, s26, s8
	s_add_u32 s8, s17, s8
	s_addc_u32 s17, 0, s9
	s_add_u32 s25, s28, s8
	s_cselect_b64 s[8:9], -1, 0
	s_cmp_lg_u64 s[8:9], 0
	s_addc_u32 s17, s26, s17
	s_ashr_i32 s8, s1, 31
	s_add_u32 s26, s16, s8
	s_mov_b32 s9, s8
	s_addc_u32 s27, s1, s8
	s_xor_b64 s[26:27], s[26:27], s[8:9]
	s_mul_i32 s28, s26, s17
	s_mul_hi_u32 s29, s26, s25
	s_mul_hi_u32 s1, s26, s17
	s_add_u32 s28, s29, s28
	s_addc_u32 s1, 0, s1
	s_mul_hi_u32 s30, s27, s25
	s_mul_i32 s25, s27, s25
	s_add_u32 s25, s28, s25
	s_mul_hi_u32 s29, s27, s17
	s_addc_u32 s1, s1, s30
	s_addc_u32 s25, s29, 0
	s_mul_i32 s17, s27, s17
	s_add_u32 s1, s1, s17
	s_addc_u32 s17, 0, s25
	s_mul_i32 s25, s2, s17
	s_mul_hi_u32 s28, s2, s1
	s_add_i32 s25, s28, s25
	s_mul_i32 s28, s3, s1
	s_add_i32 s25, s25, s28
	s_sub_i32 s30, s27, s25
	s_mul_i32 s28, s2, s1
	s_sub_u32 s26, s26, s28
	s_cselect_b64 s[28:29], -1, 0
	s_cmp_lg_u64 s[28:29], 0
	s_subb_u32 s33, s30, s3
	s_sub_u32 s34, s26, s2
	s_cselect_b64 s[30:31], -1, 0
	s_cmp_lg_u64 s[30:31], 0
	s_subb_u32 s30, s33, 0
	s_cmp_ge_u32 s30, s3
	s_cselect_b32 s31, -1, 0
	s_cmp_ge_u32 s34, s2
	s_cselect_b32 s33, -1, 0
	s_cmp_eq_u32 s30, s3
	s_cselect_b32 s30, s33, s31
	s_add_u32 s31, s1, 1
	s_addc_u32 s33, s17, 0
	s_add_u32 s34, s1, 2
	s_addc_u32 s35, s17, 0
	s_cmp_lg_u32 s30, 0
	s_cselect_b32 s30, s34, s31
	s_cselect_b32 s31, s35, s33
	s_cmp_lg_u64 s[28:29], 0
	s_subb_u32 s25, s27, s25
	s_cmp_ge_u32 s25, s3
	s_cselect_b32 s27, -1, 0
	s_cmp_ge_u32 s26, s2
	s_cselect_b32 s2, -1, 0
	s_cmp_eq_u32 s25, s3
	s_cselect_b32 s2, s2, s27
	s_cmp_lg_u32 s2, 0
	s_cselect_b32 s3, s31, s17
	s_cselect_b32 s2, s30, s1
	s_xor_b64 s[8:9], s[8:9], 0
	s_xor_b64 s[2:3], s[2:3], s[8:9]
	s_sub_u32 s8, s2, s8
	s_cbranch_execnz .LBB17_11
.LBB17_10:
	s_sub_i32 s1, 0, s22
	v_readfirstlane_b32 s2, v7
	s_mul_i32 s1, s1, s2
	s_mul_hi_u32 s1, s2, s1
	s_add_i32 s2, s2, s1
	s_mul_hi_u32 s1, s16, s2
	s_mul_i32 s3, s1, s22
	s_sub_i32 s3, s16, s3
	s_add_i32 s2, s1, 1
	s_sub_i32 s8, s3, s22
	s_cmp_ge_u32 s3, s22
	s_cselect_b32 s1, s2, s1
	s_cselect_b32 s3, s8, s3
	s_add_i32 s2, s1, 1
	s_cmp_ge_u32 s3, s22
	s_cselect_b32 s8, s2, s1
.LBB17_11:
	s_cmp_lg_u32 s6, s8
	s_cbranch_scc0 .LBB17_15
; %bb.12:
	s_add_i32 s1, s21, s22
	s_lshl_b32 s1, s1, 5
	s_add_i32 s2, s1, s15
	s_mov_b32 s3, s0
	s_lshl_b64 s[2:3], s[2:3], 3
	s_add_u32 s16, s18, s2
	s_mul_hi_u32 s1, s8, s12
	s_addc_u32 s17, s19, s3
	s_add_i32 s1, s1, s8
	s_lshr_b32 s1, s1, s13
	s_mul_i32 s2, s1, s14
	s_cmp_eq_u32 s2, s8
	s_cselect_b64 s[2:3], -1, 0
	s_cmp_lt_u32 s1, s7
	s_cselect_b64 s[26:27], -1, 0
	s_or_b64 s[26:27], s[26:27], s[2:3]
	s_mov_b64 s[2:3], -1
	s_and_b64 vcc, exec, s[26:27]
	s_mov_b32 s1, s21
	s_mov_b32 s25, s6
	s_cbranch_vccnz .LBB17_14
; %bb.13:
	s_add_i32 s1, s21, -1
	s_mov_b64 s[2:3], 0
	s_mov_b32 s25, s8
.LBB17_14:
	s_mul_i32 s8, s21, 0xc00
	v_add_u32_e32 v4, s8, v6
	v_ashrrev_i32_e32 v5, 31, v4
	v_lshl_add_u64 v[4:5], v[4:5], 2, s[4:5]
	global_load_dword v5, v[4:5], off
	s_load_dwordx2 s[8:9], s[16:17], 0x0
	v_max_f32_e32 v4, v9, v9
	s_waitcnt lgkmcnt(0)
	v_max_f32_e64 v10, s8, s8
	v_max_f32_e32 v10, v4, v10
	v_sub_f32_e32 v11, v9, v10
	v_sub_f32_e32 v13, s8, v10
	v_mul_f32_e32 v4, 0x3fb8aa3b, v11
	v_mul_f32_e32 v12, 0x3fb8aa3b, v13
	v_fma_f32 v14, v11, s10, -v4
	v_rndne_f32_e32 v15, v4
	v_fma_f32 v16, v13, s10, -v12
	v_rndne_f32_e32 v17, v12
	v_fmac_f32_e32 v14, 0x32a5705f, v11
	v_sub_f32_e32 v4, v4, v15
	v_fmac_f32_e32 v16, 0x32a5705f, v13
	v_sub_f32_e32 v12, v12, v17
	v_add_f32_e32 v4, v4, v14
	v_cvt_i32_f32_e32 v15, v15
	v_add_f32_e32 v12, v12, v16
	v_exp_f32_e32 v14, v4
	v_cvt_i32_f32_e32 v17, v17
	v_exp_f32_e32 v12, v12
	v_cmp_ngt_f32_e32 vcc, s20, v11
	v_ldexp_f32 v14, v14, v15
	v_mov_b32_e32 v4, s9
	v_ldexp_f32 v12, v12, v17
	v_cndmask_b32_e32 v14, 0, v14, vcc
	v_cmp_ngt_f32_e32 vcc, s20, v13
	s_nop 1
	v_cndmask_b32_e32 v12, 0, v12, vcc
	v_cmp_nlt_f32_e32 vcc, s23, v11
	s_nop 1
	v_cndmask_b32_e32 v14, v8, v14, vcc
	v_cmp_nlt_f32_e32 vcc, s23, v13
	s_nop 1
	v_cndmask_b32_e32 v15, v8, v12, vcc
	v_cmp_le_f32_e32 vcc, s24, v11
	s_nop 1
	v_cndmask_b32_e32 v12, 0, v14, vcc
	v_cmp_le_f32_e32 vcc, s24, v13
	s_nop 1
	v_cndmask_b32_e32 v14, 0, v15, vcc
	s_waitcnt vmcnt(0)
	v_pk_mul_f32 v[4:5], v[4:5], v[14:15] op_sel_hi:[1,0]
	s_nop 0
	v_pk_fma_f32 v[4:5], v[0:1], v[12:13], v[4:5] op_sel_hi:[1,0,1]
	s_cbranch_execz .LBB17_16
	s_branch .LBB17_17
.LBB17_15:
                                        ; implicit-def: $vgpr4_vgpr5
                                        ; implicit-def: $sgpr2_sgpr3
                                        ; implicit-def: $vgpr10
                                        ; implicit-def: $sgpr1
                                        ; implicit-def: $sgpr25
.LBB17_16:
	s_add_i32 s1, s21, -1
	s_mov_b64 s[2:3], 0
	s_mov_b32 s25, s6
	v_mov_b32_e32 v10, v9
	s_waitcnt vmcnt(0)
	v_mov_b64_e32 v[4:5], v[0:1]
.LBB17_17:
	s_andn2_b64 vcc, exec, s[2:3]
	s_cbranch_vccz .LBB17_22
; %bb.18:
	s_mov_b32 s6, s25
	s_mov_b32 s21, s1
	v_mov_b32_e32 v9, v10
	s_waitcnt vmcnt(0)
	v_mov_b64_e32 v[0:1], v[4:5]
	s_mul_hi_i32 s1, s21, s11
	s_cmp_lg_u64 s[0:1], 0
	s_mul_i32 s16, s21, s11
	s_cbranch_scc1 .LBB17_9
.LBB17_19:
                                        ; implicit-def: $sgpr8_sgpr9
	s_branch .LBB17_10
.LBB17_20:
                                        ; implicit-def: $sgpr6_sgpr7
	s_load_dwordx4 s[12:15], s[0:1], 0x44
	s_branch .LBB17_2
.LBB17_21:
                                        ; implicit-def: $sgpr18_sgpr19
	s_branch .LBB17_5
.LBB17_22:
	v_div_scale_f32 v0, s[0:1], v4, v4, v5
	s_waitcnt vmcnt(0)
	v_rcp_f32_e32 v1, v0
	v_div_scale_f32 v6, vcc, v5, v4, v5
	v_fma_f32 v7, -v0, v1, 1.0
	v_fmac_f32_e32 v1, v7, v1
	v_mul_f32_e32 v7, v6, v1
	v_fma_f32 v8, -v0, v7, v6
	v_fmac_f32_e32 v7, v8, v1
	v_fma_f32 v0, -v0, v7, v6
	v_div_fmas_f32 v0, v0, v1, v7
	v_div_fixup_f32 v0, v0, v4, v5
	global_store_dword v[2:3], v0, off
.LBB17_23:
	s_endpgm
	.section	.rodata,"a",@progbits
	.p2align	6, 0x0
	.amdhsa_kernel _ZL33flash_attn_stream_k_fixup_generalILi96ELi8ELi4EEvPfPK15HIP_vector_typeIfLj2EEiiiiS1_IjLj3EES5_S5_S5_
		.amdhsa_group_segment_fixed_size 0
		.amdhsa_private_segment_fixed_size 0
		.amdhsa_kernarg_size 336
		.amdhsa_user_sgpr_count 2
		.amdhsa_user_sgpr_dispatch_ptr 0
		.amdhsa_user_sgpr_queue_ptr 0
		.amdhsa_user_sgpr_kernarg_segment_ptr 1
		.amdhsa_user_sgpr_dispatch_id 0
		.amdhsa_user_sgpr_kernarg_preload_length 0
		.amdhsa_user_sgpr_kernarg_preload_offset 0
		.amdhsa_user_sgpr_private_segment_size 0
		.amdhsa_uses_dynamic_stack 0
		.amdhsa_enable_private_segment 0
		.amdhsa_system_sgpr_workgroup_id_x 1
		.amdhsa_system_sgpr_workgroup_id_y 1
		.amdhsa_system_sgpr_workgroup_id_z 1
		.amdhsa_system_sgpr_workgroup_info 0
		.amdhsa_system_vgpr_workitem_id 0
		.amdhsa_next_free_vgpr 18
		.amdhsa_next_free_sgpr 36
		.amdhsa_accum_offset 20
		.amdhsa_reserve_vcc 1
		.amdhsa_float_round_mode_32 0
		.amdhsa_float_round_mode_16_64 0
		.amdhsa_float_denorm_mode_32 3
		.amdhsa_float_denorm_mode_16_64 3
		.amdhsa_dx10_clamp 1
		.amdhsa_ieee_mode 1
		.amdhsa_fp16_overflow 0
		.amdhsa_tg_split 0
		.amdhsa_exception_fp_ieee_invalid_op 0
		.amdhsa_exception_fp_denorm_src 0
		.amdhsa_exception_fp_ieee_div_zero 0
		.amdhsa_exception_fp_ieee_overflow 0
		.amdhsa_exception_fp_ieee_underflow 0
		.amdhsa_exception_fp_ieee_inexact 0
		.amdhsa_exception_int_div_zero 0
	.end_amdhsa_kernel
	.section	.text._ZL33flash_attn_stream_k_fixup_generalILi96ELi8ELi4EEvPfPK15HIP_vector_typeIfLj2EEiiiiS1_IjLj3EES5_S5_S5_,"axG",@progbits,_ZL33flash_attn_stream_k_fixup_generalILi96ELi8ELi4EEvPfPK15HIP_vector_typeIfLj2EEiiiiS1_IjLj3EES5_S5_S5_,comdat
.Lfunc_end17:
	.size	_ZL33flash_attn_stream_k_fixup_generalILi96ELi8ELi4EEvPfPK15HIP_vector_typeIfLj2EEiiiiS1_IjLj3EES5_S5_S5_, .Lfunc_end17-_ZL33flash_attn_stream_k_fixup_generalILi96ELi8ELi4EEvPfPK15HIP_vector_typeIfLj2EEiiiiS1_IjLj3EES5_S5_S5_
                                        ; -- End function
	.set _ZL33flash_attn_stream_k_fixup_generalILi96ELi8ELi4EEvPfPK15HIP_vector_typeIfLj2EEiiiiS1_IjLj3EES5_S5_S5_.num_vgpr, 18
	.set _ZL33flash_attn_stream_k_fixup_generalILi96ELi8ELi4EEvPfPK15HIP_vector_typeIfLj2EEiiiiS1_IjLj3EES5_S5_S5_.num_agpr, 0
	.set _ZL33flash_attn_stream_k_fixup_generalILi96ELi8ELi4EEvPfPK15HIP_vector_typeIfLj2EEiiiiS1_IjLj3EES5_S5_S5_.numbered_sgpr, 36
	.set _ZL33flash_attn_stream_k_fixup_generalILi96ELi8ELi4EEvPfPK15HIP_vector_typeIfLj2EEiiiiS1_IjLj3EES5_S5_S5_.num_named_barrier, 0
	.set _ZL33flash_attn_stream_k_fixup_generalILi96ELi8ELi4EEvPfPK15HIP_vector_typeIfLj2EEiiiiS1_IjLj3EES5_S5_S5_.private_seg_size, 0
	.set _ZL33flash_attn_stream_k_fixup_generalILi96ELi8ELi4EEvPfPK15HIP_vector_typeIfLj2EEiiiiS1_IjLj3EES5_S5_S5_.uses_vcc, 1
	.set _ZL33flash_attn_stream_k_fixup_generalILi96ELi8ELi4EEvPfPK15HIP_vector_typeIfLj2EEiiiiS1_IjLj3EES5_S5_S5_.uses_flat_scratch, 0
	.set _ZL33flash_attn_stream_k_fixup_generalILi96ELi8ELi4EEvPfPK15HIP_vector_typeIfLj2EEiiiiS1_IjLj3EES5_S5_S5_.has_dyn_sized_stack, 0
	.set _ZL33flash_attn_stream_k_fixup_generalILi96ELi8ELi4EEvPfPK15HIP_vector_typeIfLj2EEiiiiS1_IjLj3EES5_S5_S5_.has_recursion, 0
	.set _ZL33flash_attn_stream_k_fixup_generalILi96ELi8ELi4EEvPfPK15HIP_vector_typeIfLj2EEiiiiS1_IjLj3EES5_S5_S5_.has_indirect_call, 0
	.section	.AMDGPU.csdata,"",@progbits
; Kernel info:
; codeLenInByte = 2944
; TotalNumSgprs: 42
; NumVgprs: 18
; NumAgprs: 0
; TotalNumVgprs: 18
; ScratchSize: 0
; MemoryBound: 0
; FloatMode: 240
; IeeeMode: 1
; LDSByteSize: 0 bytes/workgroup (compile time only)
; SGPRBlocks: 5
; VGPRBlocks: 2
; NumSGPRsForWavesPerEU: 42
; NumVGPRsForWavesPerEU: 18
; AccumOffset: 20
; Occupancy: 8
; WaveLimiterHint : 0
; COMPUTE_PGM_RSRC2:SCRATCH_EN: 0
; COMPUTE_PGM_RSRC2:USER_SGPR: 2
; COMPUTE_PGM_RSRC2:TRAP_HANDLER: 0
; COMPUTE_PGM_RSRC2:TGID_X_EN: 1
; COMPUTE_PGM_RSRC2:TGID_Y_EN: 1
; COMPUTE_PGM_RSRC2:TGID_Z_EN: 1
; COMPUTE_PGM_RSRC2:TIDIG_COMP_CNT: 0
; COMPUTE_PGM_RSRC3_GFX90A:ACCUM_OFFSET: 4
; COMPUTE_PGM_RSRC3_GFX90A:TG_SPLIT: 0
	.section	.text._ZL26flash_attn_combine_resultsILi96EEvPKfPK15HIP_vector_typeIfLj2EEPfi,"axG",@progbits,_ZL26flash_attn_combine_resultsILi96EEvPKfPK15HIP_vector_typeIfLj2EEPfi,comdat
	.globl	_ZL26flash_attn_combine_resultsILi96EEvPKfPK15HIP_vector_typeIfLj2EEPfi ; -- Begin function _ZL26flash_attn_combine_resultsILi96EEvPKfPK15HIP_vector_typeIfLj2EEPfi
	.p2align	8
	.type	_ZL26flash_attn_combine_resultsILi96EEvPKfPK15HIP_vector_typeIfLj2EEPfi,@function
_ZL26flash_attn_combine_resultsILi96EEvPKfPK15HIP_vector_typeIfLj2EEPfi: ; @_ZL26flash_attn_combine_resultsILi96EEvPKfPK15HIP_vector_typeIfLj2EEPfi
; %bb.0:
	s_load_dwordx2 s[6:7], s[0:1], 0x20
	s_load_dword s25, s[0:1], 0x18
	s_load_dwordx4 s[16:19], s[0:1], 0x0
	s_load_dwordx2 s[14:15], s[0:1], 0x10
	s_waitcnt lgkmcnt(0)
	s_mul_i32 s0, s6, s4
	s_add_i32 s0, s0, s2
	s_mul_i32 s24, s0, s7
	s_add_i32 s24, s24, s3
	s_lshl_b32 s12, s25, 1
	s_mul_i32 s2, s24, s25
	v_cmp_gt_i32_e32 vcc, s12, v0
	s_and_saveexec_b64 s[0:1], vcc
	s_cbranch_execz .LBB18_13
; %bb.1:
	v_xad_u32 v1, v0, -1, s12
	s_movk_i32 s4, 0x5f
	s_ashr_i32 s3, s2, 31
	v_cmp_lt_u32_e32 vcc, s4, v1
	s_mov_b64 s[6:7], -1
	v_mov_b32_e32 v2, v0
	s_and_saveexec_b64 s[4:5], vcc
	s_cbranch_execz .LBB18_10
; %bb.2:
	s_mov_b32 s6, 0xaaaaaaab
	v_mul_hi_u32 v1, v1, s6
	v_lshrrev_b32_e32 v6, 6, v1
	s_lshl_b64 s[6:7], s[2:3], 3
	v_add_u32_e32 v2, -1, v6
	s_add_u32 s6, s18, s6
	v_add_u32_e32 v1, 0x60, v0
	v_lshrrev_b32_e32 v3, 1, v2
	s_addc_u32 s7, s19, s7
	v_add_u32_e32 v7, 1, v3
	v_cmp_lt_u32_e32 vcc, 13, v2
	v_mov_b32_e32 v4, 0
	v_mov_b64_e32 v[2:3], v[0:1]
	s_and_saveexec_b64 s[8:9], vcc
	s_cbranch_execz .LBB18_6
; %bb.3:
	v_and_b32_e32 v8, -8, v7
	s_mov_b32 s13, 0
	v_lshl_add_u32 v9, v0, 2, 0
	s_mov_b64 s[10:11], 0
	v_mov_b32_e32 v5, 0
	v_mov_b64_e32 v[2:3], v[0:1]
.LBB18_4:                               ; =>This Inner Loop Header: Depth=1
	v_mov_b32_e32 v4, v2
	v_lshl_add_u64 v[24:25], v[4:5], 2, s[6:7]
	v_mov_b32_e32 v4, v3
	v_add_u32_e32 v10, 0xc0, v3
	v_mov_b32_e32 v11, v5
	v_lshl_add_u64 v[26:27], v[4:5], 2, s[6:7]
	v_add_u32_e32 v4, 0xc0, v2
	v_lshl_add_u64 v[10:11], v[10:11], 2, s[6:7]
	global_load_dword v1, v[24:25], off
	v_lshl_add_u64 v[24:25], v[4:5], 2, s[6:7]
	v_add_u32_e32 v4, 0x180, v2
	global_load_dword v28, v[26:27], off
	global_load_dword v29, v[24:25], off
	;; [unrolled: 1-line block ×3, first 2 shown]
	v_lshl_add_u64 v[10:11], v[4:5], 2, s[6:7]
	v_add_u32_e32 v4, 0x240, v2
	v_add_u32_e32 v12, 0x180, v3
	v_mov_b32_e32 v13, v5
	v_add_u32_e32 v14, 0x240, v3
	v_mov_b32_e32 v15, v5
	v_lshl_add_u64 v[24:25], v[4:5], 2, s[6:7]
	v_add_u32_e32 v4, 0x300, v2
	v_lshl_add_u64 v[12:13], v[12:13], 2, s[6:7]
	v_lshl_add_u64 v[14:15], v[14:15], 2, s[6:7]
	global_load_dword v26, v[10:11], off
	global_load_dword v27, v[12:13], off
	;; [unrolled: 1-line block ×4, first 2 shown]
	v_lshl_add_u64 v[10:11], v[4:5], 2, s[6:7]
	v_add_u32_e32 v4, 0x3c0, v2
	v_add_u32_e32 v16, 0x300, v3
	v_mov_b32_e32 v17, v5
	v_add_u32_e32 v18, 0x3c0, v3
	v_mov_b32_e32 v19, v5
	v_lshl_add_u64 v[12:13], v[4:5], 2, s[6:7]
	v_add_u32_e32 v4, 0x480, v2
	v_add_u32_e32 v20, 0x480, v3
	v_mov_b32_e32 v21, v5
	v_add_u32_e32 v22, 0x540, v3
	v_mov_b32_e32 v23, v5
	v_lshl_add_u64 v[16:17], v[16:17], 2, s[6:7]
	v_lshl_add_u64 v[18:19], v[18:19], 2, s[6:7]
	global_load_dword v14, v[10:11], off
	global_load_dword v15, v[16:17], off
	;; [unrolled: 1-line block ×4, first 2 shown]
	v_lshl_add_u64 v[10:11], v[4:5], 2, s[6:7]
	v_add_u32_e32 v4, 0x540, v2
	v_lshl_add_u64 v[20:21], v[20:21], 2, s[6:7]
	v_lshl_add_u64 v[22:23], v[22:23], 2, s[6:7]
	;; [unrolled: 1-line block ×3, first 2 shown]
	global_load_dword v16, v[10:11], off
	global_load_dword v17, v[20:21], off
	;; [unrolled: 1-line block ×4, first 2 shown]
	v_add_u32_e32 v8, -8, v8
	s_add_i32 s13, s13, 16
	v_cmp_eq_u32_e32 vcc, 0, v8
	v_add_u32_e32 v10, 0x200, v9
	v_add_u32_e32 v11, 0x400, v9
	v_add_u32_e32 v12, 0x800, v9
	v_add_u32_e32 v13, 0xc00, v9
	v_add_u32_e32 v20, 0xe00, v9
	v_add_u32_e32 v21, 0x1000, v9
	v_add_u32_e32 v22, 0x1400, v9
	v_add_u32_e32 v3, 0x600, v3
	v_mov_b32_e32 v4, s13
	s_or_b64 s[10:11], vcc, s[10:11]
	v_add_u32_e32 v2, 0x600, v2
	s_waitcnt vmcnt(14)
	ds_write2_b32 v9, v1, v28 offset1:96
	v_add_u32_e32 v9, 0x1800, v9
	s_waitcnt vmcnt(12)
	ds_write2_b32 v10, v29, v30 offset0:64 offset1:160
	s_waitcnt vmcnt(10)
	ds_write2_b32 v11, v26, v27 offset0:128 offset1:224
	;; [unrolled: 2-line block ×3, first 2 shown]
	s_waitcnt vmcnt(6)
	ds_write2_b32 v13, v14, v15 offset1:96
	s_waitcnt vmcnt(4)
	ds_write2_b32 v20, v24, v25 offset0:64 offset1:160
	s_waitcnt vmcnt(2)
	ds_write2_b32 v21, v16, v17 offset0:128 offset1:224
	;; [unrolled: 2-line block ×3, first 2 shown]
	s_andn2_b64 exec, exec, s[10:11]
	s_cbranch_execnz .LBB18_4
; %bb.5:
	s_or_b64 exec, exec, s[10:11]
.LBB18_6:
	s_or_b64 exec, exec, s[8:9]
	v_and_b32_e32 v1, 7, v7
	v_cmp_ne_u32_e32 vcc, 0, v1
	s_and_saveexec_b64 s[8:9], vcc
	s_cbranch_execz .LBB18_9
; %bb.7:
	s_movk_i32 s10, 0x180
	v_mul_lo_u32 v4, v4, s10
	v_lshlrev_b32_e32 v5, 2, v0
	v_add3_u32 v7, v4, v5, 0
	s_mov_b64 s[10:11], 0
	v_mov_b32_e32 v5, 0
.LBB18_8:                               ; =>This Inner Loop Header: Depth=1
	v_mov_b32_e32 v4, v2
	v_lshl_add_u64 v[8:9], v[4:5], 2, s[6:7]
	v_mov_b32_e32 v4, v3
	v_lshl_add_u64 v[10:11], v[4:5], 2, s[6:7]
	global_load_dword v4, v[8:9], off
	global_load_dword v12, v[10:11], off
	v_add_u32_e32 v1, -1, v1
	v_cmp_eq_u32_e32 vcc, 0, v1
	v_add_u32_e32 v2, 0xc0, v2
	v_add_u32_e32 v3, 0xc0, v3
	s_or_b64 s[10:11], vcc, s[10:11]
	s_waitcnt vmcnt(0)
	ds_write2_b32 v7, v4, v12 offset1:96
	v_add_u32_e32 v7, 0x300, v7
	s_andn2_b64 exec, exec, s[10:11]
	s_cbranch_execnz .LBB18_8
.LBB18_9:
	s_or_b64 exec, exec, s[8:9]
	v_add_u32_e32 v1, 1, v6
	v_and_b32_e32 v4, 0x7fffffe, v1
	s_movk_i32 s6, 0x60
	v_mad_u64_u32 v[2:3], s[6:7], v4, s6, v[0:1]
	v_cmp_ne_u32_e32 vcc, v1, v4
	s_orn2_b64 s[6:7], vcc, exec
.LBB18_10:
	s_or_b64 exec, exec, s[4:5]
	s_and_b64 exec, exec, s[6:7]
	s_cbranch_execz .LBB18_13
; %bb.11:
	s_lshl_b64 s[4:5], s[2:3], 3
	s_add_u32 s4, s18, s4
	v_mov_b32_e32 v3, 0
	s_addc_u32 s5, s19, s5
	v_lshl_add_u64 v[4:5], v[2:3], 2, s[4:5]
	v_lshl_add_u32 v1, v2, 2, 0
	s_mov_b64 s[4:5], 0
	s_mov_b64 s[6:7], 0x180
.LBB18_12:                              ; =>This Inner Loop Header: Depth=1
	global_load_dword v3, v[4:5], off
	v_add_u32_e32 v2, 0x60, v2
	v_cmp_le_i32_e32 vcc, s12, v2
	v_lshl_add_u64 v[4:5], v[4:5], 0, s[6:7]
	s_or_b64 s[4:5], vcc, s[4:5]
	s_waitcnt vmcnt(0)
	ds_write_b32 v1, v3
	v_add_u32_e32 v1, 0x180, v1
	s_andn2_b64 exec, exec, s[4:5]
	s_cbranch_execnz .LBB18_12
.LBB18_13:
	s_or_b64 exec, exec, s[0:1]
	v_mov_b32_e32 v1, 0
	s_waitcnt lgkmcnt(0)
	s_barrier
	ds_read_b32 v1, v1
	s_cmp_lt_i32 s25, 2
	s_cbranch_scc1 .LBB18_21
; %bb.14:
	s_cmp_eq_u32 s25, 2
	s_cbranch_scc1 .LBB18_18
; %bb.15:
	s_add_i32 s3, s25, -1
	s_and_b32 s4, s3, -2
	s_add_i32 s6, 0, 8
	s_mov_b32 s5, 2
	s_waitcnt lgkmcnt(0)
	v_mov_b32_e32 v4, v1
.LBB18_16:                              ; =>This Inner Loop Header: Depth=1
	v_mov_b32_e32 v2, v1
	v_mov_b32_e32 v1, s6
	;; [unrolled: 1-line block ×3, first 2 shown]
	ds_read2_b32 v[4:5], v1 offset1:2
	s_cmp_lg_u32 s4, s5
	s_cselect_b64 s[8:9], -1, 0
	v_max_f32_e32 v1, v3, v3
	v_max_f32_e32 v6, v2, v2
	s_waitcnt lgkmcnt(0)
	v_cmp_u_f32_e32 vcc, v5, v5
	v_max_f32_e32 v7, v5, v5
	v_max_f32_e32 v8, v4, v4
	v_cndmask_b32_e64 v5, 0, 1, vcc
	v_cmp_u_f32_e32 vcc, v4, v4
	v_readfirstlane_b32 s0, v5
	s_lshl_b32 s0, s0, 1
	v_cndmask_b32_e64 v9, 0, 1, vcc
	v_max_f32_e32 v4, v1, v7
	v_readfirstlane_b32 s1, v9
	s_or_b32 s0, s1, s0
	s_and_b32 s7, s0, 3
	s_cmp_lg_u32 s7, 0
	s_cselect_b64 s[0:1], -1, 0
	s_cmp_eq_u32 s7, 0
	s_cselect_b64 s[10:11], -1, 0
	s_and_b64 s[8:9], s[10:11], s[8:9]
	v_max_f32_e32 v1, v6, v8
	s_add_i32 s5, s5, 2
	s_add_i32 s6, s6, 16
	s_and_b64 vcc, exec, s[8:9]
	s_cbranch_vccnz .LBB18_16
; %bb.17:
	s_add_i32 s5, s5, -4
	s_and_b64 s[6:7], s[0:1], exec
	s_cselect_b32 s5, s5, s3
	s_or_b32 s5, s5, 1
	v_cndmask_b32_e64 v1, v1, v2, s[0:1]
	v_cndmask_b32_e64 v2, v4, v3, s[0:1]
	s_cmp_lg_u32 s3, s4
	v_max_f32_e32 v2, v2, v2
	v_max_f32_e32 v1, v1, v1
	s_cselect_b64 s[6:7], -1, 0
	v_max_f32_e32 v1, v1, v2
	s_or_b64 s[0:1], s[6:7], s[0:1]
	s_and_b64 vcc, exec, s[0:1]
	s_cbranch_vccnz .LBB18_19
	s_branch .LBB18_21
.LBB18_18:
	s_mov_b32 s5, 1
	s_cbranch_execz .LBB18_21
.LBB18_19:
	s_lshl_b32 s1, s5, 3
	s_sub_i32 s0, s25, s5
	s_add_i32 s1, s1, 0
.LBB18_20:                              ; =>This Inner Loop Header: Depth=1
	v_mov_b32_e32 v2, s1
	ds_read_b32 v2, v2
	s_waitcnt lgkmcnt(1)
	v_max_f32_e32 v1, v1, v1
	s_add_i32 s0, s0, -1
	s_add_i32 s1, s1, 8
	s_cmp_eq_u32 s0, 0
	s_waitcnt lgkmcnt(0)
	v_max_f32_e32 v2, v2, v2
	v_max_f32_e32 v1, v1, v2
	s_cbranch_scc0 .LBB18_20
.LBB18_21:
	s_cmp_lt_i32 s25, 1
	s_cbranch_scc1 .LBB18_26
; %bb.22:
	s_mul_i32 s18, s2, 0x60
	s_ashr_i32 s19, s18, 31
	s_cmp_lt_u32 s25, 8
	s_cbranch_scc1 .LBB18_27
; %bb.23:
	s_lshl_b64 s[0:1], s[18:19], 2
	s_add_u32 s20, s16, s0
	s_addc_u32 s21, s17, s1
	v_lshlrev_b32_e32 v4, 2, v0
	v_mov_b32_e32 v5, 0
	v_lshl_add_u64 v[2:3], s[20:21], 0, v[4:5]
	s_mov_b64 s[0:1], 0x180
	s_and_b32 s26, s25, 0x7ffffff8
	v_lshl_add_u64 v[6:7], v[2:3], 0, s[0:1]
	v_add_u32_e32 v8, 0x2a0, v0
	s_mov_b32 s27, 0
	s_mov_b32 s28, 0x3fb8aa3b
	;; [unrolled: 1-line block ×4, first 2 shown]
	v_mov_b32_e32 v12, 0x7f800000
	s_mov_b64 s[22:23], 0xc00
	s_mov_b32 s31, 0
	v_mov_b32_e32 v2, v5
	v_mov_b32_e32 v3, v5
.LBB18_24:                              ; =>This Inner Loop Header: Depth=1
	v_add_u32_e32 v4, 0xfffffd60, v8
	v_mov_b32_e32 v10, s27
	v_lshl_add_u64 v[30:31], v[4:5], 2, s[20:21]
	v_add_u32_e32 v4, 0xfffffe20, v8
	global_load_dword v11, v[6:7], off
	ds_read2_b64 v[14:17], v10 offset1:1
	ds_read2_b64 v[18:21], v10 offset0:2 offset1:3
	ds_read2_b64 v[22:25], v10 offset0:4 offset1:5
	ds_read2_b64 v[26:29], v10 offset0:6 offset1:7
	v_lshl_add_u64 v[34:35], v[4:5], 2, s[20:21]
	v_add_u32_e32 v4, 0xfffffe80, v8
	global_load_dword v37, v[30:31], off
	global_load_dword v39, v[34:35], off
	v_lshl_add_u64 v[30:31], v[4:5], 2, s[20:21]
	v_add_u32_e32 v4, 0xfffffee0, v8
	v_lshl_add_u64 v[34:35], v[4:5], 2, s[20:21]
	v_add_u32_e32 v4, 0xffffff40, v8
	global_load_dword v41, v[30:31], off
	global_load_dword v43, v[34:35], off
	v_lshl_add_u64 v[30:31], v[4:5], 2, s[20:21]
	v_add_u32_e32 v4, 0xffffffa0, v8
	s_waitcnt lgkmcnt(3)
	v_mov_b32_e32 v36, v15
	global_load_dword v15, v[30:31], off
	v_mov_b32_e32 v9, v5
	v_sub_f32_e32 v13, v16, v1
	v_mov_b32_e32 v10, v17
	v_lshl_add_u64 v[16:17], v[4:5], 2, s[20:21]
	v_lshl_add_u64 v[32:33], v[8:9], 2, s[20:21]
	s_waitcnt lgkmcnt(2)
	v_mov_b32_e32 v38, v19
	v_mov_b32_e32 v40, v21
	global_load_dword v19, v[16:17], off
	global_load_dword v21, v[32:33], off
	v_sub_f32_e32 v9, v14, v1
	v_sub_f32_e32 v34, v18, v1
	;; [unrolled: 1-line block ×3, first 2 shown]
	s_waitcnt lgkmcnt(1)
	v_sub_f32_e32 v22, v22, v1
	v_mov_b32_e32 v42, v23
	v_sub_f32_e32 v23, v24, v1
	v_mov_b32_e32 v14, v25
	s_waitcnt lgkmcnt(0)
	v_sub_f32_e32 v24, v26, v1
	v_sub_f32_e32 v4, v28, v1
	v_mul_f32_e32 v25, 0x3fb8aa3b, v9
	v_mov_b32_e32 v18, v27
	v_mov_b32_e32 v20, v29
	v_mul_f32_e32 v26, 0x3fb8aa3b, v13
	v_mul_f32_e32 v27, 0x3fb8aa3b, v34
	;; [unrolled: 1-line block ×7, first 2 shown]
	v_fma_f32 v16, v9, s28, -v25
	v_rndne_f32_e32 v17, v25
	v_fma_f32 v32, v13, s28, -v26
	v_rndne_f32_e32 v33, v26
	;; [unrolled: 2-line block ×8, first 2 shown]
	v_fmac_f32_e32 v16, 0x32a5705f, v9
	v_sub_f32_e32 v25, v25, v17
	v_fmac_f32_e32 v32, 0x32a5705f, v13
	v_sub_f32_e32 v26, v26, v33
	;; [unrolled: 2-line block ×8, first 2 shown]
	v_add_f32_e32 v16, v25, v16
	v_cvt_i32_f32_e32 v17, v17
	v_add_f32_e32 v25, v26, v32
	v_add_f32_e32 v26, v27, v45
	;; [unrolled: 1-line block ×7, first 2 shown]
	v_exp_f32_e32 v16, v16
	v_cvt_i32_f32_e32 v33, v33
	v_cvt_i32_f32_e32 v46, v46
	;; [unrolled: 1-line block ×7, first 2 shown]
	v_exp_f32_e32 v25, v25
	v_exp_f32_e32 v26, v26
	;; [unrolled: 1-line block ×7, first 2 shown]
	v_ldexp_f32 v16, v16, v17
	v_cmp_ngt_f32_e64 s[12:13], s29, v9
	v_ldexp_f32 v17, v25, v33
	v_cmp_ngt_f32_e32 vcc, s29, v13
	v_ldexp_f32 v25, v26, v46
	v_cmp_ngt_f32_e64 s[0:1], s29, v34
	v_ldexp_f32 v26, v27, v48
	v_cmp_ngt_f32_e64 s[2:3], s29, v35
	;; [unrolled: 2-line block ×6, first 2 shown]
	v_cndmask_b32_e64 v16, 0, v16, s[12:13]
	v_cmp_nlt_f32_e64 s[12:13], s30, v9
	v_cndmask_b32_e32 v17, 0, v17, vcc
	v_cmp_nlt_f32_e32 vcc, s30, v13
	v_cndmask_b32_e64 v13, 0, v25, s[0:1]
	v_cndmask_b32_e64 v25, 0, v26, s[2:3]
	;; [unrolled: 1-line block ×4, first 2 shown]
	v_cmp_nlt_f32_e64 s[6:7], s30, v23
	v_cndmask_b32_e64 v23, 0, v29, s[8:9]
	v_cndmask_b32_e64 v29, 0, v30, s[10:11]
	v_cmp_nlt_f32_e64 s[10:11], s30, v4
	v_cndmask_b32_e64 v4, v12, v16, s[12:13]
	v_cmp_nlt_f32_e64 s[0:1], s30, v34
	v_cndmask_b32_e32 v16, v12, v17, vcc
	s_waitcnt vmcnt(6)
	v_pk_fma_f32 v[2:3], v[4:5], v[36:37], v[2:3] op_sel_hi:[0,1,1]
	v_cmp_nlt_f32_e64 s[2:3], s30, v35
	v_cmp_nlt_f32_e64 s[4:5], s30, v22
	v_cndmask_b32_e64 v22, v12, v13, s[0:1]
	v_pk_fma_f32 v[2:3], v[16:17], v[10:11], v[2:3] op_sel_hi:[0,1,1]
	v_cmp_nlt_f32_e64 s[8:9], s30, v24
	v_cndmask_b32_e64 v24, v12, v25, s[2:3]
	s_waitcnt vmcnt(5)
	v_pk_fma_f32 v[2:3], v[22:23], v[38:39], v[2:3] op_sel_hi:[0,1,1]
	v_cndmask_b32_e64 v26, v12, v26, s[4:5]
	s_waitcnt vmcnt(4)
	v_pk_fma_f32 v[2:3], v[24:25], v[40:41], v[2:3] op_sel_hi:[0,1,1]
	;; [unrolled: 3-line block ×4, first 2 shown]
	s_add_i32 s31, s31, 8
	s_add_i32 s27, s27, 64
	v_cndmask_b32_e64 v32, v12, v29, s[10:11]
	s_waitcnt vmcnt(1)
	v_pk_fma_f32 v[2:3], v[30:31], v[18:19], v[2:3] op_sel_hi:[0,1,1]
	v_lshl_add_u64 v[6:7], v[6:7], 0, s[22:23]
	s_cmp_eq_u32 s26, s31
	v_add_u32_e32 v8, 0x300, v8
	s_waitcnt vmcnt(0)
	v_pk_fma_f32 v[2:3], v[32:33], v[20:21], v[2:3] op_sel_hi:[0,1,1]
	s_cbranch_scc0 .LBB18_24
; %bb.25:
	s_and_b32 s2, s25, 7
	s_cmp_eq_u32 s2, 0
	s_cbranch_scc0 .LBB18_28
	s_branch .LBB18_30
.LBB18_26:
	s_waitcnt lgkmcnt(0)
	v_mov_b32_e32 v1, 0x7fc00000
	s_branch .LBB18_31
.LBB18_27:
	v_mov_b32_e32 v2, 0
	s_mov_b32 s26, 0
	v_mov_b32_e32 v3, v2
	s_and_b32 s2, s25, 7
	s_cmp_eq_u32 s2, 0
	s_cbranch_scc1 .LBB18_30
.LBB18_28:
	s_lshl_b64 s[0:1], s[18:19], 2
	s_mul_i32 s3, s26, 0x60
	s_add_u32 s0, s16, s0
	v_add_u32_e32 v4, s3, v0
	v_mov_b32_e32 v5, 0
	s_addc_u32 s1, s17, s1
	v_lshl_add_u64 v[4:5], v[4:5], 2, s[0:1]
	s_lshl_b32 s0, s26, 3
	s_add_i32 s3, s0, 0
	s_mov_b32 s4, 0x3fb8aa3b
	s_mov_b32 s5, 0xc2ce8ed0
	;; [unrolled: 1-line block ×3, first 2 shown]
	v_mov_b32_e32 v6, 0x7f800000
	s_mov_b64 s[0:1], 0x180
.LBB18_29:                              ; =>This Inner Loop Header: Depth=1
	global_load_dword v9, v[4:5], off
	v_mov_b32_e32 v7, s3
	ds_read_b64 v[10:11], v7
	s_add_i32 s3, s3, 8
	s_add_i32 s2, s2, -1
	v_lshl_add_u64 v[4:5], v[4:5], 0, s[0:1]
	s_cmp_lg_u32 s2, 0
	s_waitcnt lgkmcnt(0)
	v_sub_f32_e32 v7, v10, v1
	v_mul_f32_e32 v8, 0x3fb8aa3b, v7
	v_fma_f32 v10, v7, s4, -v8
	v_rndne_f32_e32 v12, v8
	v_fmac_f32_e32 v10, 0x32a5705f, v7
	v_sub_f32_e32 v8, v8, v12
	v_add_f32_e32 v8, v8, v10
	v_cvt_i32_f32_e32 v12, v12
	v_exp_f32_e32 v10, v8
	v_cmp_ngt_f32_e32 vcc, s5, v7
	v_mov_b32_e32 v8, v11
	v_ldexp_f32 v10, v10, v12
	v_cndmask_b32_e32 v10, 0, v10, vcc
	v_cmp_nlt_f32_e32 vcc, s6, v7
	s_nop 1
	v_cndmask_b32_e32 v10, v6, v10, vcc
	s_waitcnt vmcnt(0)
	v_pk_fma_f32 v[2:3], v[10:11], v[8:9], v[2:3] op_sel_hi:[0,1,1]
	s_cbranch_scc1 .LBB18_29
.LBB18_30:
	s_waitcnt lgkmcnt(0)
	v_div_scale_f32 v1, s[0:1], v2, v2, v3
	v_rcp_f32_e32 v4, v1
	v_div_scale_f32 v5, vcc, v3, v2, v3
	v_fma_f32 v6, -v1, v4, 1.0
	v_fmac_f32_e32 v4, v6, v4
	v_mul_f32_e32 v6, v5, v4
	v_fma_f32 v7, -v1, v6, v5
	v_fmac_f32_e32 v6, v7, v4
	v_fma_f32 v1, -v1, v6, v5
	v_div_fmas_f32 v1, v1, v4, v6
	v_div_fixup_f32 v1, v1, v2, v3
.LBB18_31:
	s_mul_i32 s0, s24, 0x60
	s_ashr_i32 s1, s0, 31
	s_lshl_b64 s[0:1], s[0:1], 2
	s_add_u32 s0, s14, s0
	s_addc_u32 s1, s15, s1
	v_lshlrev_b32_e32 v0, 2, v0
	global_store_dword v0, v1, s[0:1]
	s_endpgm
	.section	.rodata,"a",@progbits
	.p2align	6, 0x0
	.amdhsa_kernel _ZL26flash_attn_combine_resultsILi96EEvPKfPK15HIP_vector_typeIfLj2EEPfi
		.amdhsa_group_segment_fixed_size 0
		.amdhsa_private_segment_fixed_size 0
		.amdhsa_kernarg_size 288
		.amdhsa_user_sgpr_count 2
		.amdhsa_user_sgpr_dispatch_ptr 0
		.amdhsa_user_sgpr_queue_ptr 0
		.amdhsa_user_sgpr_kernarg_segment_ptr 1
		.amdhsa_user_sgpr_dispatch_id 0
		.amdhsa_user_sgpr_kernarg_preload_length 0
		.amdhsa_user_sgpr_kernarg_preload_offset 0
		.amdhsa_user_sgpr_private_segment_size 0
		.amdhsa_uses_dynamic_stack 0
		.amdhsa_enable_private_segment 0
		.amdhsa_system_sgpr_workgroup_id_x 1
		.amdhsa_system_sgpr_workgroup_id_y 1
		.amdhsa_system_sgpr_workgroup_id_z 1
		.amdhsa_system_sgpr_workgroup_info 0
		.amdhsa_system_vgpr_workitem_id 0
		.amdhsa_next_free_vgpr 57
		.amdhsa_next_free_sgpr 32
		.amdhsa_accum_offset 60
		.amdhsa_reserve_vcc 1
		.amdhsa_float_round_mode_32 0
		.amdhsa_float_round_mode_16_64 0
		.amdhsa_float_denorm_mode_32 3
		.amdhsa_float_denorm_mode_16_64 3
		.amdhsa_dx10_clamp 1
		.amdhsa_ieee_mode 1
		.amdhsa_fp16_overflow 0
		.amdhsa_tg_split 0
		.amdhsa_exception_fp_ieee_invalid_op 0
		.amdhsa_exception_fp_denorm_src 0
		.amdhsa_exception_fp_ieee_div_zero 0
		.amdhsa_exception_fp_ieee_overflow 0
		.amdhsa_exception_fp_ieee_underflow 0
		.amdhsa_exception_fp_ieee_inexact 0
		.amdhsa_exception_int_div_zero 0
	.end_amdhsa_kernel
	.section	.text._ZL26flash_attn_combine_resultsILi96EEvPKfPK15HIP_vector_typeIfLj2EEPfi,"axG",@progbits,_ZL26flash_attn_combine_resultsILi96EEvPKfPK15HIP_vector_typeIfLj2EEPfi,comdat
.Lfunc_end18:
	.size	_ZL26flash_attn_combine_resultsILi96EEvPKfPK15HIP_vector_typeIfLj2EEPfi, .Lfunc_end18-_ZL26flash_attn_combine_resultsILi96EEvPKfPK15HIP_vector_typeIfLj2EEPfi
                                        ; -- End function
	.set _ZL26flash_attn_combine_resultsILi96EEvPKfPK15HIP_vector_typeIfLj2EEPfi.num_vgpr, 57
	.set _ZL26flash_attn_combine_resultsILi96EEvPKfPK15HIP_vector_typeIfLj2EEPfi.num_agpr, 0
	.set _ZL26flash_attn_combine_resultsILi96EEvPKfPK15HIP_vector_typeIfLj2EEPfi.numbered_sgpr, 32
	.set _ZL26flash_attn_combine_resultsILi96EEvPKfPK15HIP_vector_typeIfLj2EEPfi.num_named_barrier, 0
	.set _ZL26flash_attn_combine_resultsILi96EEvPKfPK15HIP_vector_typeIfLj2EEPfi.private_seg_size, 0
	.set _ZL26flash_attn_combine_resultsILi96EEvPKfPK15HIP_vector_typeIfLj2EEPfi.uses_vcc, 1
	.set _ZL26flash_attn_combine_resultsILi96EEvPKfPK15HIP_vector_typeIfLj2EEPfi.uses_flat_scratch, 0
	.set _ZL26flash_attn_combine_resultsILi96EEvPKfPK15HIP_vector_typeIfLj2EEPfi.has_dyn_sized_stack, 0
	.set _ZL26flash_attn_combine_resultsILi96EEvPKfPK15HIP_vector_typeIfLj2EEPfi.has_recursion, 0
	.set _ZL26flash_attn_combine_resultsILi96EEvPKfPK15HIP_vector_typeIfLj2EEPfi.has_indirect_call, 0
	.section	.AMDGPU.csdata,"",@progbits
; Kernel info:
; codeLenInByte = 3064
; TotalNumSgprs: 38
; NumVgprs: 57
; NumAgprs: 0
; TotalNumVgprs: 57
; ScratchSize: 0
; MemoryBound: 0
; FloatMode: 240
; IeeeMode: 1
; LDSByteSize: 0 bytes/workgroup (compile time only)
; SGPRBlocks: 4
; VGPRBlocks: 7
; NumSGPRsForWavesPerEU: 38
; NumVGPRsForWavesPerEU: 57
; AccumOffset: 60
; Occupancy: 8
; WaveLimiterHint : 0
; COMPUTE_PGM_RSRC2:SCRATCH_EN: 0
; COMPUTE_PGM_RSRC2:USER_SGPR: 2
; COMPUTE_PGM_RSRC2:TRAP_HANDLER: 0
; COMPUTE_PGM_RSRC2:TGID_X_EN: 1
; COMPUTE_PGM_RSRC2:TGID_Y_EN: 1
; COMPUTE_PGM_RSRC2:TGID_Z_EN: 1
; COMPUTE_PGM_RSRC2:TIDIG_COMP_CNT: 0
; COMPUTE_PGM_RSRC3_GFX90A:ACCUM_OFFSET: 14
; COMPUTE_PGM_RSRC3_GFX90A:TG_SPLIT: 0
	.section	.text._ZL18flash_attn_ext_f16ILi112ELi112ELi8ELi4ELb0ELb0EEvPKcS1_S1_S1_S1_PKiPfP15HIP_vector_typeIfLj2EEffffjfiS5_IjLj3EEiiiiiiiiiiiliiliiiiil,"axG",@progbits,_ZL18flash_attn_ext_f16ILi112ELi112ELi8ELi4ELb0ELb0EEvPKcS1_S1_S1_S1_PKiPfP15HIP_vector_typeIfLj2EEffffjfiS5_IjLj3EEiiiiiiiiiiiliiliiiiil,comdat
	.globl	_ZL18flash_attn_ext_f16ILi112ELi112ELi8ELi4ELb0ELb0EEvPKcS1_S1_S1_S1_PKiPfP15HIP_vector_typeIfLj2EEffffjfiS5_IjLj3EEiiiiiiiiiiiliiliiiiil ; -- Begin function _ZL18flash_attn_ext_f16ILi112ELi112ELi8ELi4ELb0ELb0EEvPKcS1_S1_S1_S1_PKiPfP15HIP_vector_typeIfLj2EEffffjfiS5_IjLj3EEiiiiiiiiiiiliiliiiiil
	.p2align	8
	.type	_ZL18flash_attn_ext_f16ILi112ELi112ELi8ELi4ELb0ELb0EEvPKcS1_S1_S1_S1_PKiPfP15HIP_vector_typeIfLj2EEffffjfiS5_IjLj3EEiiiiiiiiiiiliiliiiiil,@function
_ZL18flash_attn_ext_f16ILi112ELi112ELi8ELi4ELb0ELb0EEvPKcS1_S1_S1_S1_PKiPfP15HIP_vector_typeIfLj2EEffffjfiS5_IjLj3EEiiiiiiiiiiiliiliiiiil: ; @_ZL18flash_attn_ext_f16ILi112ELi112ELi8ELi4ELb0ELb0EEvPKcS1_S1_S1_S1_PKiPfP15HIP_vector_typeIfLj2EEffffjfiS5_IjLj3EEiiiiiiiiiiiliiliiiiil
; %bb.0:
	s_load_dwordx2 s[4:5], s[0:1], 0x80
	s_load_dwordx4 s[20:23], s[0:1], 0x64
	s_mov_b32 s28, s2
                                        ; implicit-def: $vgpr201 : SGPR spill to VGPR lane
	s_load_dword s29, s[0:1], 0xd0
	s_mov_b32 s6, 0
	s_waitcnt lgkmcnt(0)
	s_abs_i32 s2, s5
	v_cvt_f32_u32_e32 v1, s2
	s_sub_i32 s8, 0, s2
	s_abs_i32 s7, s21
	s_xor_b32 s3, s21, s5
	v_rcp_iflag_f32_e32 v1, v1
	s_ashr_i32 s3, s3, 31
	v_mul_f32_e32 v1, 0x4f7ffffe, v1
	v_cvt_u32_f32_e32 v1, v1
	s_nop 0
	v_readfirstlane_b32 s9, v1
	s_mul_i32 s8, s8, s9
	s_mul_hi_u32 s8, s9, s8
	s_add_i32 s9, s9, s8
	s_mul_hi_u32 s8, s7, s9
	s_mul_i32 s9, s8, s2
	s_sub_i32 s7, s7, s9
	s_add_i32 s10, s8, 1
	s_sub_i32 s9, s7, s2
	s_cmp_ge_u32 s7, s2
	s_cselect_b32 s8, s10, s8
	s_cselect_b32 s7, s9, s7
	s_add_i32 s9, s8, 1
	s_cmp_ge_u32 s7, s2
	s_cselect_b32 s2, s9, s8
	s_add_i32 s4, s4, 63
	s_xor_b32 s2, s2, s3
	s_ashr_i32 s7, s4, 31
	s_sub_i32 s3, s2, s3
	s_lshr_b32 s2, s7, 26
	s_add_i32 s4, s4, s2
	s_add_i32 s2, s20, 7
	s_lshr_b32 s7, s2, 3
	s_add_i32 s2, s3, 3
	s_ashr_i32 s67, s4, 6
	s_ashr_i32 s4, s2, 31
	s_lshr_b32 s4, s4, 30
	s_add_i32 s2, s2, s4
	s_ashr_i32 s2, s2, 2
	v_writelane_b32 v201, s7, 0
	s_mul_i32 s4, s7, s67
	v_writelane_b32 v201, s4, 1
	s_mul_i32 s2, s4, s2
	v_writelane_b32 v201, s2, 2
	s_mul_i32 s2, s2, s5
	v_writelane_b32 v201, s2, 3
	s_mul_i32 s2, s2, s22
	s_ashr_i32 s10, s2, 31
	s_mul_i32 s4, s10, s28
	s_mul_hi_u32 s5, s2, s28
	s_add_i32 s7, s5, s4
	s_cmp_lg_u64 s[6:7], 0
	s_mul_i32 s6, s2, s28
	s_cbranch_scc0 .LBB19_2
; %bb.1:
	s_add_u32 s4, s29, 0
	s_addc_u32 s5, 0, 0
	s_xor_b64 s[8:9], s[4:5], 0
	v_cvt_f32_u32_e32 v1, s8
	v_cvt_f32_u32_e32 v2, s9
	s_sub_u32 s11, 0, s8
	s_subb_u32 s14, 0, s9
	s_mov_b64 s[4:5], 0
	v_fmamk_f32 v1, v2, 0x4f800000, v1
	v_rcp_f32_e32 v1, v1
	s_nop 0
	v_mul_f32_e32 v1, 0x5f7ffffc, v1
	v_mul_f32_e32 v2, 0x2f800000, v1
	v_trunc_f32_e32 v2, v2
	v_fmamk_f32 v1, v2, 0xcf800000, v1
	v_cvt_u32_f32_e32 v2, v2
	v_cvt_u32_f32_e32 v1, v1
	v_readfirstlane_b32 s15, v2
	v_readfirstlane_b32 s12, v1
	s_mul_i32 s13, s11, s15
	s_mul_hi_u32 s17, s11, s12
	s_mul_i32 s16, s14, s12
	s_add_i32 s13, s17, s13
	s_add_i32 s13, s13, s16
	s_mul_i32 s18, s11, s12
	s_mul_i32 s17, s12, s13
	s_mul_hi_u32 s19, s12, s18
	s_mul_hi_u32 s16, s12, s13
	s_add_u32 s17, s19, s17
	s_addc_u32 s16, 0, s16
	s_mul_hi_u32 s22, s15, s18
	s_mul_i32 s18, s15, s18
	s_add_u32 s17, s17, s18
	s_mul_hi_u32 s19, s15, s13
	s_addc_u32 s16, s16, s22
	s_addc_u32 s17, s19, 0
	s_mul_i32 s13, s15, s13
	s_add_u32 s13, s16, s13
	s_addc_u32 s16, 0, s17
	s_add_u32 s17, s12, s13
	s_cselect_b64 s[12:13], -1, 0
	s_cmp_lg_u64 s[12:13], 0
	s_addc_u32 s15, s15, s16
	s_mul_i32 s12, s11, s15
	s_mul_hi_u32 s13, s11, s17
	s_add_i32 s12, s13, s12
	s_mul_i32 s14, s14, s17
	s_add_i32 s12, s12, s14
	s_mul_i32 s11, s11, s17
	s_mul_hi_u32 s14, s15, s11
	s_mul_i32 s16, s15, s11
	s_mul_i32 s19, s17, s12
	s_mul_hi_u32 s11, s17, s11
	s_mul_hi_u32 s18, s17, s12
	s_add_u32 s11, s11, s19
	s_addc_u32 s18, 0, s18
	s_add_u32 s11, s11, s16
	s_mul_hi_u32 s13, s15, s12
	s_addc_u32 s11, s18, s14
	s_addc_u32 s13, s13, 0
	s_mul_i32 s12, s15, s12
	s_add_u32 s11, s11, s12
	s_addc_u32 s14, 0, s13
	s_add_u32 s11, s17, s11
	s_cselect_b64 s[12:13], -1, 0
	s_cmp_lg_u64 s[12:13], 0
	s_addc_u32 s16, s15, s14
	s_ashr_i32 s12, s7, 31
	s_add_u32 s14, s6, s12
	s_mov_b32 s13, s12
	s_addc_u32 s15, s7, s12
	s_xor_b64 s[14:15], s[14:15], s[12:13]
	s_mul_i32 s17, s14, s16
	s_mul_hi_u32 s18, s14, s11
	s_mul_hi_u32 s7, s14, s16
	s_add_u32 s17, s18, s17
	s_addc_u32 s7, 0, s7
	s_mul_hi_u32 s19, s15, s11
	s_mul_i32 s11, s15, s11
	s_add_u32 s11, s17, s11
	s_mul_hi_u32 s18, s15, s16
	s_addc_u32 s7, s7, s19
	s_addc_u32 s11, s18, 0
	s_mul_i32 s16, s15, s16
	s_add_u32 s7, s7, s16
	s_addc_u32 s11, 0, s11
	s_mul_i32 s16, s8, s11
	s_mul_hi_u32 s17, s8, s7
	s_add_i32 s16, s17, s16
	s_mul_i32 s17, s9, s7
	s_add_i32 s22, s16, s17
	s_sub_i32 s18, s15, s22
	s_mul_i32 s16, s8, s7
	s_sub_u32 s14, s14, s16
	s_cselect_b64 s[16:17], -1, 0
	s_cmp_lg_u64 s[16:17], 0
	s_subb_u32 s24, s18, s9
	s_sub_u32 s25, s14, s8
	s_cselect_b64 s[18:19], -1, 0
	s_cmp_lg_u64 s[18:19], 0
	s_subb_u32 s18, s24, 0
	s_cmp_ge_u32 s18, s9
	s_cselect_b32 s19, -1, 0
	s_cmp_ge_u32 s25, s8
	s_cselect_b32 s24, -1, 0
	s_cmp_eq_u32 s18, s9
	s_cselect_b32 s18, s24, s19
	s_add_u32 s19, s7, 1
	s_addc_u32 s24, s11, 0
	s_add_u32 s25, s7, 2
	s_addc_u32 s26, s11, 0
	s_cmp_lg_u32 s18, 0
	s_cselect_b32 s18, s25, s19
	s_cselect_b32 s19, s26, s24
	s_cmp_lg_u64 s[16:17], 0
	s_subb_u32 s15, s15, s22
	s_cmp_ge_u32 s15, s9
	s_cselect_b32 s16, -1, 0
	s_cmp_ge_u32 s14, s8
	s_cselect_b32 s8, -1, 0
	s_cmp_eq_u32 s15, s9
	s_cselect_b32 s8, s8, s16
	s_cmp_lg_u32 s8, 0
	s_cselect_b32 s9, s19, s11
	s_cselect_b32 s8, s18, s7
	s_xor_b64 s[12:13], s[12:13], 0
	s_xor_b64 s[8:9], s[8:9], s[12:13]
	s_sub_u32 s58, s8, s12
	s_branch .LBB19_3
.LBB19_2:
	s_mov_b64 s[4:5], -1
                                        ; implicit-def: $sgpr58_sgpr59
.LBB19_3:
	s_load_dwordx2 s[8:9], s[0:1], 0x74
	v_cvt_f32_u32_e32 v1, s29
	s_andn2_b64 vcc, exec, s[4:5]
	s_waitcnt lgkmcnt(0)
	v_writelane_b32 v201, s8, 4
	s_nop 1
	v_writelane_b32 v201, s9, 5
	s_cbranch_vccnz .LBB19_5
; %bb.4:
	v_rcp_iflag_f32_e32 v2, v1
	s_sub_i32 s4, 0, s29
	v_mul_f32_e32 v2, 0x4f7ffffe, v2
	v_cvt_u32_f32_e32 v2, v2
	s_nop 0
	v_readfirstlane_b32 s5, v2
	s_mul_i32 s4, s4, s5
	s_mul_hi_u32 s4, s5, s4
	s_add_i32 s5, s5, s4
	s_mul_hi_u32 s4, s6, s5
	s_mul_i32 s7, s4, s29
	s_sub_i32 s6, s6, s7
	s_add_i32 s5, s4, 1
	s_sub_i32 s7, s6, s29
	s_cmp_ge_u32 s6, s29
	s_cselect_b32 s4, s5, s4
	s_cselect_b32 s6, s7, s6
	s_add_i32 s5, s4, 1
	s_cmp_ge_u32 s6, s29
	s_cselect_b32 s58, s5, s4
.LBB19_5:
	s_add_i32 s4, s28, 1
	s_mul_i32 s5, s10, s4
	s_mul_hi_u32 s6, s2, s4
	s_add_i32 s9, s6, s5
	s_mov_b32 s8, 0
	s_cmp_lg_u64 s[8:9], 0
	s_mul_i32 s2, s2, s4
	s_cbranch_scc0 .LBB19_280
; %bb.6:
	s_add_u32 s4, s29, 0
	s_addc_u32 s5, 0, 0
	s_xor_b64 s[6:7], s[4:5], 0
	v_cvt_f32_u32_e32 v2, s6
	v_cvt_f32_u32_e32 v3, s7
	s_sub_u32 s8, 0, s6
	s_subb_u32 s12, 0, s7
	v_fmamk_f32 v2, v3, 0x4f800000, v2
	v_rcp_f32_e32 v2, v2
	s_nop 0
	v_mul_f32_e32 v2, 0x5f7ffffc, v2
	v_mul_f32_e32 v3, 0x2f800000, v2
	v_trunc_f32_e32 v3, v3
	v_fmamk_f32 v2, v3, 0xcf800000, v2
	v_cvt_u32_f32_e32 v3, v3
	v_cvt_u32_f32_e32 v2, v2
	v_readfirstlane_b32 s13, v3
	v_readfirstlane_b32 s10, v2
	s_mul_i32 s11, s8, s13
	s_mul_hi_u32 s15, s8, s10
	s_mul_i32 s14, s12, s10
	s_add_i32 s11, s15, s11
	s_add_i32 s11, s11, s14
	s_mul_i32 s16, s8, s10
	s_mul_i32 s15, s10, s11
	s_mul_hi_u32 s17, s10, s16
	s_mul_hi_u32 s14, s10, s11
	s_add_u32 s15, s17, s15
	s_addc_u32 s14, 0, s14
	s_mul_hi_u32 s18, s13, s16
	s_mul_i32 s16, s13, s16
	s_add_u32 s15, s15, s16
	s_mul_hi_u32 s17, s13, s11
	s_addc_u32 s14, s14, s18
	s_addc_u32 s15, s17, 0
	s_mul_i32 s11, s13, s11
	s_add_u32 s11, s14, s11
	s_addc_u32 s14, 0, s15
	s_add_u32 s15, s10, s11
	s_cselect_b64 s[10:11], -1, 0
	s_cmp_lg_u64 s[10:11], 0
	s_addc_u32 s13, s13, s14
	s_mul_i32 s10, s8, s13
	s_mul_hi_u32 s11, s8, s15
	s_add_i32 s10, s11, s10
	s_mul_i32 s12, s12, s15
	s_add_i32 s10, s10, s12
	s_mul_i32 s8, s8, s15
	s_mul_hi_u32 s12, s13, s8
	s_mul_i32 s14, s13, s8
	s_mul_i32 s17, s15, s10
	s_mul_hi_u32 s8, s15, s8
	s_mul_hi_u32 s16, s15, s10
	s_add_u32 s8, s8, s17
	s_addc_u32 s16, 0, s16
	s_add_u32 s8, s8, s14
	s_mul_hi_u32 s11, s13, s10
	s_addc_u32 s8, s16, s12
	s_addc_u32 s11, s11, 0
	s_mul_i32 s10, s13, s10
	s_add_u32 s8, s8, s10
	s_addc_u32 s12, 0, s11
	s_add_u32 s14, s15, s8
	s_cselect_b64 s[10:11], -1, 0
	s_cmp_lg_u64 s[10:11], 0
	s_addc_u32 s12, s13, s12
	s_ashr_i32 s10, s9, 31
	s_add_u32 s8, s2, s10
	s_mov_b32 s11, s10
	s_addc_u32 s9, s9, s10
	s_xor_b64 s[8:9], s[8:9], s[10:11]
	s_mul_i32 s15, s8, s12
	s_mul_hi_u32 s16, s8, s14
	s_mul_hi_u32 s13, s8, s12
	s_add_u32 s15, s16, s15
	s_addc_u32 s13, 0, s13
	s_mul_hi_u32 s17, s9, s14
	s_mul_i32 s14, s9, s14
	s_add_u32 s14, s15, s14
	s_mul_hi_u32 s16, s9, s12
	s_addc_u32 s13, s13, s17
	s_addc_u32 s14, s16, 0
	s_mul_i32 s12, s9, s12
	s_add_u32 s16, s13, s12
	s_addc_u32 s17, 0, s14
	s_mul_i32 s12, s6, s17
	s_mul_hi_u32 s13, s6, s16
	s_add_i32 s12, s13, s12
	s_mul_i32 s13, s7, s16
	s_add_i32 s18, s12, s13
	s_sub_i32 s14, s9, s18
	s_mul_i32 s12, s6, s16
	s_sub_u32 s8, s8, s12
	s_cselect_b64 s[12:13], -1, 0
	s_cmp_lg_u64 s[12:13], 0
	s_subb_u32 s19, s14, s7
	s_sub_u32 s22, s8, s6
	s_cselect_b64 s[14:15], -1, 0
	s_cmp_lg_u64 s[14:15], 0
	s_subb_u32 s14, s19, 0
	s_cmp_ge_u32 s14, s7
	s_cselect_b32 s15, -1, 0
	s_cmp_ge_u32 s22, s6
	s_cselect_b32 s19, -1, 0
	s_cmp_eq_u32 s14, s7
	s_cselect_b32 s14, s19, s15
	s_add_u32 s15, s16, 1
	s_addc_u32 s19, s17, 0
	s_add_u32 s22, s16, 2
	s_addc_u32 s24, s17, 0
	s_cmp_lg_u32 s14, 0
	s_cselect_b32 s14, s22, s15
	s_cselect_b32 s15, s24, s19
	s_cmp_lg_u64 s[12:13], 0
	s_subb_u32 s9, s9, s18
	s_cmp_ge_u32 s9, s7
	s_cselect_b32 s12, -1, 0
	s_cmp_ge_u32 s8, s6
	s_cselect_b32 s6, -1, 0
	s_cmp_eq_u32 s9, s7
	s_cselect_b32 s6, s6, s12
	s_cmp_lg_u32 s6, 0
	s_cselect_b32 s7, s15, s17
	s_cselect_b32 s6, s14, s16
	s_xor_b64 s[8:9], s[10:11], 0
	s_xor_b64 s[6:7], s[6:7], s[8:9]
	s_sub_u32 s62, s6, s8
	s_load_dwordx2 s[30:31], s[0:1], 0x5c
	s_cbranch_execnz .LBB19_8
.LBB19_7:
	v_rcp_iflag_f32_e32 v1, v1
	s_sub_i32 s4, 0, s29
	v_mul_f32_e32 v1, 0x4f7ffffe, v1
	v_cvt_u32_f32_e32 v1, v1
	s_nop 0
	v_readfirstlane_b32 s5, v1
	s_mul_i32 s4, s4, s5
	s_mul_hi_u32 s4, s5, s4
	s_add_i32 s5, s5, s4
	s_mul_hi_u32 s4, s2, s5
	s_mul_i32 s6, s4, s29
	s_sub_i32 s2, s2, s6
	s_add_i32 s5, s4, 1
	s_sub_i32 s6, s2, s29
	s_cmp_ge_u32 s2, s29
	s_cselect_b32 s4, s5, s4
	s_cselect_b32 s2, s6, s2
	s_add_i32 s5, s4, 1
	s_cmp_ge_u32 s2, s29
	s_cselect_b32 s62, s5, s4
.LBB19_8:
	s_abs_i32 s63, s67
	v_cvt_f32_u32_e32 v1, s63
	s_load_dwordx16 s[36:51], s[0:1], 0x0
	s_load_dword s2, s[0:1], 0x40
	s_load_dwordx2 s[4:5], s[0:1], 0x8c
	s_load_dwordx4 s[24:27], s[0:1], 0x98
	s_load_dwordx2 s[34:35], s[0:1], 0xa8
	s_load_dwordx2 s[12:13], s[0:1], 0xb8
	s_load_dwordx2 s[52:53], s[0:1], 0xc8
	v_readlane_b32 s0, v201, 4
	v_readlane_b32 s1, v201, 5
	v_rcp_iflag_f32_e32 v1, v1
	s_waitcnt lgkmcnt(0)
	s_mov_b32 s1, s5
	s_ashr_i32 s22, s4, 2
	s_sub_i32 s4, 0, s63
	v_mul_f32_e32 v1, 0x4f7ffffe, v1
	v_cvt_u32_f32_e32 v1, v1
	s_ashr_i32 s19, s0, 3
	v_writelane_b32 v201, s0, 6
	s_ashr_i32 s59, s23, 3
	v_readfirstlane_b32 s54, v1
	s_mul_i32 s4, s4, s54
	v_writelane_b32 v201, s1, 7
	s_ashr_i32 s1, s67, 31
	s_mul_hi_u32 s4, s54, s4
	v_writelane_b32 v201, s1, 8
	s_abs_i32 s1, s58
	s_add_i32 s54, s54, s4
	s_mul_hi_u32 s4, s1, s54
	s_mul_i32 s4, s4, s63
	s_sub_i32 s1, s1, s4
	s_ashr_i32 s56, s13, 1
	s_ashr_i32 s18, s26, 2
	;; [unrolled: 1-line block ×3, first 2 shown]
	s_sub_i32 s4, s1, s63
	s_cmp_ge_u32 s1, s63
	s_cselect_b32 s1, s4, s1
	s_sub_i32 s4, s1, s63
	s_cmp_ge_u32 s1, s63
	s_cselect_b32 s1, s4, s1
	s_xor_b32 s1, s1, s0
	s_sub_i32 s60, s1, s0
	s_sub_i32 s0, s62, s58
	s_add_i32 s4, s0, s60
	s_min_i32 s7, s67, s4
	s_cmp_gt_i32 s62, s58
	s_cselect_b64 s[10:11], -1, 0
	s_cmp_le_i32 s62, s58
	s_cselect_b64 s[0:1], -1, 0
	s_cmp_gt_i32 s67, s4
	v_cvt_f16_f32_e32 v1, s2
	s_cselect_b64 s[4:5], -1, 0
	s_or_b64 s[0:1], s[4:5], s[0:1]
	v_bfe_u32 v61, v0, 10, 10
	s_mov_b32 s65, 0
	s_and_b64 vcc, exec, s[0:1]
	v_bfe_u32 v77, v0, 5, 5
	v_lshlrev_b32_e32 v59, 1, v61
	v_and_b32_e32 v38, 31, v0
	v_lshlrev_b32_e32 v39, 2, v61
	v_lshlrev_b32_e32 v93, 3, v61
	v_mbcnt_lo_u32_b32 v95, -1, 0
	s_cbranch_vccz .LBB19_11
; %bb.9:
	s_andn2_b64 vcc, exec, s[10:11]
	s_cbranch_vccz .LBB19_248
.LBB19_10:
	s_endpgm
.LBB19_11:
	v_and_b32_e32 v40, 15, v0
	s_movk_i32 s2, 0xf0
	v_and_b32_e32 v5, 0x7f0, v93
	v_bfe_u32 v8, v0, 1, 9
	v_and_b32_e32 v2, 0x3ff, v0
	v_mad_u32_u24 v6, v5, s2, 0
	v_mul_u32_u24_e32 v7, 0xf0, v40
	v_and_b32_e32 v9, 0x78, v8
	v_add3_u32 v45, v6, v7, v9
	v_lshlrev_b32_e32 v7, 1, v2
	v_add_u32_e32 v43, v59, v77
	v_and_b32_e32 v42, 62, v7
	v_lshl_add_u32 v7, v61, 5, v8
	v_lshlrev_b32_e32 v8, 4, v61
	v_bfe_u32 v10, v0, 2, 8
	v_lshlrev_b32_e32 v12, 2, v2
	v_mul_u32_u24_e32 v6, 0x90, v43
	v_add_u32_e32 v11, v8, v10
	v_and_b32_e32 v44, 12, v12
	v_lshlrev_b32_e32 v14, 1, v42
	v_add3_u32 v47, 0, v6, v14
	v_mad_u32_u24 v6, v11, s2, 0
	v_lshlrev_b32_e32 v14, 2, v44
	s_movk_i32 s1, 0x80
	v_and_b32_e32 v46, 4, v12
	v_add3_u32 v97, v6, v14, s1
	v_mad_u32_u24 v6, v7, s2, 0
	v_lshlrev_b32_e32 v14, 2, v46
	s_movk_i32 s1, 0xc0
	v_and_b32_e32 v13, 16, v8
	v_add3_u32 v99, v6, v14, s1
	v_and_b32_e32 v6, 60, v10
	v_and_or_b32 v5, v0, 12, v5
	s_movk_i32 s0, 0x90
	v_add_u32_e32 v10, v6, v13
	v_lshrrev_b32_e32 v5, 2, v5
	v_add_u16_e32 v6, v6, v13
	v_bfe_u32 v4, v0, 3, 7
	v_mad_u32_u24 v5, v5, s0, 0
	v_lshrrev_b16_e32 v6, 1, v6
	v_lshl_add_u32 v101, v6, 2, v5
	v_lshlrev_b32_e32 v6, 1, v4
	v_lshl_add_u32 v5, v10, 1, v5
	v_or_b32_e32 v10, 3, v6
	v_or_b32_e32 v14, 2, v6
	v_and_b32_e32 v6, 60, v6
	v_and_b32_e32 v15, 8, v93
	s_movk_i32 s0, 0x1e0
	v_mul_u32_u24_e32 v6, 0xf0, v6
	v_mad_u32_u24 v15, v15, s0, 0
	v_lshlrev_b32_e32 v16, 1, v40
	v_add3_u32 v128, v15, v6, v16
	v_bfe_u32 v6, v0, 10, 1
	v_cmp_eq_u32_e64 s[0:1], 0, v6
	v_and_b32_e32 v6, 0x400, v0
	v_writelane_b32 v201, s29, 9
	v_mul_u32_u24_e32 v10, 0xf0, v10
	v_cmp_ne_u32_e64 s[4:5], 0, v6
	v_mul_u32_u24_e32 v14, 0xf0, v14
	v_add3_u32 v130, v15, v10, v16
	v_writelane_b32 v201, s4, 10
	v_add_u32_e32 v10, v77, v61
	v_add3_u32 v129, v15, v14, v16
	v_writelane_b32 v201, s5, 11
	v_lshlrev_b32_e32 v14, 1, v10
	v_and_b32_e32 v15, 15, v10
	s_movk_i32 s4, 0x3e0
	v_add_u32_e32 v16, 4, v10
	v_and_or_b32 v14, v14, s4, v15
	v_lshlrev_b32_e32 v17, 1, v16
	v_and_b32_e32 v18, 15, v16
	s_movk_i32 s4, 0x7e0
	v_and_or_b32 v17, v17, s4, v18
	v_add_u32_e32 v18, 8, v10
	v_lshlrev_b32_e32 v19, 1, v18
	v_and_b32_e32 v20, 15, v18
	v_and_or_b32 v19, v19, s4, v20
	v_add_u32_e32 v20, 12, v10
	v_lshlrev_b32_e32 v21, 1, v20
	v_and_b32_e32 v22, 15, v20
	v_and_or_b32 v21, v21, s4, v22
	v_add_u32_e32 v22, 16, v10
	v_lshlrev_b32_e32 v23, 1, v22
	v_and_or_b32 v15, v23, s4, v15
	v_add_u32_e32 v23, 20, v10
	v_lshlrev_b32_e32 v24, 1, v23
	v_and_b32_e32 v25, 15, v23
	v_and_or_b32 v24, v24, s4, v25
	v_add_u32_e32 v25, 24, v10
	v_lshlrev_b32_e32 v26, 1, v25
	v_and_b32_e32 v27, 15, v25
	v_bfe_u32 v3, v0, 4, 6
	v_and_or_b32 v26, v26, s4, v27
	v_add_u32_e32 v27, 28, v10
	v_add_u32_e32 v6, v59, v3
	v_lshlrev_b32_e32 v28, 1, v27
	v_and_b32_e32 v29, 15, v27
	v_and_or_b32 v28, v28, s4, v29
	v_lshlrev_b32_e32 v29, 1, v6
	v_and_b32_e32 v30, 15, v6
	s_cmp_eq_u64 s[44:45], 0
	v_and_or_b32 v29, v29, s4, v30
	s_cselect_b64 s[4:5], -1, 0
	v_writelane_b32 v201, s4, 12
	s_cmp_lg_u64 s[46:47], 0
	v_add_u32_e32 v31, 8, v6
	v_writelane_b32 v201, s5, 13
	s_cselect_b64 s[4:5], -1, 0
	v_writelane_b32 v201, s4, 14
	s_lshl_b32 s64, s28, 5
	s_ashr_i32 s57, s56, 31
	v_writelane_b32 v201, s5, 15
	s_ashr_i32 s23, s22, 31
	s_mov_b32 s33, s19
	s_ashr_i32 s19, s18, 31
	v_writelane_b32 v201, s28, 16
	s_lshl_b64 s[4:5], s[64:65], 3
	v_lshlrev_b32_e32 v32, 1, v31
	v_and_b32_e32 v33, 15, v31
	s_movk_i32 s6, 0xfe0
	s_add_u32 s4, s50, s4
	v_readlane_b32 s14, v201, 3
	v_and_or_b32 v32, v32, s6, v33
	v_add_u32_e32 v33, 16, v6
	s_addc_u32 s5, s51, s5
	s_abs_i32 s8, s14
	v_lshlrev_b32_e32 v34, 1, v33
	v_cvt_f32_u32_e32 v48, s8
	v_and_or_b32 v30, v34, s6, v30
	v_add_u32_e32 v34, 24, v6
	v_lshlrev_b32_e32 v35, 1, v34
	v_and_b32_e32 v36, 15, v34
	v_and_or_b32 v35, v35, s6, v36
	v_add_u32_e32 v36, v39, v4
	v_readlane_b32 s16, v201, 2
	v_and_b32_e32 v37, 15, v36
	v_lshlrev_b32_e32 v41, 1, v36
	v_add_u32_e32 v72, 16, v36
	v_rcp_iflag_f32_e32 v48, v48
	s_abs_i32 s9, s16
	v_and_or_b32 v41, v41, s6, v37
	s_movk_i32 s6, 0x1fe0
	v_cvt_f32_u32_e32 v49, s9
	v_lshlrev_b32_e32 v50, 1, v72
	v_and_or_b32 v37, v50, s6, v37
	s_mov_b32 s6, s12
	v_readlane_b32 s15, v201, 1
	v_writelane_b32 v201, s6, 17
	v_mul_f32_e32 v48, 0x4f7ffffe, v48
	v_cmp_gt_u32_e64 s[28:29], 16, v2
	v_writelane_b32 v201, s7, 18
	v_rcp_iflag_f32_e32 v49, v49
	s_abs_i32 s68, s15
	v_cvt_u32_f32_e32 v48, v48
	v_writelane_b32 v201, s28, 19
	v_cvt_f32_u32_e32 v50, s68
	s_ashr_i32 s14, s14, 31
	v_writelane_b32 v201, s29, 20
	v_cmp_gt_u32_e64 s[28:29], 32, v2
	s_abs_i32 s69, s12
	v_mul_f32_e32 v49, 0x4f7ffffe, v49
	v_writelane_b32 v201, s28, 21
	v_readfirstlane_b32 s6, v48
	v_cvt_f32_u32_e32 v51, s69
	v_writelane_b32 v201, s29, 22
	v_writelane_b32 v201, s14, 23
	s_sub_i32 s14, 0, s8
	v_rcp_iflag_f32_e32 v50, v50
	v_cvt_u32_f32_e32 v49, v49
	s_mul_i32 s14, s14, s6
	s_mul_hi_u32 s14, s6, s14
	s_add_i32 s6, s6, s14
	v_writelane_b32 v201, s6, 24
	s_ashr_i32 s6, s16, 31
	v_rcp_iflag_f32_e32 v51, v51
	v_mul_f32_e32 v50, 0x4f7ffffe, v50
	v_readfirstlane_b32 s10, v49
	v_writelane_b32 v201, s6, 25
	s_sub_i32 s6, 0, s9
	v_cvt_u32_f32_e32 v50, v50
	s_mul_i32 s6, s6, s10
	s_mul_hi_u32 s6, s10, s6
	s_add_i32 s6, s10, s6
	v_mul_f32_e32 v51, 0x4f7ffffe, v51
	v_writelane_b32 v201, s6, 26
	s_ashr_i32 s6, s15, 31
	v_cvt_u32_f32_e32 v51, v51
	v_readfirstlane_b32 s11, v50
	v_writelane_b32 v201, s6, 27
	s_sub_i32 s6, 0, s68
	s_mul_i32 s6, s6, s11
	s_mul_hi_u32 s6, s11, s6
	s_add_i32 s6, s11, s6
	v_readfirstlane_b32 s12, v51
	v_writelane_b32 v201, s6, 28
	s_sub_i32 s6, 0, s69
	s_mul_i32 s6, s6, s12
	v_add_u32_e32 v4, v93, v4
	s_mul_hi_u32 s6, s12, s6
	v_mul_lo_u32 v54, s22, v4
	v_mad_u32_u24 v62, v4, s2, 0
	v_add_u32_e32 v135, 64, v5
	v_add_u32_e32 v136, 0x44, v5
	;; [unrolled: 1-line block ×3, first 2 shown]
	v_lshrrev_b32_e32 v137, 2, v4
	v_mul_lo_u32 v68, s18, v4
	v_add_u32_e32 v4, 8, v43
	s_add_i32 s6, s12, s6
	v_or_b32_e32 v48, v93, v2
	v_lshrrev_b32_e32 v139, 2, v4
	v_add_u32_e32 v4, 16, v43
	v_writelane_b32 v201, s6, 29
	s_mov_b32 s6, s56
	v_lshlrev_b32_e32 v48, 3, v48
	v_mov_b32_e32 v49, 0
	v_and_b32_e32 v52, 1, v0
	v_and_b32_e32 v58, 7, v0
	v_mul_lo_u32 v64, s18, v7
	v_lshrrev_b32_e32 v140, 2, v4
	v_add_u32_e32 v4, 24, v43
	v_writelane_b32 v201, s6, 30
	v_lshl_add_u64 v[50:51], s[4:5], 0, v[48:49]
	v_lshlrev_b32_e32 v48, 4, v52
	v_lshlrev_b32_e32 v73, 2, v58
	v_ashrrev_i32_e32 v65, 31, v64
	v_mul_lo_u32 v66, s18, v5
	v_lshrrev_b32_e32 v141, 2, v4
	v_lshlrev_b32_e32 v4, 2, v38
	v_mov_b32_e32 v5, v49
	v_writelane_b32 v201, s7, 31
	s_lshl_b64 s[10:11], s[56:57], 1
	v_add_u32_e32 v131, v62, v73
	v_add_u32_e32 v138, 0, v73
	v_lshrrev_b32_e32 v175, 2, v72
	v_add_u32_e32 v177, 0, v4
	v_lshl_add_u64 v[72:73], s[42:43], 0, v[4:5]
	v_writelane_b32 v201, s10, 32
	v_lshl_add_u64 v[4:5], v[64:65], 2, v[48:49]
	v_mul_lo_u32 v70, s18, v11
	v_writelane_b32 v201, s11, 33
	v_lshl_add_u64 v[4:5], s[40:41], 0, v[4:5]
	s_mov_b64 s[10:11], 0xc0
	v_and_b32_e32 v76, 3, v0
	v_mul_lo_u32 v52, s22, v11
	v_and_b32_e32 v60, 28, v12
	v_ashrrev_i32_e32 v71, 31, v70
	v_lshl_add_u64 v[74:75], v[4:5], 0, s[10:11]
	v_lshlrev_b32_e32 v4, 4, v76
	v_mov_b32_e32 v5, v49
	v_ashrrev_i32_e32 v53, 31, v52
	v_cmp_gt_u32_e64 s[4:5], 64, v7
	v_lshl_add_u32 v132, v60, 2, v62
	v_mul_lo_u32 v62, s22, v7
	v_lshrrev_b32_e32 v165, 2, v6
	v_lshl_add_u64 v[6:7], v[70:71], 2, v[4:5]
	v_add_u32_e32 v3, v39, v3
	v_lshl_add_u32 v142, v40, 2, 0
	v_lshl_add_u64 v[6:7], s[40:41], 0, v[6:7]
	s_mov_b64 s[74:75], 0x80
	v_lshl_add_u64 v[4:5], v[52:53], 2, v[4:5]
	v_ashrrev_i32_e32 v55, 31, v54
	v_lshl_add_u32 v56, s22, 5, v54
	v_lshrrev_b32_e32 v143, 2, v3
	v_mul_u32_u24_e32 v144, 0xf0, v3
	v_mad_u32_u24 v145, v3, s2, v142
	v_add_u32_e32 v3, 16, v3
	v_lshl_add_u64 v[78:79], v[6:7], 0, s[74:75]
	v_lshlrev_b32_e32 v6, 4, v58
	v_mov_b32_e32 v7, v49
	v_lshl_add_u64 v[4:5], s[38:39], 0, v[4:5]
	v_ashrrev_i32_e32 v57, 31, v56
	v_lshrrev_b32_e32 v146, 2, v3
	v_or_b32_e32 v3, v8, v2
	v_lshl_add_u64 v[84:85], v[4:5], 0, s[74:75]
	v_lshl_add_u64 v[4:5], v[54:55], 2, v[6:7]
	v_ashrrev_i32_e32 v63, 31, v62
	v_ashrrev_i32_e32 v69, 31, v68
	v_mul_u32_u24_e32 v147, 0xf0, v3
	v_or_b32_e32 v3, v8, v38
	v_lshl_add_u64 v[86:87], s[38:39], 0, v[4:5]
	v_lshl_add_u64 v[4:5], v[56:57], 2, v[6:7]
	v_add_u32_e32 v133, 0, v9
	v_ashrrev_i32_e32 v67, 31, v66
	v_mul_u32_u24_e32 v148, 0xf0, v3
	v_or_b32_e32 v3, v8, v40
	v_lshl_add_u64 v[8:9], v[68:69], 2, v[6:7]
	v_lshl_add_u64 v[88:89], s[38:39], 0, v[4:5]
	;; [unrolled: 1-line block ×3, first 2 shown]
	v_bfe_u32 v92, v2, 4, 2
	v_bfe_u32 v96, v2, 3, 2
	s_mov_b32 s13, 0x10001
	v_mul_u32_u24_e32 v149, 0xf0, v3
	v_lshl_add_u64 v[80:81], s[40:41], 0, v[8:9]
	v_lshl_add_u64 v[8:9], v[66:67], 2, v[6:7]
	;; [unrolled: 1-line block ×3, first 2 shown]
	v_mul_lo_u32 v3, s33, v92
	v_mul_lo_u32 v2, s33, v96
	v_and_b32_e32 v183, 3, v43
	v_mul_u32_u24_e32 v134, 0xf0, v13
	v_mul_u32_u24_e32 v150, 0xf0, v14
	v_lshrrev_b32_e32 v151, 2, v16
	v_mul_u32_u24_e32 v152, 0xf0, v17
	v_lshrrev_b32_e32 v153, 2, v18
	;; [unrolled: 2-line block ×7, first 2 shown]
	v_mul_u32_u24_e32 v164, 0xf0, v28
	v_mul_u32_u24_e32 v166, 0xf0, v29
	v_lshrrev_b32_e32 v167, 2, v31
	v_mul_u32_u24_e32 v168, 0xf0, v32
	v_lshrrev_b32_e32 v169, 2, v33
	;; [unrolled: 2-line block ×4, first 2 shown]
	v_mul_u32_u24_e32 v174, 0xf0, v41
	v_mul_u32_u24_e32 v176, 0xf0, v37
	v_mov_b32_e32 v41, v49
	s_lshl_b64 s[72:73], s[18:19], 8
	v_lshl_add_u64 v[82:83], s[40:41], 0, v[8:9]
	s_lshl_b64 s[76:77], s[22:23], 8
	v_lshl_add_u64 v[90:91], v[4:5], 0, s[10:11]
	s_mov_b32 s29, 0x3fb8aa3b
	s_mov_b32 s26, 0xc2ce8ed0
	;; [unrolled: 1-line block ×5, first 2 shown]
	v_mul_lo_u32 v178, v1, s13
	v_add3_u32 v94, v3, v40, 32
	v_add3_u32 v98, v2, v58, 48
	v_add_u32_e32 v179, 0x1e00, v132
	v_mad_u32_u24 v180, v40, s2, v133
	v_lshrrev_b32_e32 v181, 2, v10
	v_and_b32_e32 v100, 3, v10
	v_lshrrev_b32_e32 v182, 2, v43
	v_mul_u32_u24_e32 v184, 0xf0, v43
	v_add_u32_e32 v185, 0xf00, v145
	v_mbcnt_hi_u32_b32 v186, -1, v95
	v_mov_b32_e32 v187, 0x7f800000
	v_mad_u64_u32 v[102:103], s[10:11], v183, s33, v[38:39]
	v_writelane_b32 v201, s33, 34
	s_branch .LBB19_14
.LBB19_12:                              ;   in Loop: Header=BB19_14 Depth=1
	s_or_b64 exec, exec, s[80:81]
	s_barrier
.LBB19_13:                              ;   in Loop: Header=BB19_14 Depth=1
	s_add_i32 s2, s58, s67
	s_abs_i32 s7, s2
	s_mul_hi_u32 s10, s7, s54
	s_mul_i32 s10, s10, s63
	s_sub_i32 s7, s7, s10
	s_ashr_i32 s6, s2, 31
	s_sub_i32 s10, s7, s63
	s_cmp_ge_u32 s7, s63
	s_cselect_b32 s7, s10, s7
	s_sub_i32 s10, s7, s63
	s_cmp_ge_u32 s7, s63
	s_cselect_b32 s7, s10, s7
	s_xor_b32 s7, s7, s6
	s_sub_i32 s6, s6, s7
	s_add_i32 s58, s2, s6
	s_sub_i32 s2, s62, s58
	s_min_i32 s7, s67, s2
	s_cmp_gt_i32 s62, s58
	s_cselect_b64 s[10:11], -1, 0
	s_cmp_le_i32 s67, s2
	s_cselect_b64 s[12:13], -1, 0
	s_and_b64 s[12:13], s[12:13], s[10:11]
	s_mov_b32 s60, 0
	s_and_b64 vcc, exec, s[12:13]
	s_cbranch_vccz .LBB19_247
.LBB19_14:                              ; =>This Loop Header: Depth=1
                                        ;     Child Loop BB19_165 Depth 2
                                        ;     Child Loop BB19_47 Depth 2
	s_ashr_i32 s2, s58, 31
	v_readlane_b32 s6, v201, 23
	s_xor_b32 s2, s2, s6
	s_abs_i32 s6, s58
	v_readlane_b32 s10, v201, 24
	s_mul_hi_u32 s10, s6, s10
	s_mul_i32 s11, s10, s8
	s_sub_i32 s6, s6, s11
	s_add_i32 s11, s10, 1
	s_sub_i32 s12, s6, s8
	s_cmp_ge_u32 s6, s8
	s_cselect_b32 s10, s11, s10
	s_cselect_b32 s6, s12, s6
	s_add_i32 s11, s10, 1
	s_cmp_ge_u32 s6, s8
	s_cselect_b32 s6, s11, s10
	s_xor_b32 s6, s6, s2
	s_sub_i32 s10, s6, s2
	v_readlane_b32 s2, v201, 3
	s_mul_i32 s2, s10, s2
	s_sub_i32 s2, s58, s2
	s_ashr_i32 s6, s2, 31
	v_readlane_b32 s11, v201, 25
	s_xor_b32 s6, s6, s11
	s_abs_i32 s11, s2
	v_readlane_b32 s12, v201, 26
	s_mul_hi_u32 s12, s11, s12
	s_mul_i32 s13, s12, s9
	s_sub_i32 s11, s11, s13
	s_add_i32 s13, s12, 1
	s_sub_i32 s14, s11, s9
	s_cmp_ge_u32 s11, s9
	s_cselect_b32 s12, s13, s12
	s_cselect_b32 s11, s14, s11
	s_add_i32 s13, s12, 1
	s_cmp_ge_u32 s11, s9
	s_cselect_b32 s11, s13, s12
	s_xor_b32 s11, s11, s6
	s_sub_i32 s11, s11, s6
	v_readlane_b32 s6, v201, 2
	s_mul_i32 s6, s11, s6
	s_sub_i32 s6, s2, s6
	;; [unrolled: 21-line block ×3, first 2 shown]
	s_ashr_i32 s12, s6, 31
	v_readlane_b32 s13, v201, 8
	s_abs_i32 s6, s6
	s_xor_b32 s12, s12, s13
	s_mul_hi_u32 s13, s6, s54
	s_mul_i32 s14, s13, s63
	s_sub_i32 s6, s6, s14
	s_add_i32 s14, s13, 1
	s_sub_i32 s15, s6, s63
	s_cmp_ge_u32 s6, s63
	s_cselect_b32 s13, s14, s13
	s_cselect_b32 s6, s15, s6
	s_add_i32 s14, s13, 1
	s_cmp_ge_u32 s6, s63
	s_cselect_b32 s6, s14, s13
	v_readlane_b32 s14, v201, 14
	s_xor_b32 s6, s6, s12
	v_readlane_b32 s15, v201, 15
	s_andn2_b64 vcc, exec, s[14:15]
	s_sub_i32 s56, s6, s12
	s_cbranch_vccnz .LBB19_16
; %bb.15:                               ;   in Loop: Header=BB19_14 Depth=1
	v_readlane_b32 s6, v201, 0
	s_mul_i32 s6, s10, s6
	s_add_i32 s12, s56, s6
	s_ashr_i32 s13, s12, 31
	s_lshl_b64 s[12:13], s[12:13], 2
	s_add_u32 s12, s46, s12
	s_addc_u32 s13, s47, s13
	global_load_dword v2, v49, s[12:13]
	s_waitcnt vmcnt(0)
	v_readfirstlane_b32 s6, v2
	s_ashr_i32 s12, s6, 31
	s_lshr_b32 s12, s12, 26
	s_add_i32 s6, s6, s12
	s_ashr_i32 s6, s6, 6
	s_min_i32 s7, s7, s6
.LBB19_16:                              ;   in Loop: Header=BB19_14 Depth=1
	v_readlane_b32 s14, v201, 4
	s_mul_i32 s6, s11, s3
	s_lshl_b32 s2, s2, 2
	v_readlane_b32 s15, v201, 5
	s_add_i32 s12, s2, s6
	s_mul_i32 s6, s10, s15
	s_ashr_i32 s13, s6, 31
	s_add_u32 s6, s36, s6
	s_mul_i32 s14, s12, s14
	s_addc_u32 s13, s37, s13
	s_ashr_i32 s15, s14, 31
	s_add_u32 s90, s6, s14
	s_addc_u32 s91, s13, s15
	s_ashr_i32 s13, s10, 31
	s_mul_hi_u32 s6, s24, s10
	s_mul_i32 s14, s24, s13
	s_add_i32 s6, s6, s14
	s_mul_i32 s14, s25, s10
	v_readlane_b32 s70, v201, 6
	s_add_i32 s89, s6, s14
	s_mul_i32 s88, s24, s10
	v_readlane_b32 s71, v201, 7
	s_add_u32 s6, s38, s88
	s_mul_i32 s84, s11, s71
	s_addc_u32 s14, s39, s89
	s_ashr_i32 s85, s84, 31
	s_add_u32 s6, s6, s84
	s_addc_u32 s33, s14, s85
	s_abs_i32 s14, s10
	v_readlane_b32 s15, v201, 29
	s_mul_hi_u32 s15, s14, s15
	s_mul_i32 s15, s15, s69
	s_sub_i32 s14, s14, s15
	s_sub_i32 s15, s14, s69
	s_cmp_ge_u32 s14, s69
	s_cselect_b32 s14, s15, s14
	s_sub_i32 s15, s14, s69
	s_cmp_ge_u32 s14, s69
	s_cselect_b32 s14, s15, s14
	s_xor_b32 s14, s14, s13
	s_sub_i32 s14, s14, s13
	s_ashr_i32 s15, s14, 31
	s_mul_i32 s15, s52, s15
	s_mul_hi_u32 s28, s52, s14
	s_add_i32 s15, s28, s15
	s_mul_i32 s28, s53, s14
	s_add_i32 s93, s15, s28
	s_mul_i32 s92, s52, s14
	s_mul_i32 s14, s20, s21
	s_add_u32 s82, s42, s92
	s_mul_i32 s14, s14, s10
	s_addc_u32 s83, s43, s93
	s_add_i32 s14, s12, s14
	s_mul_i32 s64, s14, 56
	s_lshl_b64 s[14:15], s[64:65], 3
	s_add_u32 s78, s48, s14
	s_mul_hi_u32 s14, s34, s10
	s_mul_i32 s13, s34, s13
	s_addc_u32 s79, s49, s15
	s_add_i32 s13, s14, s13
	s_mul_i32 s14, s35, s10
	s_add_i32 s95, s13, s14
	s_mul_i32 s94, s34, s10
	s_add_u32 s10, s40, s94
	s_mul_i32 s86, s11, s27
	s_addc_u32 s13, s41, s95
	s_ashr_i32 s87, s86, 31
	s_add_u32 s66, s10, s86
	s_addc_u32 s28, s13, s87
	s_ashr_i32 s13, s12, 31
	s_lshl_b64 s[10:11], s[12:13], 2
	s_add_u32 s12, s44, s10
	s_addc_u32 s13, s45, s11
	v_readlane_b32 s10, v201, 12
	v_readlane_b32 s11, v201, 13
	s_and_b64 s[10:11], s[10:11], exec
	s_cselect_b32 s81, 0, s13
	s_cselect_b32 s80, 0, s12
	s_cmp_lg_u32 s60, 0
	v_or_b32_e32 v103, s2, v183
	s_cbranch_scc0 .LBB19_53
; %bb.17:                               ;   in Loop: Header=BB19_14 Depth=1
	s_lshl_b32 s57, s56, 3
	v_add_u32_e32 v2, s57, v182
	v_cmp_le_i32_e64 s[10:11], s20, v2
	v_cmp_le_i32_e64 s[12:13], s3, v103
	v_cmp_gt_i32_e32 vcc, s3, v103
	s_or_b64 s[10:11], s[10:11], s[12:13]
	s_and_saveexec_b64 s[12:13], s[10:11]
	s_xor_b64 s[10:11], exec, s[12:13]
; %bb.18:                               ;   in Loop: Header=BB19_14 Depth=1
	v_add_u32_e32 v2, v177, v184
	ds_write_b32 v2, v49
                                        ; implicit-def: $vgpr2
; %bb.19:                               ;   in Loop: Header=BB19_14 Depth=1
	s_or_saveexec_b64 s[10:11], s[10:11]
	s_movk_i32 s64, 0x47
	s_xor_b64 exec, exec, s[10:11]
	s_cbranch_execz .LBB19_21
; %bb.20:                               ;   in Loop: Header=BB19_14 Depth=1
	v_mad_u64_u32 v[2:3], s[12:13], v2, s59, v[102:103]
	v_ashrrev_i32_e32 v3, 31, v2
	v_lshl_add_u64 v[2:3], v[2:3], 3, s[90:91]
	global_load_dwordx2 v[2:3], v[2:3], off
	s_waitcnt vmcnt(0)
	v_cvt_pk_f16_f32 v2, v2, v3
	v_pk_mul_f16 v2, v2, v178
	v_add_u32_e32 v3, v177, v184
	ds_write_b32 v3, v2
.LBB19_21:                              ;   in Loop: Header=BB19_14 Depth=1
	s_or_b64 exec, exec, s[10:11]
	v_add_u32_e32 v2, s57, v139
	v_cmp_le_i32_e64 s[10:11], s20, v2
	s_xor_b64 s[12:13], vcc, -1
	s_or_b64 s[10:11], s[10:11], s[12:13]
	s_and_saveexec_b64 s[14:15], s[10:11]
	s_xor_b64 s[10:11], exec, s[14:15]
; %bb.22:                               ;   in Loop: Header=BB19_14 Depth=1
	v_add_u32_e32 v2, v177, v184
	ds_write_b32 v2, v49 offset:1920
                                        ; implicit-def: $vgpr2
; %bb.23:                               ;   in Loop: Header=BB19_14 Depth=1
	s_andn2_saveexec_b64 s[10:11], s[10:11]
	s_cbranch_execz .LBB19_25
; %bb.24:                               ;   in Loop: Header=BB19_14 Depth=1
	v_mad_u64_u32 v[2:3], s[14:15], v2, s59, v[102:103]
	v_ashrrev_i32_e32 v3, 31, v2
	v_lshl_add_u64 v[2:3], v[2:3], 3, s[90:91]
	global_load_dwordx2 v[2:3], v[2:3], off
	s_waitcnt vmcnt(0)
	v_cvt_pk_f16_f32 v2, v2, v3
	v_pk_mul_f16 v2, v2, v178
	v_add_u32_e32 v3, v177, v184
	ds_write_b32 v3, v2 offset:1920
.LBB19_25:                              ;   in Loop: Header=BB19_14 Depth=1
	s_or_b64 exec, exec, s[10:11]
	v_add_u32_e32 v2, s57, v140
	v_cmp_le_i32_e32 vcc, s20, v2
	s_or_b64 s[10:11], vcc, s[12:13]
	s_and_saveexec_b64 s[14:15], s[10:11]
	s_xor_b64 s[10:11], exec, s[14:15]
; %bb.26:                               ;   in Loop: Header=BB19_14 Depth=1
	v_add_u32_e32 v2, v177, v184
	ds_write_b32 v2, v49 offset:3840
                                        ; implicit-def: $vgpr2
; %bb.27:                               ;   in Loop: Header=BB19_14 Depth=1
	s_andn2_saveexec_b64 s[10:11], s[10:11]
	s_cbranch_execz .LBB19_29
; %bb.28:                               ;   in Loop: Header=BB19_14 Depth=1
	v_mad_u64_u32 v[2:3], s[14:15], v2, s59, v[102:103]
	v_ashrrev_i32_e32 v3, 31, v2
	v_lshl_add_u64 v[2:3], v[2:3], 3, s[90:91]
	global_load_dwordx2 v[2:3], v[2:3], off
	s_waitcnt vmcnt(0)
	v_cvt_pk_f16_f32 v2, v2, v3
	v_pk_mul_f16 v2, v2, v178
	v_add_u32_e32 v3, v177, v184
	ds_write_b32 v3, v2 offset:3840
.LBB19_29:                              ;   in Loop: Header=BB19_14 Depth=1
	s_or_b64 exec, exec, s[10:11]
	v_add_u32_e32 v2, s57, v141
	v_cmp_le_i32_e32 vcc, s20, v2
	s_or_b64 s[10:11], vcc, s[12:13]
	s_and_saveexec_b64 s[12:13], s[10:11]
	s_xor_b64 s[10:11], exec, s[12:13]
; %bb.30:                               ;   in Loop: Header=BB19_14 Depth=1
	v_add_u32_e32 v2, v177, v184
	ds_write_b32 v2, v49 offset:5760
                                        ; implicit-def: $vgpr2
; %bb.31:                               ;   in Loop: Header=BB19_14 Depth=1
	s_andn2_saveexec_b64 s[10:11], s[10:11]
	s_cbranch_execz .LBB19_33
; %bb.32:                               ;   in Loop: Header=BB19_14 Depth=1
	v_mad_u64_u32 v[2:3], s[12:13], v2, s59, v[102:103]
	v_ashrrev_i32_e32 v3, 31, v2
	v_lshl_add_u64 v[2:3], v[2:3], 3, s[90:91]
	global_load_dwordx2 v[2:3], v[2:3], off
	s_waitcnt vmcnt(0)
	v_cvt_pk_f16_f32 v2, v2, v3
	v_pk_mul_f16 v2, v2, v178
	v_add_u32_e32 v3, v177, v184
	ds_write_b32 v3, v2 offset:5760
.LBB19_33:                              ;   in Loop: Header=BB19_14 Depth=1
	s_or_b64 exec, exec, s[10:11]
	v_or_b32_e32 v2, s2, v92
	v_cmp_gt_i32_e64 s[10:11], s3, v2
	v_cmp_le_i32_e32 vcc, s3, v2
	v_add_u32_e32 v2, s57, v143
	v_cmp_le_i32_e64 s[12:13], s20, v2
	s_or_b64 s[12:13], s[12:13], vcc
	s_and_saveexec_b64 s[14:15], s[12:13]
	s_xor_b64 s[12:13], exec, s[14:15]
; %bb.34:                               ;   in Loop: Header=BB19_14 Depth=1
	ds_write_b32 v145, v49 offset:128
                                        ; implicit-def: $vgpr2
; %bb.35:                               ;   in Loop: Header=BB19_14 Depth=1
	s_andn2_saveexec_b64 s[12:13], s[12:13]
	s_cbranch_execz .LBB19_37
; %bb.36:                               ;   in Loop: Header=BB19_14 Depth=1
	v_mad_u64_u32 v[2:3], s[14:15], v2, s59, v[94:95]
	v_ashrrev_i32_e32 v3, 31, v2
	v_lshl_add_u64 v[2:3], v[2:3], 3, s[90:91]
	global_load_dwordx2 v[2:3], v[2:3], off
	s_waitcnt vmcnt(0)
	v_cvt_pk_f16_f32 v2, v2, v3
	v_pk_mul_f16 v2, v2, v178
	v_add_u32_e32 v3, v142, v144
	ds_write_b32 v3, v2 offset:128
.LBB19_37:                              ;   in Loop: Header=BB19_14 Depth=1
	s_or_b64 exec, exec, s[12:13]
	v_add_u32_e32 v2, s57, v146
	v_cmp_le_i32_e32 vcc, s20, v2
	s_xor_b64 s[12:13], s[10:11], -1
	s_or_b64 s[12:13], vcc, s[12:13]
	s_and_saveexec_b64 s[14:15], s[12:13]
	s_xor_b64 s[12:13], exec, s[14:15]
; %bb.38:                               ;   in Loop: Header=BB19_14 Depth=1
	ds_write_b32 v185, v49 offset:128
                                        ; implicit-def: $vgpr2
; %bb.39:                               ;   in Loop: Header=BB19_14 Depth=1
	s_andn2_saveexec_b64 s[12:13], s[12:13]
	s_cbranch_execz .LBB19_41
; %bb.40:                               ;   in Loop: Header=BB19_14 Depth=1
	v_mad_u64_u32 v[2:3], s[14:15], v2, s59, v[94:95]
	v_ashrrev_i32_e32 v3, 31, v2
	v_lshl_add_u64 v[2:3], v[2:3], 3, s[90:91]
	global_load_dwordx2 v[2:3], v[2:3], off
	s_waitcnt vmcnt(0)
	v_cvt_pk_f16_f32 v2, v2, v3
	v_pk_mul_f16 v2, v2, v178
	v_add_u32_e32 v3, v142, v144
	ds_write_b32 v3, v2 offset:3968
.LBB19_41:                              ;   in Loop: Header=BB19_14 Depth=1
	s_or_b64 exec, exec, s[12:13]
	v_add_u32_e32 v2, s57, v137
	v_or_b32_e32 v3, s2, v96
	v_cmp_le_i32_e64 s[12:13], s20, v2
	v_cmp_le_i32_e64 s[14:15], s3, v3
	v_cmp_gt_i32_e32 vcc, s3, v3
	s_or_b64 s[12:13], s[12:13], s[14:15]
	s_and_saveexec_b64 s[14:15], s[12:13]
	s_xor_b64 s[12:13], exec, s[14:15]
; %bb.42:                               ;   in Loop: Header=BB19_14 Depth=1
	ds_write_b32 v131, v49 offset:192
                                        ; implicit-def: $vgpr2
; %bb.43:                               ;   in Loop: Header=BB19_14 Depth=1
	s_andn2_saveexec_b64 s[12:13], s[12:13]
	s_cbranch_execz .LBB19_45
; %bb.44:                               ;   in Loop: Header=BB19_14 Depth=1
	v_mad_u64_u32 v[2:3], s[14:15], v2, s59, v[98:99]
	v_ashrrev_i32_e32 v3, 31, v2
	v_lshl_add_u64 v[2:3], v[2:3], 3, s[90:91]
	global_load_dwordx2 v[2:3], v[2:3], off
	s_waitcnt vmcnt(0)
	v_cvt_pk_f16_f32 v2, v2, v3
	v_pk_mul_f16 v2, v2, v178
	ds_write_b32 v131, v2 offset:192
.LBB19_45:                              ;   in Loop: Header=BB19_14 Depth=1
	s_or_b64 exec, exec, s[12:13]
	s_waitcnt lgkmcnt(0)
	s_barrier
	ds_read2_b64 v[10:13], v45 offset1:4
	ds_read2_b64 v[6:9], v45 offset0:8 offset1:12
	ds_read2_b64 v[2:5], v45 offset0:16 offset1:20
	ds_read_b64 v[104:105], v45 offset:192
	v_add_u32_e32 v14, s57, v43
	v_mul_hi_u32 v15, s30, v14
	v_add_u32_e32 v15, v14, v15
	v_lshrrev_b32_e32 v15, s31, v15
	v_mul_lo_u32 v15, v15, s20
	v_readlane_b32 s12, v201, 30
	s_add_i32 s61, s7, -1
	v_sub_u32_e32 v14, v14, v15
	v_readlane_b32 s13, v201, 31
	s_cmp_ge_i32 s60, s61
	v_mad_i64_i32 v[106:107], s[12:13], v14, s12, 0
	s_waitcnt lgkmcnt(0)
	s_barrier
	s_cbranch_scc1 .LBB19_54
; %bb.46:                               ;   in Loop: Header=BB19_14 Depth=1
	v_lshl_add_u64 v[14:15], v[106:107], 1, s[82:83]
	v_lshlrev_b32_e32 v48, 1, v42
	v_lshl_add_u64 v[108:109], v[14:15], 0, v[48:49]
	v_and_b32_e32 v14, 64, v186
	v_add_u32_e32 v14, 64, v14
	v_xor_b32_e32 v15, 32, v186
	v_cmp_lt_i32_e64 s[12:13], v15, v14
	s_lshl_b32 s14, s60, 6
	v_mov_b32_e32 v35, 0
	v_cndmask_b32_e64 v15, v186, v15, s[12:13]
	v_lshlrev_b32_e32 v116, 2, v15
	v_xor_b32_e32 v15, 16, v186
	v_cmp_lt_i32_e64 s[12:13], v15, v14
	v_mov_b32_e32 v25, 0xfeffffff
	v_mov_b32_e32 v23, 0
	v_cndmask_b32_e64 v14, v186, v15, s[12:13]
	v_lshlrev_b32_e32 v117, 2, v14
	v_mov_b32_e32 v34, 0
	v_mov_b32_e32 v31, 0
	;; [unrolled: 1-line block ×13, first 2 shown]
.LBB19_47:                              ;   Parent Loop BB19_14 Depth=1
                                        ; =>  This Inner Loop Header: Depth=2
	s_ashr_i32 s15, s14, 31
	v_lshl_add_u64 v[14:15], s[14:15], 1, v[108:109]
	global_load_dword v14, v[14:15], off
	s_mul_hi_i32 s13, s14, s22
	s_mul_i32 s12, s14, s22
	s_lshl_b64 s[12:13], s[12:13], 2
	s_add_u32 s12, s6, s12
	s_addc_u32 s13, s33, s13
	s_waitcnt vmcnt(0)
	ds_write_b32 v47, v14 offset:15360
	s_and_saveexec_b64 s[96:97], s[4:5]
	s_cbranch_execz .LBB19_49
; %bb.48:                               ;   in Loop: Header=BB19_47 Depth=2
	v_lshl_add_u64 v[14:15], v[62:63], 2, s[12:13]
	v_lshlrev_b32_e32 v48, 2, v46
	v_lshl_add_u64 v[14:15], v[14:15], 0, v[48:49]
	global_load_dwordx4 v[110:113], v[14:15], off offset:192
	s_waitcnt vmcnt(0)
	ds_write_b128 v99, v[110:113]
.LBB19_49:                              ;   in Loop: Header=BB19_47 Depth=2
	s_or_b64 exec, exec, s[96:97]
	v_lshl_add_u64 v[14:15], v[52:53], 2, s[12:13]
	v_lshlrev_b32_e32 v48, 2, v44
	v_lshl_add_u64 v[36:37], v[14:15], 0, v[48:49]
	v_lshl_add_u64 v[110:111], v[54:55], 2, s[12:13]
	v_lshlrev_b32_e32 v14, 2, v60
	v_mov_b32_e32 v15, v49
	v_lshl_add_u64 v[114:115], v[110:111], 0, v[14:15]
	v_lshl_add_u64 v[110:111], v[56:57], 2, s[12:13]
	;; [unrolled: 1-line block ×3, first 2 shown]
	global_load_dwordx4 v[110:113], v[36:37], off offset:128
	v_add_u32_e32 v22, v180, v134
	v_add_u32_e32 v26, 0x1800, v22
	s_mul_hi_i32 s13, s14, s18
	s_mul_i32 s12, s14, s18
	s_lshl_b64 s[12:13], s[12:13], 2
	s_add_u32 s96, s66, s12
	s_addc_u32 s97, s28, s13
	s_waitcnt vmcnt(0)
	ds_write_b128 v97, v[110:113]
	global_load_dwordx4 v[110:113], v[114:115], off
	s_waitcnt vmcnt(0)
	ds_write_b128 v132, v[110:113]
	global_load_dwordx4 v[110:113], v[118:119], off
	s_waitcnt vmcnt(0)
	ds_write_b128 v179, v[110:113]
	s_waitcnt lgkmcnt(0)
	s_barrier
	ds_read2_b64 v[110:113], v22 offset1:4
	s_waitcnt lgkmcnt(0)
	v_mfma_f32_16x16x16_f16 v[118:121], v[110:111], v[10:11], 0
	ds_read_b64 v[36:37], v22 offset:192
	v_mfma_f32_16x16x16_f16 v[110:113], v[112:113], v[12:13], v[118:121]
	s_nop 5
	ds_read2_b64 v[118:121], v22 offset0:8 offset1:12
	s_waitcnt lgkmcnt(0)
	v_mfma_f32_16x16x16_f16 v[110:113], v[118:119], v[6:7], v[110:113]
	v_mfma_f32_16x16x16_f16 v[110:113], v[120:121], v[8:9], v[110:113]
	ds_read2_b64 v[118:121], v22 offset0:16 offset1:20
	s_waitcnt lgkmcnt(0)
	v_mfma_f32_16x16x16_f16 v[110:113], v[118:119], v[2:3], v[110:113]
	v_mfma_f32_16x16x16_f16 v[110:113], v[120:121], v[4:5], v[110:113]
	;; [unrolled: 4-line block ×3, first 2 shown]
	s_nop 6
	ds_read2_b64 v[122:125], v26 offset0:200 offset1:204
	s_waitcnt lgkmcnt(0)
	v_mfma_f32_16x16x16_f16 v[118:121], v[122:123], v[6:7], v[118:121]
	v_mfma_f32_16x16x16_f16 v[118:121], v[124:125], v[8:9], v[118:121]
	ds_read2_b64 v[122:125], v26 offset0:208 offset1:212
	v_mfma_f32_16x16x16_f16 v[110:113], v[36:37], v[104:105], v[110:113]
	ds_read_b64 v[36:37], v22 offset:7872
	v_add_u32_e32 v22, 0x3c00, v101
	s_waitcnt lgkmcnt(0)
	v_mfma_f32_16x16x16_f16 v[118:121], v[122:123], v[2:3], v[118:121]
	s_barrier
	v_mfma_f32_16x16x16_f16 v[118:121], v[124:125], v[4:5], v[118:121]
	v_mfma_f32_16x16x16_f16 v[118:121], v[36:37], v[104:105], v[118:121]
	ds_read2_b32 v[36:37], v22 offset1:1
	s_waitcnt lgkmcnt(0)
	v_cvt_f32_f16_sdwa v26, v36 dst_sel:DWORD dst_unused:UNUSED_PAD src0_sel:WORD_1
	v_cvt_f32_f16_e32 v22, v36
	v_cvt_f32_f16_sdwa v36, v37 dst_sel:DWORD dst_unused:UNUSED_PAD src0_sel:WORD_1
	v_add_f32_e32 v29, v111, v26
	v_cvt_f32_f16_e32 v26, v37
	v_add_f32_e32 v22, v110, v22
	ds_read_b32 v110, v136 offset:15360
	v_add_f32_e32 v36, v113, v36
	v_add_f32_e32 v33, v112, v26
	ds_read_b32 v26, v135 offset:15360
	v_add_f32_e32 v113, 0x40051340, v29
	s_waitcnt lgkmcnt(1)
	v_cvt_f32_f16_e32 v111, v110
	v_cvt_f32_f16_sdwa v110, v110 dst_sel:DWORD dst_unused:UNUSED_PAD src0_sel:WORD_1
	v_add_f32_e32 v114, 0x40051340, v36
	s_waitcnt lgkmcnt(0)
	v_cvt_f32_f16_e32 v37, v26
	v_cvt_f32_f16_sdwa v26, v26 dst_sel:DWORD dst_unused:UNUSED_PAD src0_sel:WORD_1
	v_add_f32_e32 v112, v121, v110
	v_add_f32_e32 v110, 0x40051340, v22
	;; [unrolled: 1-line block ×4, first 2 shown]
	v_max3_f32 v110, v25, v110, v113
	v_add_f32_e32 v113, 0x40051340, v33
	v_add_f32_e32 v111, v120, v111
	v_max3_f32 v110, v110, v113, v114
	v_add_f32_e32 v113, 0x40051340, v37
	v_add_f32_e32 v114, 0x40051340, v26
	;; [unrolled: 3-line block ×3, first 2 shown]
	v_max3_f32 v110, v110, v113, v114
	ds_bpermute_b32 v113, v116, v110
	s_waitcnt lgkmcnt(0)
	v_max_f32_e32 v113, v113, v113
	v_max_f32_e32 v110, v110, v113
	ds_bpermute_b32 v113, v117, v110
	s_and_saveexec_b64 s[12:13], s[4:5]
	s_cbranch_execz .LBB19_51
; %bb.50:                               ;   in Loop: Header=BB19_47 Depth=2
	v_lshl_add_u64 v[114:115], v[64:65], 2, s[96:97]
	v_lshlrev_b32_e32 v118, 2, v46
	v_mov_b32_e32 v119, v49
	v_lshl_add_u64 v[114:115], v[114:115], 0, v[118:119]
	global_load_dwordx4 v[118:121], v[114:115], off offset:192
	s_waitcnt vmcnt(0)
	ds_write_b128 v99, v[118:121]
.LBB19_51:                              ;   in Loop: Header=BB19_47 Depth=2
	s_or_b64 exec, exec, s[12:13]
	s_waitcnt lgkmcnt(0)
	v_max_f32_e32 v113, v113, v113
	v_max_f32_e32 v110, v110, v110
	;; [unrolled: 1-line block ×3, first 2 shown]
	v_sub_f32_e32 v22, v22, v114
	v_mul_f32_e32 v110, 0x3fb8aa3b, v22
	v_fma_f32 v113, v22, s29, -v110
	v_rndne_f32_e32 v115, v110
	v_fmac_f32_e32 v113, 0x32a5705f, v22
	v_sub_f32_e32 v110, v110, v115
	v_add_f32_e32 v110, v110, v113
	v_exp_f32_e32 v110, v110
	v_cvt_i32_f32_e32 v113, v115
	v_cmp_ngt_f32_e64 s[12:13], s26, v22
	v_sub_f32_e32 v29, v29, v114
	v_sub_f32_e32 v33, v33, v114
	v_ldexp_f32 v110, v110, v113
	v_cndmask_b32_e64 v110, 0, v110, s[12:13]
	v_cmp_nlt_f32_e64 s[12:13], s55, v22
	v_sub_f32_e32 v36, v36, v114
	v_sub_f32_e32 v37, v37, v114
	v_cndmask_b32_e64 v22, v187, v110, s[12:13]
	v_mul_f32_e32 v110, 0x3fb8aa3b, v29
	v_fma_f32 v113, v29, s29, -v110
	v_rndne_f32_e32 v115, v110
	v_fmac_f32_e32 v113, 0x32a5705f, v29
	v_sub_f32_e32 v110, v110, v115
	v_add_f32_e32 v110, v110, v113
	v_exp_f32_e32 v110, v110
	v_cvt_i32_f32_e32 v113, v115
	v_cmp_ngt_f32_e64 s[12:13], s26, v29
	v_sub_f32_e32 v26, v26, v114
	v_sub_f32_e32 v111, v111, v114
	v_ldexp_f32 v110, v110, v113
	v_mul_f32_e32 v113, 0x3fb8aa3b, v33
	v_fma_f32 v115, v33, s29, -v113
	v_rndne_f32_e32 v118, v113
	v_fmac_f32_e32 v115, 0x32a5705f, v33
	v_sub_f32_e32 v113, v113, v118
	v_add_f32_e32 v113, v113, v115
	v_exp_f32_e32 v113, v113
	v_cvt_i32_f32_e32 v115, v118
	v_cndmask_b32_e64 v110, 0, v110, s[12:13]
	v_cmp_nlt_f32_e64 s[12:13], s55, v29
	v_sub_f32_e32 v112, v112, v114
	v_ldexp_f32 v113, v113, v115
	v_cndmask_b32_e64 v29, v187, v110, s[12:13]
	v_cmp_ngt_f32_e64 s[12:13], s26, v33
	v_add_f32_e32 v110, v22, v29
	v_sub_f32_e32 v25, v25, v114
	v_cndmask_b32_e64 v113, 0, v113, s[12:13]
	v_cmp_nlt_f32_e64 s[12:13], s55, v33
	s_add_i32 s60, s60, 1
	s_add_i32 s14, s14, 64
	v_cndmask_b32_e64 v33, v187, v113, s[12:13]
	v_mul_f32_e32 v113, 0x3fb8aa3b, v36
	v_fma_f32 v115, v36, s29, -v113
	v_rndne_f32_e32 v118, v113
	v_fmac_f32_e32 v115, 0x32a5705f, v36
	v_sub_f32_e32 v113, v113, v118
	v_add_f32_e32 v113, v113, v115
	v_exp_f32_e32 v113, v113
	v_cvt_i32_f32_e32 v115, v118
	v_cmp_ngt_f32_e64 s[12:13], s26, v36
	v_add_f32_e32 v110, v33, v110
	s_cmp_lt_i32 s60, s61
	v_ldexp_f32 v113, v113, v115
	v_cndmask_b32_e64 v113, 0, v113, s[12:13]
	v_cmp_nlt_f32_e64 s[12:13], s55, v36
	s_nop 1
	v_cndmask_b32_e64 v36, v187, v113, s[12:13]
	v_mul_f32_e32 v113, 0x3fb8aa3b, v37
	v_fma_f32 v115, v37, s29, -v113
	v_rndne_f32_e32 v118, v113
	v_fmac_f32_e32 v115, 0x32a5705f, v37
	v_sub_f32_e32 v113, v113, v118
	v_add_f32_e32 v113, v113, v115
	v_exp_f32_e32 v113, v113
	v_cvt_i32_f32_e32 v115, v118
	v_cmp_ngt_f32_e64 s[12:13], s26, v37
	v_add_f32_e32 v110, v36, v110
	v_ldexp_f32 v113, v113, v115
	v_cndmask_b32_e64 v113, 0, v113, s[12:13]
	v_cmp_nlt_f32_e64 s[12:13], s55, v37
	s_nop 1
	v_cndmask_b32_e64 v37, v187, v113, s[12:13]
	v_add_f32_e32 v113, v37, v110
	v_mul_f32_e32 v110, 0x3fb8aa3b, v26
	v_fma_f32 v115, v26, s29, -v110
	v_rndne_f32_e32 v118, v110
	v_fmac_f32_e32 v115, 0x32a5705f, v26
	v_sub_f32_e32 v110, v110, v118
	v_add_f32_e32 v110, v110, v115
	v_exp_f32_e32 v110, v110
	v_cvt_i32_f32_e32 v115, v118
	v_cmp_ngt_f32_e64 s[12:13], s26, v26
	v_ldexp_f32 v110, v110, v115
	s_nop 0
	v_cndmask_b32_e64 v110, 0, v110, s[12:13]
	v_cmp_nlt_f32_e64 s[12:13], s55, v26
	s_nop 1
	v_cndmask_b32_e64 v110, v187, v110, s[12:13]
	v_add_f32_e32 v26, v110, v113
	v_mul_f32_e32 v113, 0x3fb8aa3b, v111
	v_fma_f32 v115, v111, s29, -v113
	v_rndne_f32_e32 v118, v113
	v_fmac_f32_e32 v115, 0x32a5705f, v111
	v_sub_f32_e32 v113, v113, v118
	v_add_f32_e32 v113, v113, v115
	v_exp_f32_e32 v113, v113
	v_cvt_i32_f32_e32 v115, v118
	v_cmp_ngt_f32_e64 s[12:13], s26, v111
	v_cvt_pk_f16_f32 v110, v37, v110
	v_ldexp_f32 v113, v113, v115
	v_cndmask_b32_e64 v113, 0, v113, s[12:13]
	v_cmp_nlt_f32_e64 s[12:13], s55, v111
	s_nop 1
	v_cndmask_b32_e64 v111, v187, v113, s[12:13]
	v_mul_f32_e32 v113, 0x3fb8aa3b, v112
	v_fma_f32 v115, v112, s29, -v113
	v_rndne_f32_e32 v118, v113
	v_fmac_f32_e32 v115, 0x32a5705f, v112
	v_sub_f32_e32 v113, v113, v118
	v_add_f32_e32 v113, v113, v115
	v_exp_f32_e32 v113, v113
	v_cvt_i32_f32_e32 v115, v118
	v_cmp_ngt_f32_e64 s[12:13], s26, v112
	v_add_f32_e32 v26, v111, v26
	v_ldexp_f32 v113, v113, v115
	v_cndmask_b32_e64 v113, 0, v113, s[12:13]
	v_cmp_nlt_f32_e64 s[12:13], s55, v112
	s_nop 1
	v_cndmask_b32_e64 v120, v187, v113, s[12:13]
	v_add_f32_e32 v115, v120, v26
	v_mul_f32_e32 v26, 0x3fb8aa3b, v25
	v_fma_f32 v112, v25, s29, -v26
	v_rndne_f32_e32 v113, v26
	v_fmac_f32_e32 v112, 0x32a5705f, v25
	v_sub_f32_e32 v26, v26, v113
	v_add_f32_e32 v26, v26, v112
	v_exp_f32_e32 v26, v26
	v_cvt_i32_f32_e32 v112, v113
	v_cmp_ngt_f32_e64 s[12:13], s26, v25
	v_cvt_pk_f16_f32 v113, v33, v36
	v_cvt_pk_f16_f32 v111, v111, v120
	v_ldexp_f32 v26, v26, v112
	v_cndmask_b32_e64 v26, 0, v26, s[12:13]
	v_cmp_nlt_f32_e64 s[12:13], s55, v25
	s_nop 1
	v_cndmask_b32_e64 v26, v187, v26, s[12:13]
	v_cmp_le_f32_e64 s[12:13], s16, v25
	s_nop 1
	v_cndmask_b32_e64 v25, 0, v26, s[12:13]
	v_fmac_f32_e32 v115, v23, v25
	v_cvt_f16_f32_e32 v23, v25
	v_mul_u32_u24_e32 v112, 0x10001, v23
	v_pk_mul_f16 v119, v17, v112
	v_pk_mul_f16 v118, v16, v112
	v_lshl_add_u64 v[16:17], v[70:71], 2, s[96:97]
	v_lshl_add_u64 v[16:17], v[16:17], 0, v[48:49]
	global_load_dwordx4 v[122:125], v[16:17], off offset:128
	v_lshl_add_u64 v[16:17], v[68:69], 2, s[96:97]
	v_lshl_add_u64 v[16:17], v[16:17], 0, v[14:15]
	v_pk_mul_f16 v21, v21, v112
	v_pk_mul_f16 v20, v20, v112
	;; [unrolled: 1-line block ×12, first 2 shown]
	v_cvt_pk_f16_f32 v112, v22, v29
	v_cvt_f32_f16_e32 v120, v19
	v_cvt_f32_f16_sdwa v121, v19 dst_sel:DWORD dst_unused:UNUSED_PAD src0_sel:WORD_1
	s_waitcnt vmcnt(0)
	ds_write_b128 v97, v[122:125]
	global_load_dwordx4 v[122:125], v[16:17], off
	v_lshl_add_u64 v[16:17], v[66:67], 2, s[96:97]
	v_lshl_add_u64 v[14:15], v[16:17], 0, v[14:15]
	global_load_dwordx4 v[14:17], v[14:15], off
	s_waitcnt vmcnt(1)
	ds_write_b128 v132, v[122:125]
	v_cvt_f32_f16_e32 v122, v18
	v_cvt_f32_f16_sdwa v123, v18 dst_sel:DWORD dst_unused:UNUSED_PAD src0_sel:WORD_1
	s_waitcnt vmcnt(0)
	ds_write_b128 v179, v[14:17]
	s_waitcnt lgkmcnt(0)
	s_barrier
	ds_read_u16 v24, v128 offset:240
	v_cvt_f32_f16_e32 v14, v21
	v_cvt_f32_f16_sdwa v15, v21 dst_sel:DWORD dst_unused:UNUSED_PAD src0_sel:WORD_1
	v_cvt_f32_f16_e32 v16, v20
	v_cvt_f32_f16_sdwa v17, v20 dst_sel:DWORD dst_unused:UNUSED_PAD src0_sel:WORD_1
	ds_read_u16 v20, v129
	ds_read_u16 v27, v129 offset:32
	ds_read_u16 v21, v130
	ds_read_u16 v32, v130 offset:32
	s_waitcnt lgkmcnt(1)
	v_perm_b32 v21, v21, v20, s17
	ds_read_u16 v20, v128
	ds_read_u16 v48, v128 offset:32
	s_waitcnt lgkmcnt(2)
	v_perm_b32 v19, v32, v27, s17
	s_waitcnt lgkmcnt(1)
	v_perm_b32 v20, v24, v20, s17
	s_nop 1
	v_mfma_f32_16x16x16_f16 v[14:17], v[20:21], v[112:113], v[14:17]
	ds_read_u16 v20, v128 offset:7680
	ds_read_u16 v22, v128 offset:7920
	;; [unrolled: 1-line block ×4, first 2 shown]
	s_nop 3
	v_cvt_f16_f32_e32 v14, v14
	v_cvt_f16_f32_e32 v15, v15
	;; [unrolled: 1-line block ×4, first 2 shown]
	s_waitcnt lgkmcnt(0)
	v_perm_b32 v21, v24, v21, s17
	v_perm_b32 v20, v22, v20, s17
	v_cvt_f32_f16_e32 v14, v14
	v_cvt_f32_f16_e32 v15, v15
	;; [unrolled: 1-line block ×4, first 2 shown]
	s_nop 1
	v_mfma_f32_16x16x16_f16 v[14:17], v[20:21], v[110:111], v[14:17]
	ds_read_u16 v20, v128 offset:272
	ds_read_u16 v22, v128 offset:7712
	;; [unrolled: 1-line block ×5, first 2 shown]
	s_waitcnt lgkmcnt(2)
	v_perm_b32 v32, v24, v22, s17
	v_perm_b32 v18, v20, v48, s17
	s_waitcnt lgkmcnt(0)
	v_perm_b32 v33, v29, v27, s17
	ds_read_u16 v22, v128 offset:64
	ds_read_u16 v24, v128 offset:304
	;; [unrolled: 1-line block ×4, first 2 shown]
	v_mfma_f32_16x16x16_f16 v[18:21], v[18:19], v[112:113], v[120:123]
	s_waitcnt lgkmcnt(2)
	v_perm_b32 v22, v24, v22, s17
	s_nop 0
	v_cvt_f32_f16_e32 v122, v23
	v_cvt_f32_f16_sdwa v123, v23 dst_sel:DWORD dst_unused:UNUSED_PAD src0_sel:WORD_1
	s_nop 2
	v_cvt_f16_f32_e32 v18, v18
	v_cvt_f16_f32_e32 v19, v19
	;; [unrolled: 1-line block ×4, first 2 shown]
	s_waitcnt lgkmcnt(0)
	v_perm_b32 v23, v29, v27, s17
	v_cvt_f32_f16_e32 v120, v25
	v_cvt_f32_f16_sdwa v121, v25 dst_sel:DWORD dst_unused:UNUSED_PAD src0_sel:WORD_1
	v_cvt_f32_f16_e32 v18, v18
	v_cvt_f32_f16_e32 v19, v19
	;; [unrolled: 1-line block ×4, first 2 shown]
	v_mfma_f32_16x16x16_f16 v[22:25], v[22:23], v[112:113], v[120:123]
	s_nop 0
	v_mfma_f32_16x16x16_f16 v[18:21], v[32:33], v[110:111], v[18:21]
	ds_read_u16 v27, v128 offset:7744
	ds_read_u16 v29, v128 offset:7984
	;; [unrolled: 1-line block ×4, first 2 shown]
	s_nop 1
	v_cvt_f16_f32_e32 v22, v22
	v_cvt_f16_f32_e32 v23, v23
	;; [unrolled: 1-line block ×4, first 2 shown]
	s_waitcnt lgkmcnt(0)
	v_perm_b32 v33, v33, v32, s17
	v_perm_b32 v32, v29, v27, s17
	v_cvt_f32_f16_e32 v22, v22
	v_cvt_f32_f16_e32 v23, v23
	;; [unrolled: 1-line block ×5, first 2 shown]
	v_cvt_f32_f16_sdwa v123, v26 dst_sel:DWORD dst_unused:UNUSED_PAD src0_sel:WORD_1
	v_mfma_f32_16x16x16_f16 v[22:25], v[32:33], v[110:111], v[22:25]
	ds_read_u16 v29, v128 offset:96
	ds_read_u16 v32, v128 offset:336
	;; [unrolled: 1-line block ×4, first 2 shown]
	v_cvt_f32_f16_e32 v120, v28
	v_cvt_f32_f16_sdwa v121, v28 dst_sel:DWORD dst_unused:UNUSED_PAD src0_sel:WORD_1
	s_waitcnt lgkmcnt(2)
	v_perm_b32 v26, v32, v29, s17
	v_cvt_pk_f16_f32 v24, v24, v25
	s_waitcnt lgkmcnt(0)
	v_perm_b32 v27, v33, v27, s17
	ds_read_u16 v32, v128 offset:7776
	ds_read_u16 v36, v128 offset:8016
	;; [unrolled: 1-line block ×4, first 2 shown]
	v_mfma_f32_16x16x16_f16 v[26:29], v[26:27], v[112:113], v[120:123]
	s_waitcnt lgkmcnt(0)
	v_perm_b32 v33, v37, v33, s17
	v_perm_b32 v32, v36, v32, s17
	v_cvt_f32_f16_e32 v120, v31
	s_nop 3
	v_cvt_f16_f32_e32 v26, v26
	v_cvt_f16_f32_e32 v27, v27
	;; [unrolled: 1-line block ×4, first 2 shown]
	v_cvt_f32_f16_e32 v26, v26
	v_cvt_f32_f16_e32 v27, v27
	;; [unrolled: 1-line block ×4, first 2 shown]
	v_cvt_f32_f16_sdwa v121, v31 dst_sel:DWORD dst_unused:UNUSED_PAD src0_sel:WORD_1
	v_cvt_f32_f16_e32 v122, v30
	v_mfma_f32_16x16x16_f16 v[26:29], v[32:33], v[110:111], v[26:29]
	ds_read_u16 v32, v128 offset:128
	ds_read_u16 v33, v128 offset:368
	;; [unrolled: 1-line block ×4, first 2 shown]
	v_cvt_f32_f16_sdwa v123, v30 dst_sel:DWORD dst_unused:UNUSED_PAD src0_sel:WORD_1
	v_cvt_pk_f16_f32 v19, v18, v19
	s_waitcnt lgkmcnt(2)
	v_perm_b32 v30, v33, v32, s17
	v_cvt_pk_f16_f32 v18, v20, v21
	s_waitcnt lgkmcnt(0)
	v_perm_b32 v31, v37, v36, s17
	v_cvt_pk_f16_f32 v21, v14, v15
	v_cvt_pk_f16_f32 v20, v16, v17
	v_mfma_f32_16x16x16_f16 v[30:33], v[30:31], v[112:113], v[120:123]
	ds_read_u16 v36, v128 offset:7808
	ds_read_u16 v48, v128 offset:8048
	;; [unrolled: 1-line block ×4, first 2 shown]
	v_cvt_f32_f16_sdwa v121, v35 dst_sel:DWORD dst_unused:UNUSED_PAD src0_sel:WORD_1
	v_cvt_f32_f16_e32 v122, v34
	s_nop 1
	v_cvt_f16_f32_e32 v30, v30
	v_cvt_f16_f32_e32 v31, v31
	;; [unrolled: 1-line block ×4, first 2 shown]
	s_waitcnt lgkmcnt(0)
	v_perm_b32 v37, v120, v37, s17
	v_perm_b32 v36, v48, v36, s17
	v_cvt_f32_f16_e32 v30, v30
	v_cvt_f32_f16_e32 v31, v31
	;; [unrolled: 1-line block ×5, first 2 shown]
	v_cvt_f32_f16_sdwa v123, v34 dst_sel:DWORD dst_unused:UNUSED_PAD src0_sel:WORD_1
	v_mfma_f32_16x16x16_f16 v[30:33], v[36:37], v[110:111], v[30:33]
	ds_read_u16 v36, v128 offset:160
	ds_read_u16 v37, v128 offset:400
	;; [unrolled: 1-line block ×4, first 2 shown]
	s_waitcnt lgkmcnt(2)
	v_perm_b32 v34, v37, v36, s17
	s_nop 1
	v_cvt_pk_f16_f32 v31, v30, v31
	s_waitcnt lgkmcnt(0)
	v_perm_b32 v35, v124, v48, s17
	v_cvt_pk_f16_f32 v30, v32, v33
	v_cvt_pk_f16_f32 v32, v26, v27
	v_mfma_f32_16x16x16_f16 v[34:37], v[34:35], v[112:113], v[120:123]
	ds_read_u16 v48, v128 offset:7840
	s_nop 1
	ds_read_u16 v120, v128 offset:8080
	ds_read_u16 v121, v129 offset:7840
	;; [unrolled: 1-line block ×3, first 2 shown]
	v_cvt_f32_f16_sdwa v123, v118 dst_sel:DWORD dst_unused:UNUSED_PAD src0_sel:WORD_1
	v_cvt_pk_f16_f32 v27, v28, v29
	v_cvt_f16_f32_e32 v34, v34
	v_cvt_f16_f32_e32 v35, v35
	v_cvt_f16_f32_e32 v36, v36
	v_cvt_f16_f32_e32 v37, v37
	s_waitcnt lgkmcnt(0)
	v_perm_b32 v121, v122, v121, s17
	v_perm_b32 v120, v120, v48, s17
	ds_read_u16 v48, v128 offset:192
	ds_read_u16 v124, v128 offset:432
	;; [unrolled: 1-line block ×4, first 2 shown]
	v_cvt_f32_f16_e32 v34, v34
	v_cvt_f32_f16_e32 v35, v35
	;; [unrolled: 1-line block ×5, first 2 shown]
	s_waitcnt lgkmcnt(2)
	v_perm_b32 v118, v124, v48, s17
	v_mfma_f32_16x16x16_f16 v[34:37], v[120:121], v[110:111], v[34:37]
	v_cvt_f32_f16_e32 v120, v119
	v_cvt_f32_f16_sdwa v121, v119 dst_sel:DWORD dst_unused:UNUSED_PAD src0_sel:WORD_1
	s_waitcnt lgkmcnt(0)
	v_perm_b32 v119, v126, v125, s17
	v_cvt_pk_f16_f32 v28, v22, v23
	s_nop 2
	v_cvt_pk_f16_f32 v35, v34, v35
	v_mfma_f32_16x16x16_f16 v[118:121], v[118:119], v[112:113], v[120:123]
	v_cvt_pk_f16_f32 v34, v36, v37
	s_nop 6
	v_cvt_f16_f32_e32 v112, v118
	v_cvt_f16_f32_e32 v113, v119
	;; [unrolled: 1-line block ×4, first 2 shown]
	ds_read_u16 v48, v128 offset:7872
	ds_read_u16 v120, v128 offset:8112
	;; [unrolled: 1-line block ×4, first 2 shown]
	v_cvt_f32_f16_e32 v122, v112
	v_cvt_f32_f16_e32 v123, v113
	s_waitcnt lgkmcnt(2)
	v_perm_b32 v112, v120, v48, s17
	v_cvt_f32_f16_e32 v124, v118
	s_waitcnt lgkmcnt(0)
	v_perm_b32 v113, v126, v121, s17
	v_cvt_f32_f16_e32 v125, v119
	s_barrier
	s_nop 0
	v_mfma_f32_16x16x16_f16 v[110:113], v[112:113], v[110:111], v[122:125]
	s_nop 7
	v_cvt_pk_f16_f32 v17, v110, v111
	v_cvt_pk_f16_f32 v16, v112, v113
	s_cbranch_scc0 .LBB19_55
; %bb.52:                               ;   in Loop: Header=BB19_47 Depth=2
	v_mov_b32_e32 v23, v115
	v_mov_b32_e32 v25, v114
	s_branch .LBB19_47
.LBB19_53:                              ;   in Loop: Header=BB19_14 Depth=1
	s_movk_i32 s64, 0x47
	s_cbranch_execz .LBB19_13
	s_branch .LBB19_134
.LBB19_54:                              ;   in Loop: Header=BB19_14 Depth=1
	v_mov_b32_e32 v114, 0xfeffffff
	v_mov_b32_e32 v115, 0
	;; [unrolled: 1-line block ×16, first 2 shown]
.LBB19_55:                              ;   in Loop: Header=BB19_14 Depth=1
	s_lshl_b32 s14, s60, 6
	s_ashr_i32 s15, s14, 31
	s_lshl_b64 s[12:13], s[14:15], 1
	s_add_u32 s12, s82, s12
	s_addc_u32 s13, s83, s13
	v_lshl_add_u64 v[14:15], v[106:107], 1, s[12:13]
	v_lshlrev_b32_e32 v48, 1, v42
	v_lshl_add_u64 v[14:15], v[14:15], 0, v[48:49]
	global_load_dword v14, v[14:15], off
	s_mul_hi_i32 s13, s22, s14
	s_mul_i32 s12, s22, s14
	s_lshl_b64 s[12:13], s[12:13], 2
	s_add_u32 s12, s6, s12
	s_addc_u32 s13, s33, s13
	s_waitcnt vmcnt(0)
	ds_write_b32 v47, v14 offset:15360
	s_and_saveexec_b64 s[96:97], s[4:5]
	s_cbranch_execz .LBB19_57
; %bb.56:                               ;   in Loop: Header=BB19_14 Depth=1
	v_lshl_add_u64 v[14:15], v[62:63], 2, s[12:13]
	v_lshlrev_b32_e32 v48, 2, v46
	v_lshl_add_u64 v[14:15], v[14:15], 0, v[48:49]
	global_load_dwordx4 v[106:109], v[14:15], off offset:192
	s_waitcnt vmcnt(0)
	ds_write_b128 v99, v[106:109]
.LBB19_57:                              ;   in Loop: Header=BB19_14 Depth=1
	s_or_b64 exec, exec, s[96:97]
	v_lshl_add_u64 v[14:15], v[52:53], 2, s[12:13]
	v_lshlrev_b32_e32 v48, 2, v44
	v_lshl_add_u64 v[22:23], v[14:15], 0, v[48:49]
	v_lshlrev_b32_e32 v14, 2, v60
	v_mov_b32_e32 v15, v49
	v_lshl_add_u64 v[106:107], v[56:57], 2, s[12:13]
	v_lshl_add_u64 v[110:111], v[106:107], 0, v[14:15]
	global_load_dwordx4 v[106:109], v[22:23], off offset:128
	v_lshl_add_u64 v[36:37], v[54:55], 2, s[12:13]
	v_lshl_add_u64 v[36:37], v[36:37], 0, v[14:15]
	v_add_u32_e32 v25, v180, v134
	s_waitcnt vmcnt(0)
	ds_write_b128 v97, v[106:109]
	global_load_dwordx4 v[106:109], v[36:37], off
	s_waitcnt vmcnt(0)
	ds_write_b128 v132, v[106:109]
	global_load_dwordx4 v[106:109], v[110:111], off
	s_waitcnt vmcnt(0)
	ds_write_b128 v179, v[106:109]
	s_waitcnt lgkmcnt(0)
	s_barrier
	ds_read2_b64 v[106:109], v25 offset1:4
	s_waitcnt lgkmcnt(0)
	v_mfma_f32_16x16x16_f16 v[110:113], v[106:107], v[10:11], 0
	ds_read_b64 v[22:23], v25 offset:192
	v_mfma_f32_16x16x16_f16 v[106:109], v[108:109], v[12:13], v[110:113]
	s_nop 5
	ds_read2_b64 v[110:113], v25 offset0:8 offset1:12
	s_waitcnt lgkmcnt(0)
	v_mfma_f32_16x16x16_f16 v[106:109], v[110:111], v[6:7], v[106:109]
	v_mfma_f32_16x16x16_f16 v[106:109], v[112:113], v[8:9], v[106:109]
	ds_read2_b64 v[110:113], v25 offset0:16 offset1:20
	s_waitcnt lgkmcnt(0)
	v_mfma_f32_16x16x16_f16 v[106:109], v[110:111], v[2:3], v[106:109]
	v_mfma_f32_16x16x16_f16 v[106:109], v[112:113], v[4:5], v[106:109]
	;; [unrolled: 1-line block ×3, first 2 shown]
	v_add_u32_e32 v22, 0x1800, v25
	ds_read2_b64 v[110:113], v22 offset0:192 offset1:196
	s_waitcnt lgkmcnt(0)
	v_mfma_f32_16x16x16_f16 v[116:119], v[110:111], v[10:11], 0
	v_mfma_f32_16x16x16_f16 v[10:13], v[112:113], v[12:13], v[116:119]
	ds_read2_b64 v[110:113], v22 offset0:200 offset1:204
	s_waitcnt lgkmcnt(0)
	v_mfma_f32_16x16x16_f16 v[10:13], v[110:111], v[6:7], v[10:13]
	v_mfma_f32_16x16x16_f16 v[6:9], v[112:113], v[8:9], v[10:13]
	s_nop 6
	ds_read2_b64 v[10:13], v22 offset0:208 offset1:212
	s_waitcnt lgkmcnt(0)
	v_mfma_f32_16x16x16_f16 v[6:9], v[10:11], v[2:3], v[6:9]
	v_mfma_f32_16x16x16_f16 v[2:5], v[12:13], v[4:5], v[6:9]
	s_nop 6
	ds_read_b64 v[6:7], v25 offset:7872
	s_waitcnt lgkmcnt(0)
	v_mfma_f32_16x16x16_f16 v[10:13], v[6:7], v[104:105], v[2:5]
	s_nop 2
	v_add_u32_e32 v2, 0x3c00, v101
	s_barrier
	ds_read2_b32 v[2:3], v2 offset1:1
	s_waitcnt lgkmcnt(0)
	v_cvt_f32_f16_e32 v4, v2
	v_cvt_f32_f16_sdwa v2, v2 dst_sel:DWORD dst_unused:UNUSED_PAD src0_sel:WORD_1
	v_add_f32_e32 v9, v106, v4
	v_add_f32_e32 v8, v107, v2
	v_cvt_f32_f16_e32 v2, v3
	v_cvt_f32_f16_sdwa v3, v3 dst_sel:DWORD dst_unused:UNUSED_PAD src0_sel:WORD_1
	v_add_f32_e32 v7, v108, v2
	ds_read_b32 v2, v135 offset:15360
	v_add_f32_e32 v6, v109, v3
	s_waitcnt lgkmcnt(0)
	v_cvt_f32_f16_e32 v3, v2
	v_cvt_f32_f16_sdwa v2, v2 dst_sel:DWORD dst_unused:UNUSED_PAD src0_sel:WORD_1
	v_add_f32_e32 v5, v10, v3
	v_add_f32_e32 v4, v11, v2
	ds_read_b32 v2, v136 offset:15360
	v_add_f32_e32 v10, 0x40051340, v9
	v_add_f32_e32 v11, 0x40051340, v8
	v_max3_f32 v10, v114, v10, v11
	v_add_f32_e32 v11, 0x40051340, v7
	s_waitcnt lgkmcnt(0)
	v_cvt_f32_f16_e32 v3, v2
	v_cvt_f32_f16_sdwa v2, v2 dst_sel:DWORD dst_unused:UNUSED_PAD src0_sel:WORD_1
	v_add_f32_e32 v3, v12, v3
	v_add_f32_e32 v12, 0x40051340, v6
	;; [unrolled: 1-line block ×3, first 2 shown]
	v_max3_f32 v10, v10, v11, v12
	v_add_f32_e32 v11, 0x40051340, v5
	v_add_f32_e32 v12, 0x40051340, v4
	v_max3_f32 v10, v10, v11, v12
	v_add_f32_e32 v11, 0x40051340, v3
	v_add_f32_e32 v12, 0x40051340, v2
	v_max3_f32 v10, v10, v11, v12
	v_and_b32_e32 v11, 64, v186
	v_add_u32_e32 v11, 64, v11
	v_xor_b32_e32 v12, 32, v186
	v_cmp_lt_i32_e64 s[12:13], v12, v11
	s_nop 1
	v_cndmask_b32_e64 v12, v186, v12, s[12:13]
	v_lshlrev_b32_e32 v23, 2, v12
	ds_bpermute_b32 v12, v23, v10
	s_waitcnt lgkmcnt(0)
	v_max_f32_e32 v12, v12, v12
	v_max_f32_e32 v10, v10, v12
	v_xor_b32_e32 v12, 16, v186
	v_cmp_lt_i32_e64 s[12:13], v12, v11
	s_nop 1
	v_cndmask_b32_e64 v11, v186, v12, s[12:13]
	v_lshlrev_b32_e32 v26, 2, v11
	ds_bpermute_b32 v11, v26, v10
	s_mul_hi_i32 s13, s14, s18
	s_mul_i32 s12, s14, s18
	s_lshl_b64 s[12:13], s[12:13], 2
	s_add_u32 s14, s66, s12
	s_addc_u32 s15, s28, s13
	s_and_saveexec_b64 s[12:13], s[4:5]
	s_cbranch_execz .LBB19_59
; %bb.58:                               ;   in Loop: Header=BB19_14 Depth=1
	v_lshl_add_u64 v[12:13], v[64:65], 2, s[14:15]
	v_lshlrev_b32_e32 v36, 2, v46
	v_mov_b32_e32 v37, v49
	v_lshl_add_u64 v[12:13], v[12:13], 0, v[36:37]
	global_load_dwordx4 v[104:107], v[12:13], off offset:192
	s_waitcnt vmcnt(0)
	ds_write_b128 v99, v[104:107]
.LBB19_59:                              ;   in Loop: Header=BB19_14 Depth=1
	s_or_b64 exec, exec, s[12:13]
	s_waitcnt lgkmcnt(0)
	v_max_f32_e32 v11, v11, v11
	v_max_f32_e32 v10, v10, v10
	;; [unrolled: 1-line block ×3, first 2 shown]
	v_sub_f32_e32 v9, v9, v22
	v_mul_f32_e32 v10, 0x3fb8aa3b, v9
	v_fma_f32 v11, v9, s29, -v10
	v_rndne_f32_e32 v12, v10
	v_fmac_f32_e32 v11, 0x32a5705f, v9
	v_sub_f32_e32 v10, v10, v12
	v_add_f32_e32 v10, v10, v11
	v_exp_f32_e32 v10, v10
	v_cvt_i32_f32_e32 v11, v12
	v_sub_f32_e32 v8, v8, v22
	v_cmp_ngt_f32_e64 s[12:13], s26, v9
	v_sub_f32_e32 v7, v7, v22
	v_ldexp_f32 v10, v10, v11
	v_mul_f32_e32 v11, 0x3fb8aa3b, v8
	v_fma_f32 v12, v8, s29, -v11
	v_rndne_f32_e32 v13, v11
	v_fmac_f32_e32 v12, 0x32a5705f, v8
	v_sub_f32_e32 v11, v11, v13
	v_add_f32_e32 v11, v11, v12
	v_exp_f32_e32 v11, v11
	v_cvt_i32_f32_e32 v12, v13
	v_cndmask_b32_e64 v10, 0, v10, s[12:13]
	v_cmp_nlt_f32_e64 s[12:13], s55, v9
	v_sub_f32_e32 v6, v6, v22
	v_ldexp_f32 v9, v11, v12
	v_cndmask_b32_e64 v33, v187, v10, s[12:13]
	v_mul_f32_e32 v10, 0x3fb8aa3b, v7
	v_fma_f32 v11, v7, s29, -v10
	v_rndne_f32_e32 v12, v10
	v_fmac_f32_e32 v11, 0x32a5705f, v7
	v_sub_f32_e32 v10, v10, v12
	v_add_f32_e32 v10, v10, v11
	v_exp_f32_e32 v10, v10
	v_cvt_i32_f32_e32 v11, v12
	v_cmp_ngt_f32_e64 s[12:13], s26, v8
	v_sub_f32_e32 v5, v5, v22
	v_lshl_add_u64 v[36:37], v[66:67], 2, s[14:15]
	v_cndmask_b32_e64 v9, 0, v9, s[12:13]
	v_cmp_nlt_f32_e64 s[12:13], s55, v8
	v_sub_f32_e32 v4, v4, v22
	v_sub_f32_e32 v3, v3, v22
	v_cndmask_b32_e64 v108, v187, v9, s[12:13]
	v_ldexp_f32 v9, v10, v11
	v_mul_f32_e32 v10, 0x3fb8aa3b, v6
	v_fma_f32 v11, v6, s29, -v10
	v_rndne_f32_e32 v12, v10
	v_fmac_f32_e32 v11, 0x32a5705f, v6
	v_sub_f32_e32 v10, v10, v12
	v_add_f32_e32 v10, v10, v11
	v_exp_f32_e32 v10, v10
	v_cvt_i32_f32_e32 v11, v12
	v_cmp_ngt_f32_e64 s[12:13], s26, v7
	v_add_f32_e32 v8, v33, v108
	v_sub_f32_e32 v2, v2, v22
	v_cndmask_b32_e64 v9, 0, v9, s[12:13]
	v_cmp_nlt_f32_e64 s[12:13], s55, v7
	s_cmp_lg_u64 s[80:81], 0
	s_nop 0
	v_cndmask_b32_e64 v25, v187, v9, s[12:13]
	v_mul_f32_e32 v9, 0x3fb8aa3b, v5
	v_add_f32_e32 v7, v25, v8
	v_ldexp_f32 v8, v10, v11
	v_fma_f32 v10, v5, s29, -v9
	v_rndne_f32_e32 v11, v9
	v_fmac_f32_e32 v10, 0x32a5705f, v5
	v_sub_f32_e32 v9, v9, v11
	v_add_f32_e32 v9, v9, v10
	v_cmp_ngt_f32_e64 s[12:13], s26, v6
	v_exp_f32_e32 v9, v9
	v_cvt_i32_f32_e32 v10, v11
	v_cndmask_b32_e64 v8, 0, v8, s[12:13]
	v_cmp_nlt_f32_e64 s[12:13], s55, v6
	v_ldexp_f32 v110, v9, v10
	s_nop 0
	v_cndmask_b32_e64 v109, v187, v8, s[12:13]
	v_add_f32_e32 v29, v109, v7
	v_lshl_add_u64 v[6:7], v[70:71], 2, s[14:15]
	v_lshl_add_u64 v[6:7], v[6:7], 0, v[48:49]
	;; [unrolled: 1-line block ×3, first 2 shown]
	global_load_dwordx4 v[6:9], v[6:7], off offset:128
	v_lshl_add_u64 v[10:11], v[10:11], 0, v[14:15]
	global_load_dwordx4 v[10:13], v[10:11], off
	v_lshl_add_u64 v[14:15], v[36:37], 0, v[14:15]
	global_load_dwordx4 v[104:107], v[14:15], off
	v_mul_f32_e32 v15, 0x3fb8aa3b, v4
	v_fma_f32 v36, v4, s29, -v15
	v_rndne_f32_e32 v37, v15
	v_fmac_f32_e32 v36, 0x32a5705f, v4
	v_sub_f32_e32 v15, v15, v37
	v_add_f32_e32 v15, v15, v36
	v_exp_f32_e32 v15, v15
	v_cvt_i32_f32_e32 v36, v37
	v_cmp_ngt_f32_e64 s[12:13], s26, v5
	v_cvt_pk_f16_f32 v25, v25, v109
	s_waitcnt vmcnt(2)
	ds_write_b128 v97, v[6:9]
	s_waitcnt vmcnt(1)
	ds_write_b128 v132, v[10:13]
	;; [unrolled: 2-line block ×3, first 2 shown]
	v_cndmask_b32_e64 v14, 0, v110, s[12:13]
	v_cmp_nlt_f32_e64 s[12:13], s55, v5
	s_waitcnt lgkmcnt(0)
	s_barrier
	v_cndmask_b32_e64 v37, v187, v14, s[12:13]
	v_ldexp_f32 v14, v15, v36
	v_mul_f32_e32 v15, 0x3fb8aa3b, v3
	v_add_f32_e32 v5, v37, v29
	v_fma_f32 v29, v3, s29, -v15
	v_rndne_f32_e32 v36, v15
	v_fmac_f32_e32 v29, 0x32a5705f, v3
	v_sub_f32_e32 v15, v15, v36
	v_add_f32_e32 v15, v15, v29
	v_exp_f32_e32 v15, v15
	v_cvt_i32_f32_e32 v29, v36
	v_cmp_ngt_f32_e64 s[12:13], s26, v4
	ds_read_u16 v6, v128 offset:240
	s_nop 0
	v_cndmask_b32_e64 v14, 0, v14, s[12:13]
	v_cmp_nlt_f32_e64 s[12:13], s55, v4
	ds_read_u16 v7, v129
	ds_read_u16 v8, v130
	;; [unrolled: 1-line block ×3, first 2 shown]
	v_cndmask_b32_e64 v36, v187, v14, s[12:13]
	v_mul_f32_e32 v14, 0x3fb8aa3b, v2
	v_add_f32_e32 v4, v36, v5
	v_ldexp_f32 v5, v15, v29
	v_fma_f32 v15, v2, s29, -v14
	v_rndne_f32_e32 v29, v14
	v_fmac_f32_e32 v15, 0x32a5705f, v2
	v_sub_f32_e32 v14, v14, v29
	v_add_f32_e32 v14, v14, v15
	v_exp_f32_e32 v14, v14
	v_cvt_i32_f32_e32 v15, v29
	v_cmp_ngt_f32_e64 s[12:13], s26, v3
	s_waitcnt lgkmcnt(1)
	v_perm_b32 v7, v8, v7, s17
	s_waitcnt lgkmcnt(0)
	v_perm_b32 v6, v6, v9, s17
	v_cndmask_b32_e64 v5, 0, v5, s[12:13]
	v_cmp_nlt_f32_e64 s[12:13], s55, v3
	ds_read_u16 v9, v129 offset:32
	ds_read_u16 v10, v130 offset:32
	v_cndmask_b32_e64 v48, v187, v5, s[12:13]
	v_sub_f32_e32 v5, v114, v22
	v_add_f32_e32 v3, v48, v4
	v_ldexp_f32 v4, v14, v15
	v_mul_f32_e32 v14, 0x3fb8aa3b, v5
	v_fma_f32 v15, v5, s29, -v14
	v_rndne_f32_e32 v29, v14
	v_fmac_f32_e32 v15, 0x32a5705f, v5
	v_sub_f32_e32 v14, v14, v29
	v_add_f32_e32 v14, v14, v15
	v_exp_f32_e32 v14, v14
	v_cvt_i32_f32_e32 v15, v29
	v_cmp_ngt_f32_e64 s[12:13], s26, v2
	v_cmp_ngt_f32_e64 s[14:15], s26, v5
	s_nop 0
	v_cndmask_b32_e64 v4, 0, v4, s[12:13]
	v_cmp_nlt_f32_e64 s[12:13], s55, v2
	v_ldexp_f32 v2, v14, v15
	v_cndmask_b32_e64 v2, 0, v2, s[14:15]
	v_cmp_nlt_f32_e64 s[14:15], s55, v5
	v_cndmask_b32_e64 v110, v187, v4, s[12:13]
	v_add_f32_e32 v29, v110, v3
	v_cndmask_b32_e64 v2, v187, v2, s[14:15]
	v_cmp_le_f32_e64 s[14:15], s16, v5
	s_cselect_b64 s[12:13], -1, 0
	s_and_b64 s[12:13], s[0:1], s[12:13]
	v_cndmask_b32_e64 v2, 0, v2, s[14:15]
	v_cvt_f16_f32_e32 v5, v2
	v_fmac_f32_e32 v29, v115, v2
	ds_bpermute_b32 v23, v23, v29
	v_mul_u32_u24_e32 v111, 0x10001, v5
	v_pk_mul_f16 v3, v21, v111
	v_pk_mul_f16 v5, v20, v111
	v_cvt_f32_f16_e32 v2, v3
	v_cvt_f32_f16_sdwa v3, v3 dst_sel:DWORD dst_unused:UNUSED_PAD src0_sel:WORD_1
	v_cvt_f32_f16_e32 v4, v5
	v_cvt_f32_f16_sdwa v5, v5 dst_sel:DWORD dst_unused:UNUSED_PAD src0_sel:WORD_1
	v_pk_mul_f16 v112, v24, v111
	v_cvt_pk_f16_f32 v24, v33, v108
	v_pk_mul_f16 v19, v19, v111
	v_pk_mul_f16 v18, v18, v111
	v_mfma_f32_16x16x16_f16 v[2:5], v[6:7], v[24:25], v[2:5]
	ds_read_u16 v6, v128 offset:7680
	ds_read_u16 v7, v129 offset:7680
	ds_read_u16 v8, v130 offset:7680
	ds_read_u16 v11, v128 offset:7920
	ds_read_u16 v12, v128 offset:32
	ds_read_u16 v13, v128 offset:272
	s_nop 1
	v_cvt_f16_f32_e32 v2, v2
	v_cvt_f16_f32_e32 v3, v3
	;; [unrolled: 1-line block ×4, first 2 shown]
	s_waitcnt lgkmcnt(3)
	v_perm_b32 v7, v8, v7, s17
	s_waitcnt lgkmcnt(2)
	v_perm_b32 v6, v11, v6, s17
	v_cvt_f32_f16_e32 v2, v2
	v_cvt_f32_f16_e32 v3, v3
	;; [unrolled: 1-line block ×4, first 2 shown]
	v_cvt_pk_f16_f32 v21, v48, v110
	v_cvt_pk_f16_f32 v20, v37, v36
	v_perm_b32 v11, v10, v9, s17
	s_waitcnt lgkmcnt(0)
	v_perm_b32 v10, v13, v12, s17
	v_mfma_f32_16x16x16_f16 v[2:5], v[6:7], v[20:21], v[2:5]
	v_cvt_f32_f16_e32 v6, v19
	v_cvt_f32_f16_sdwa v7, v19 dst_sel:DWORD dst_unused:UNUSED_PAD src0_sel:WORD_1
	v_cvt_f32_f16_e32 v8, v18
	v_cvt_f32_f16_sdwa v9, v18 dst_sel:DWORD dst_unused:UNUSED_PAD src0_sel:WORD_1
	v_pk_mul_f16 v14, v27, v111
	v_pk_mul_f16 v48, v30, v111
	v_mfma_f32_16x16x16_f16 v[6:9], v[10:11], v[24:25], v[6:9]
	ds_read_u16 v10, v128 offset:7712
	ds_read_u16 v11, v129 offset:7712
	;; [unrolled: 1-line block ×4, first 2 shown]
	v_pk_mul_f16 v104, v17, v111
	v_pk_mul_f16 v30, v16, v111
	s_nop 1
	v_cvt_f16_f32_e32 v6, v6
	v_cvt_f16_f32_e32 v7, v7
	;; [unrolled: 1-line block ×4, first 2 shown]
	s_waitcnt lgkmcnt(0)
	v_perm_b32 v10, v13, v10, s17
	ds_read_u16 v13, v128 offset:64
	ds_read_u16 v16, v129 offset:64
	;; [unrolled: 1-line block ×4, first 2 shown]
	v_perm_b32 v11, v12, v11, s17
	v_cvt_f32_f16_e32 v6, v6
	v_cvt_f32_f16_e32 v7, v7
	;; [unrolled: 1-line block ×4, first 2 shown]
	v_pk_mul_f16 v28, v28, v111
	s_waitcnt lgkmcnt(1)
	v_perm_b32 v17, v17, v16, s17
	s_waitcnt lgkmcnt(0)
	v_perm_b32 v16, v27, v13, s17
	v_mfma_f32_16x16x16_f16 v[6:9], v[10:11], v[20:21], v[6:9]
	v_cvt_f32_f16_e32 v10, v28
	v_cvt_f32_f16_sdwa v11, v28 dst_sel:DWORD dst_unused:UNUSED_PAD src0_sel:WORD_1
	v_cvt_f32_f16_e32 v12, v112
	v_cvt_f32_f16_sdwa v13, v112 dst_sel:DWORD dst_unused:UNUSED_PAD src0_sel:WORD_1
	v_pk_mul_f16 v15, v32, v111
	v_cvt_f16_f32_e32 v27, v4
	v_mfma_f32_16x16x16_f16 v[10:13], v[16:17], v[24:25], v[10:13]
	ds_read_u16 v16, v128 offset:7744
	ds_read_u16 v17, v129 offset:7744
	;; [unrolled: 1-line block ×4, first 2 shown]
	v_pk_mul_f16 v18, v35, v111
	v_pk_mul_f16 v19, v34, v111
	s_nop 1
	v_cvt_f16_f32_e32 v4, v10
	v_cvt_f16_f32_e32 v11, v11
	;; [unrolled: 1-line block ×4, first 2 shown]
	s_waitcnt lgkmcnt(1)
	v_perm_b32 v17, v28, v17, s17
	s_waitcnt lgkmcnt(0)
	v_perm_b32 v16, v32, v16, s17
	v_cvt_f32_f16_e32 v10, v4
	v_cvt_f32_f16_e32 v11, v11
	;; [unrolled: 1-line block ×5, first 2 shown]
	v_cvt_f32_f16_sdwa v35, v15 dst_sel:DWORD dst_unused:UNUSED_PAD src0_sel:WORD_1
	v_mfma_f32_16x16x16_f16 v[10:13], v[16:17], v[20:21], v[10:13]
	ds_read_u16 v16, v128 offset:96
	ds_read_u16 v17, v129 offset:96
	ds_read_u16 v28, v130 offset:96
	ds_read_u16 v32, v128 offset:336
	v_cvt_f32_f16_e32 v36, v14
	v_cvt_f32_f16_sdwa v37, v14 dst_sel:DWORD dst_unused:UNUSED_PAD src0_sel:WORD_1
	v_cvt_f16_f32_e32 v8, v8
	s_waitcnt lgkmcnt(1)
	v_perm_b32 v17, v28, v17, s17
	s_waitcnt lgkmcnt(0)
	v_perm_b32 v16, v32, v16, s17
	v_cvt_f16_f32_e32 v9, v9
	v_pk_mul_f16 v33, v31, v111
	v_mfma_f32_16x16x16_f16 v[14:17], v[16:17], v[24:25], v[34:37]
	ds_read_u16 v28, v128 offset:7776
	s_nop 1
	ds_read_u16 v34, v129 offset:7776
	ds_read_u16 v35, v130 offset:7776
	;; [unrolled: 1-line block ×3, first 2 shown]
	v_perm_b32 v8, v9, v8, s17
	v_cvt_f16_f32_e32 v9, v12
	v_cvt_f16_f32_e32 v14, v14
	;; [unrolled: 1-line block ×5, first 2 shown]
	s_waitcnt lgkmcnt(1)
	v_perm_b32 v35, v35, v34, s17
	s_waitcnt lgkmcnt(0)
	v_perm_b32 v34, v36, v28, s17
	v_cvt_f32_f16_e32 v14, v14
	v_cvt_f32_f16_e32 v15, v15
	;; [unrolled: 1-line block ×4, first 2 shown]
	v_cvt_f16_f32_e32 v28, v13
	v_cvt_f32_f16_e32 v106, v33
	v_mfma_f32_16x16x16_f16 v[12:15], v[34:35], v[20:21], v[14:17]
	s_nop 2
	ds_read_u16 v16, v128 offset:128
	ds_read_u16 v17, v129 offset:128
	;; [unrolled: 1-line block ×4, first 2 shown]
	v_cvt_f32_f16_sdwa v107, v33 dst_sel:DWORD dst_unused:UNUSED_PAD src0_sel:WORD_1
	v_cvt_f32_f16_e32 v108, v48
	v_cvt_f32_f16_sdwa v109, v48 dst_sel:DWORD dst_unused:UNUSED_PAD src0_sel:WORD_1
	s_waitcnt lgkmcnt(1)
	v_perm_b32 v17, v34, v17, s17
	s_waitcnt lgkmcnt(0)
	v_perm_b32 v16, v35, v16, s17
	ds_read_u16 v36, v128 offset:7808
	ds_read_u16 v37, v129 offset:7808
	ds_read_u16 v48, v130 offset:7808
	ds_read_u16 v105, v128 offset:8048
	v_mfma_f32_16x16x16_f16 v[106:109], v[16:17], v[24:25], v[106:109]
	v_perm_b32 v9, v28, v9, s17
	v_cvt_f16_f32_e32 v5, v5
	v_add_f32_e32 v23, v29, v23
	s_nop 4
	v_cvt_f16_f32_e32 v16, v106
	v_cvt_f16_f32_e32 v17, v107
	;; [unrolled: 1-line block ×4, first 2 shown]
	v_cvt_f32_f16_e32 v106, v16
	v_cvt_f32_f16_e32 v107, v17
	s_waitcnt lgkmcnt(1)
	v_perm_b32 v17, v48, v37, s17
	s_waitcnt lgkmcnt(0)
	v_perm_b32 v16, v105, v36, s17
	v_cvt_f32_f16_e32 v108, v28
	v_cvt_f32_f16_e32 v109, v35
	v_cvt_f16_f32_e32 v28, v14
	v_cvt_f16_f32_e32 v37, v15
	v_mfma_f32_16x16x16_f16 v[14:17], v[16:17], v[20:21], v[106:109]
	ds_read_u16 v36, v128 offset:160
	ds_read_u16 v48, v129 offset:160
	;; [unrolled: 1-line block ×4, first 2 shown]
	v_cvt_f32_f16_e32 v106, v18
	v_cvt_f32_f16_sdwa v107, v18 dst_sel:DWORD dst_unused:UNUSED_PAD src0_sel:WORD_1
	v_cvt_f32_f16_e32 v108, v19
	s_waitcnt lgkmcnt(1)
	v_perm_b32 v111, v105, v48, s17
	s_waitcnt lgkmcnt(0)
	v_perm_b32 v110, v109, v36, s17
	v_cvt_f32_f16_sdwa v109, v19 dst_sel:DWORD dst_unused:UNUSED_PAD src0_sel:WORD_1
	ds_bpermute_b32 v29, v26, v23
	v_cvt_f16_f32_e32 v31, v2
	v_mfma_f32_16x16x16_f16 v[106:109], v[110:111], v[24:25], v[106:109]
	v_cvt_f16_f32_e32 v4, v3
	v_perm_b32 v27, v5, v27, s17
	v_cvt_f16_f32_e32 v5, v6
	v_cvt_f16_f32_e32 v32, v7
	s_nop 3
	v_cvt_f16_f32_e32 v105, v109
	ds_read_u16 v109, v128 offset:7840
	ds_read_u16 v110, v129 offset:7840
	ds_read_u16 v111, v130 offset:7840
	ds_read_u16 v112, v128 offset:8080
	v_cvt_f16_f32_e32 v18, v106
	v_cvt_f16_f32_e32 v19, v107
	;; [unrolled: 1-line block ×4, first 2 shown]
	v_cvt_f32_f16_e32 v106, v18
	v_cvt_f32_f16_e32 v107, v19
	s_waitcnt lgkmcnt(1)
	v_perm_b32 v19, v111, v110, s17
	s_waitcnt lgkmcnt(0)
	v_perm_b32 v18, v112, v109, s17
	v_cvt_f32_f16_e32 v108, v48
	v_cvt_f32_f16_e32 v109, v105
	v_cvt_f16_f32_e32 v110, v16
	v_cvt_f16_f32_e32 v111, v17
	v_mfma_f32_16x16x16_f16 v[16:19], v[18:19], v[20:21], v[106:109]
	s_nop 2
	ds_read_u16 v109, v128 offset:192
	ds_read_u16 v105, v129 offset:192
	;; [unrolled: 1-line block ×4, first 2 shown]
	v_cvt_f32_f16_e32 v106, v104
	v_cvt_f32_f16_sdwa v107, v104 dst_sel:DWORD dst_unused:UNUSED_PAD src0_sel:WORD_1
	v_cvt_f32_f16_e32 v108, v30
	s_waitcnt lgkmcnt(1)
	v_perm_b32 v105, v112, v105, s17
	s_waitcnt lgkmcnt(0)
	v_perm_b32 v104, v113, v109, s17
	v_cvt_f32_f16_sdwa v109, v30 dst_sel:DWORD dst_unused:UNUSED_PAD src0_sel:WORD_1
	v_perm_b32 v30, v111, v110, s17
	v_cvt_f16_f32_e32 v18, v18
	v_mfma_f32_16x16x16_f16 v[104:107], v[104:105], v[24:25], v[106:109]
	v_cvt_f16_f32_e32 v19, v19
	v_cvt_f16_f32_e32 v34, v11
	;; [unrolled: 1-line block ×4, first 2 shown]
	s_nop 3
	v_cvt_f16_f32_e32 v24, v107
	ds_read_u16 v25, v128 offset:7872
	ds_read_u16 v107, v129 offset:7872
	;; [unrolled: 1-line block ×4, first 2 shown]
	v_cvt_f16_f32_e32 v104, v104
	v_cvt_f16_f32_e32 v105, v105
	;; [unrolled: 1-line block ×3, first 2 shown]
	s_waitcnt lgkmcnt(1)
	v_perm_b32 v111, v108, v107, s17
	s_waitcnt lgkmcnt(0)
	v_perm_b32 v110, v109, v25, s17
	v_cvt_f32_f16_e32 v104, v104
	v_cvt_f32_f16_e32 v105, v105
	;; [unrolled: 1-line block ×4, first 2 shown]
	v_perm_b32 v24, v19, v18, s17
	v_perm_b32 v28, v37, v28, s17
	v_mfma_f32_16x16x16_f16 v[18:21], v[110:111], v[20:21], v[104:107]
	v_cvt_f16_f32_e32 v37, v14
	v_cvt_f16_f32_e32 v48, v15
	;; [unrolled: 1-line block ×4, first 2 shown]
	s_nop 3
	v_cvt_f16_f32_e32 v104, v18
	v_cvt_f16_f32_e32 v20, v20
	;; [unrolled: 1-line block ×4, first 2 shown]
	v_add_f32_e32 v23, v23, v29
	v_perm_b32 v29, v36, v35, s17
	v_perm_b32 v20, v21, v20, s17
	;; [unrolled: 1-line block ×8, first 2 shown]
	s_barrier
	s_and_saveexec_b64 s[14:15], s[12:13]
	s_cbranch_execz .LBB19_61
; %bb.60:                               ;   in Loop: Header=BB19_14 Depth=1
	v_cvt_pk_f16_f32 v3, v2, v3
	v_lshlrev_b32_e32 v2, 2, v76
	v_cvt_pk_f16_f32 v4, v6, v7
	v_cvt_pk_f16_f32 v6, v12, v13
	global_load_dword v12, v2, s[80:81]
	v_max_f32_e32 v13, v22, v22
	v_cvt_pk_f16_f32 v7, v14, v15
	v_cvt_pk_f16_f32 v5, v10, v11
	v_cvt_pk_f16_f32 v10, v16, v17
	v_cvt_pk_f16_f32 v11, v18, v19
	s_waitcnt vmcnt(0)
	v_max_f32_e32 v2, v12, v12
	v_max_f32_e32 v2, v13, v2
	v_sub_f32_e32 v13, v22, v2
	v_mul_f32_e32 v14, 0x3fb8aa3b, v13
	v_fma_f32 v15, v13, s29, -v14
	v_rndne_f32_e32 v16, v14
	v_fmac_f32_e32 v15, 0x32a5705f, v13
	v_sub_f32_e32 v14, v14, v16
	v_add_f32_e32 v14, v14, v15
	v_exp_f32_e32 v14, v14
	v_cvt_i32_f32_e32 v15, v16
	v_cmp_ngt_f32_e64 s[12:13], s26, v13
	v_sub_f32_e32 v12, v12, v2
	v_ldexp_f32 v14, v14, v15
	v_cndmask_b32_e64 v14, 0, v14, s[12:13]
	v_cmp_nlt_f32_e64 s[12:13], s55, v13
	s_nop 1
	v_cndmask_b32_e64 v14, v187, v14, s[12:13]
	v_cmp_le_f32_e64 s[12:13], s16, v13
	s_nop 1
	v_cndmask_b32_e64 v13, 0, v14, s[12:13]
	v_cvt_f16_f32_e32 v14, v13
	v_cmp_ngt_f32_e64 s[12:13], s26, v12
	v_mul_u32_u24_e32 v14, 0x10001, v14
	v_pk_mul_f16 v31, v3, v14
	v_mul_f32_e32 v3, 0x3fb8aa3b, v12
	v_pk_mul_f16 v32, v4, v14
	v_pk_mul_f16 v33, v5, v14
	v_fma_f32 v4, v12, s29, -v3
	v_rndne_f32_e32 v5, v3
	v_fmac_f32_e32 v4, 0x32a5705f, v12
	v_sub_f32_e32 v3, v3, v5
	v_add_f32_e32 v3, v3, v4
	v_exp_f32_e32 v3, v3
	v_cvt_i32_f32_e32 v4, v5
	v_pk_mul_f16 v27, v27, v14
	v_pk_mul_f16 v8, v8, v14
	;; [unrolled: 1-line block ×3, first 2 shown]
	v_ldexp_f32 v3, v3, v4
	v_cndmask_b32_e64 v3, 0, v3, s[12:13]
	v_cmp_nlt_f32_e64 s[12:13], s55, v12
	v_pk_mul_f16 v29, v6, v14
	v_pk_mul_f16 v28, v28, v14
	v_cndmask_b32_e64 v3, v187, v3, s[12:13]
	v_fmac_f32_e32 v3, v23, v13
	v_pk_mul_f16 v25, v7, v14
	v_pk_mul_f16 v30, v30, v14
	;; [unrolled: 1-line block ×6, first 2 shown]
	v_mov_b64_e32 v[22:23], v[2:3]
.LBB19_61:                              ;   in Loop: Header=BB19_14 Depth=1
	s_or_b64 exec, exec, s[14:15]
	s_mov_b64 s[12:13], exec
	v_readlane_b32 s14, v201, 19
	v_readlane_b32 s15, v201, 20
	s_and_b64 s[14:15], s[12:13], s[14:15]
	s_mov_b64 exec, s[14:15]
; %bb.62:                               ;   in Loop: Header=BB19_14 Depth=1
	v_add_u32_e32 v2, 0, v147
	ds_write2_b32 v2, v22, v23 offset0:56 offset1:57
; %bb.63:                               ;   in Loop: Header=BB19_14 Depth=1
	s_or_b64 exec, exec, s[12:13]
	s_waitcnt lgkmcnt(0)
	s_barrier
	s_mov_b64 s[12:13], exec
	v_readlane_b32 s14, v201, 10
	v_readlane_b32 s15, v201, 11
	s_and_b64 s[14:15], s[12:13], s[14:15]
	s_xor_b64 s[12:13], s[14:15], s[12:13]
	s_mov_b64 exec, s[14:15]
	s_cbranch_execz .LBB19_65
; %bb.64:                               ;   in Loop: Header=BB19_14 Depth=1
	s_barrier
                                        ; implicit-def: $vgpr26
.LBB19_65:                              ;   in Loop: Header=BB19_14 Depth=1
	s_andn2_saveexec_b64 s[14:15], s[12:13]
	s_cbranch_execz .LBB19_71
; %bb.66:                               ;   in Loop: Header=BB19_14 Depth=1
	v_add_u32_e32 v3, 0, v148
	ds_read_b64 v[6:7], v3 offset:224
	s_waitcnt lgkmcnt(0)
	s_barrier
	ds_bpermute_b32 v2, v26, v6
	v_max_f32_e32 v4, v6, v6
	s_waitcnt lgkmcnt(0)
	v_max_f32_e32 v2, v2, v2
	v_max_f32_e32 v2, v4, v2
	v_sub_f32_e32 v4, v6, v2
	v_mul_f32_e32 v5, 0x3fb8aa3b, v4
	v_fma_f32 v6, v4, s29, -v5
	v_rndne_f32_e32 v10, v5
	v_fmac_f32_e32 v6, 0x32a5705f, v4
	v_sub_f32_e32 v5, v5, v10
	v_add_f32_e32 v5, v5, v6
	v_cvt_i32_f32_e32 v10, v10
	v_exp_f32_e32 v5, v5
	v_cmp_ngt_f32_e64 s[12:13], s26, v4
	v_ldexp_f32 v5, v5, v10
	s_nop 0
	v_cndmask_b32_e64 v5, 0, v5, s[12:13]
	v_cmp_nlt_f32_e64 s[12:13], s55, v4
	s_nop 1
	v_cndmask_b32_e64 v4, v187, v5, s[12:13]
	v_mul_f32_e32 v5, v7, v4
	ds_bpermute_b32 v5, v26, v5
	s_waitcnt lgkmcnt(0)
	v_fmac_f32_e32 v5, v7, v4
	s_mov_b64 s[12:13], exec
	v_readlane_b32 s60, v201, 21
	v_readlane_b32 s61, v201, 22
	s_and_b64 s[60:61], s[12:13], s[60:61]
	s_mov_b64 exec, s[60:61]
; %bb.67:                               ;   in Loop: Header=BB19_14 Depth=1
	ds_write_b64 v3, v[4:5] offset:224
; %bb.68:                               ;   in Loop: Header=BB19_14 Depth=1
	s_or_b64 exec, exec, s[12:13]
	s_mov_b64 s[12:13], exec
	v_readlane_b32 s60, v201, 19
	v_readlane_b32 s61, v201, 20
	s_and_b64 s[60:61], s[12:13], s[60:61]
	s_mov_b64 exec, s[60:61]
	s_cbranch_execz .LBB19_70
; %bb.69:                               ;   in Loop: Header=BB19_14 Depth=1
	v_mov_b32_e32 v3, v5
	global_store_dwordx2 v[50:51], v[2:3], off
.LBB19_70:                              ;   in Loop: Header=BB19_14 Depth=1
	s_or_b64 exec, exec, s[12:13]
.LBB19_71:                              ;   in Loop: Header=BB19_14 Depth=1
	s_or_b64 exec, exec, s[14:15]
	v_add_u32_e32 v2, v133, v149
	ds_write2_b32 v2, v31, v27 offset1:1
	ds_write2_b32 v2, v32, v8 offset0:8 offset1:9
	ds_write2_b32 v2, v33, v9 offset0:16 offset1:17
	;; [unrolled: 1-line block ×6, first 2 shown]
	s_waitcnt lgkmcnt(0)
	s_barrier
	s_and_saveexec_b64 s[96:97], s[0:1]
	s_cbranch_execz .LBB19_133
; %bb.72:                               ;   in Loop: Header=BB19_14 Depth=1
	v_add_u32_e32 v3, s57, v181
	v_or_b32_e32 v2, s2, v100
	v_cmp_gt_i32_e64 s[14:15], s20, v3
	v_cmp_gt_i32_e64 s[12:13], s3, v2
	s_and_b64 s[60:61], s[14:15], s[12:13]
	v_mov_b32_e32 v2, 0x47
	s_and_saveexec_b64 s[14:15], s[60:61]
	s_cbranch_execz .LBB19_74
; %bb.73:                               ;   in Loop: Header=BB19_14 Depth=1
	v_mad_u64_u32 v[2:3], s[60:61], v3, s21, v[100:101]
	v_add_u32_e32 v3, 0, v150
	v_add_u32_e32 v3, 0xe0, v3
	ds_read2st64_b32 v[4:5], v3 offset1:15
	v_add_u32_e32 v3, v177, v150
	ds_read2st64_b32 v[6:7], v3 offset1:15
	v_mad_u64_u32 v[2:3], s[60:61], v2, 56, v[38:39]
	v_ashrrev_i32_e32 v3, 31, v2
	v_lshl_add_u64 v[2:3], v[2:3], 3, s[78:79]
	s_waitcnt lgkmcnt(0)
	v_cvt_f32_f16_e32 v8, v6
	v_cvt_f32_f16_sdwa v9, v6 dst_sel:DWORD dst_unused:UNUSED_PAD src0_sel:WORD_1
	v_cvt_f32_f16_e32 v6, v7
	v_cvt_f32_f16_sdwa v7, v7 dst_sel:DWORD dst_unused:UNUSED_PAD src0_sel:WORD_1
	v_pk_fma_f32 v[8:9], v[4:5], v[8:9], 0 op_sel_hi:[0,1,0]
	v_mov_b32_e32 v4, v5
	v_pk_fma_f32 v[4:5], v[4:5], v[6:7], v[8:9] op_sel_hi:[0,1,1]
	global_store_dwordx2 v[2:3], v[4:5], off
	v_mov_b32_e32 v2, 0
.LBB19_74:                              ;   in Loop: Header=BB19_14 Depth=1
	s_or_b64 exec, exec, s[14:15]
	v_cmp_gt_i32_e64 s[14:15], s64, v2
	s_mov_b64 s[60:61], -1
	s_and_saveexec_b64 s[98:99], s[14:15]
; %bb.75:                               ;   in Loop: Header=BB19_14 Depth=1
	v_cmp_eq_u32_e64 s[14:15], 0, v2
	s_orn2_b64 s[60:61], s[14:15], exec
; %bb.76:                               ;   in Loop: Header=BB19_14 Depth=1
	s_or_b64 exec, exec, s[98:99]
	s_and_saveexec_b64 s[98:99], s[60:61]
	s_cbranch_execz .LBB19_109
; %bb.77:                               ;   in Loop: Header=BB19_14 Depth=1
	v_add_u32_e32 v3, s57, v151
	v_cmp_gt_i32_e64 s[14:15], s20, v3
	s_and_b64 s[60:61], s[14:15], s[12:13]
	v_mov_b32_e32 v2, 0x47
	s_and_saveexec_b64 s[14:15], s[60:61]
	s_cbranch_execz .LBB19_79
; %bb.78:                               ;   in Loop: Header=BB19_14 Depth=1
	v_mad_u64_u32 v[2:3], s[60:61], v3, s21, v[100:101]
	v_add_u32_e32 v3, 0, v152
	v_add_u32_e32 v3, 0xe0, v3
	ds_read2st64_b32 v[4:5], v3 offset1:15
	v_add_u32_e32 v3, v177, v152
	ds_read2st64_b32 v[6:7], v3 offset1:15
	v_mad_u64_u32 v[2:3], s[60:61], v2, 56, v[38:39]
	v_ashrrev_i32_e32 v3, 31, v2
	v_lshl_add_u64 v[2:3], v[2:3], 3, s[78:79]
	s_waitcnt lgkmcnt(0)
	v_cvt_f32_f16_e32 v8, v6
	v_cvt_f32_f16_sdwa v9, v6 dst_sel:DWORD dst_unused:UNUSED_PAD src0_sel:WORD_1
	v_cvt_f32_f16_e32 v6, v7
	v_cvt_f32_f16_sdwa v7, v7 dst_sel:DWORD dst_unused:UNUSED_PAD src0_sel:WORD_1
	v_pk_fma_f32 v[8:9], v[4:5], v[8:9], 0 op_sel_hi:[0,1,0]
	v_mov_b32_e32 v4, v5
	v_pk_fma_f32 v[4:5], v[4:5], v[6:7], v[8:9] op_sel_hi:[0,1,1]
	global_store_dwordx2 v[2:3], v[4:5], off
	v_mov_b32_e32 v2, 0
.LBB19_79:                              ;   in Loop: Header=BB19_14 Depth=1
	s_or_b64 exec, exec, s[14:15]
	v_cmp_gt_i32_e64 s[14:15], s64, v2
	s_mov_b64 s[60:61], -1
	s_and_saveexec_b64 s[70:71], s[14:15]
; %bb.80:                               ;   in Loop: Header=BB19_14 Depth=1
	v_cmp_eq_u32_e64 s[14:15], 0, v2
	s_orn2_b64 s[60:61], s[14:15], exec
; %bb.81:                               ;   in Loop: Header=BB19_14 Depth=1
	s_or_b64 exec, exec, s[70:71]
	s_and_b64 exec, exec, s[60:61]
	s_cbranch_execz .LBB19_109
; %bb.82:                               ;   in Loop: Header=BB19_14 Depth=1
	v_add_u32_e32 v3, s57, v153
	v_cmp_gt_i32_e64 s[14:15], s20, v3
	s_and_b64 s[60:61], s[14:15], s[12:13]
	v_mov_b32_e32 v2, 0x47
	s_and_saveexec_b64 s[14:15], s[60:61]
	s_cbranch_execz .LBB19_84
; %bb.83:                               ;   in Loop: Header=BB19_14 Depth=1
	v_mad_u64_u32 v[2:3], s[60:61], v3, s21, v[100:101]
	v_add_u32_e32 v3, 0, v154
	v_add_u32_e32 v3, 0xe0, v3
	ds_read2st64_b32 v[4:5], v3 offset1:15
	v_add_u32_e32 v3, v177, v154
	ds_read2st64_b32 v[6:7], v3 offset1:15
	v_mad_u64_u32 v[2:3], s[60:61], v2, 56, v[38:39]
	v_ashrrev_i32_e32 v3, 31, v2
	v_lshl_add_u64 v[2:3], v[2:3], 3, s[78:79]
	s_waitcnt lgkmcnt(0)
	v_cvt_f32_f16_e32 v8, v6
	v_cvt_f32_f16_sdwa v9, v6 dst_sel:DWORD dst_unused:UNUSED_PAD src0_sel:WORD_1
	v_cvt_f32_f16_e32 v6, v7
	v_cvt_f32_f16_sdwa v7, v7 dst_sel:DWORD dst_unused:UNUSED_PAD src0_sel:WORD_1
	v_pk_fma_f32 v[8:9], v[4:5], v[8:9], 0 op_sel_hi:[0,1,0]
	v_mov_b32_e32 v4, v5
	v_pk_fma_f32 v[4:5], v[4:5], v[6:7], v[8:9] op_sel_hi:[0,1,1]
	global_store_dwordx2 v[2:3], v[4:5], off
	v_mov_b32_e32 v2, 0
.LBB19_84:                              ;   in Loop: Header=BB19_14 Depth=1
	s_or_b64 exec, exec, s[14:15]
	v_cmp_gt_i32_e64 s[14:15], s64, v2
	s_mov_b64 s[60:61], -1
	s_and_saveexec_b64 s[70:71], s[14:15]
; %bb.85:                               ;   in Loop: Header=BB19_14 Depth=1
	v_cmp_eq_u32_e64 s[14:15], 0, v2
	s_orn2_b64 s[60:61], s[14:15], exec
; %bb.86:                               ;   in Loop: Header=BB19_14 Depth=1
	s_or_b64 exec, exec, s[70:71]
	s_and_b64 exec, exec, s[60:61]
	;; [unrolled: 39-line block ×4, first 2 shown]
	s_cbranch_execz .LBB19_109
; %bb.97:                               ;   in Loop: Header=BB19_14 Depth=1
	v_add_u32_e32 v3, s57, v159
	v_cmp_gt_i32_e64 s[14:15], s20, v3
	s_and_b64 s[60:61], s[14:15], s[12:13]
	v_mov_b32_e32 v2, 0x47
	s_and_saveexec_b64 s[14:15], s[60:61]
	s_cbranch_execz .LBB19_99
; %bb.98:                               ;   in Loop: Header=BB19_14 Depth=1
	v_mad_u64_u32 v[2:3], s[60:61], v3, s21, v[100:101]
	v_add_u32_e32 v3, 0, v160
	v_add_u32_e32 v3, 0xe0, v3
	ds_read2st64_b32 v[4:5], v3 offset1:15
	v_add_u32_e32 v3, v177, v160
	ds_read2st64_b32 v[6:7], v3 offset1:15
	v_mad_u64_u32 v[2:3], s[60:61], v2, 56, v[38:39]
	v_ashrrev_i32_e32 v3, 31, v2
	v_lshl_add_u64 v[2:3], v[2:3], 3, s[78:79]
	s_waitcnt lgkmcnt(0)
	v_cvt_f32_f16_e32 v8, v6
	v_cvt_f32_f16_sdwa v9, v6 dst_sel:DWORD dst_unused:UNUSED_PAD src0_sel:WORD_1
	v_cvt_f32_f16_e32 v6, v7
	v_cvt_f32_f16_sdwa v7, v7 dst_sel:DWORD dst_unused:UNUSED_PAD src0_sel:WORD_1
	v_pk_fma_f32 v[8:9], v[4:5], v[8:9], 0 op_sel_hi:[0,1,0]
	v_mov_b32_e32 v4, v5
	v_pk_fma_f32 v[4:5], v[4:5], v[6:7], v[8:9] op_sel_hi:[0,1,1]
	global_store_dwordx2 v[2:3], v[4:5], off
	v_mov_b32_e32 v2, 0
.LBB19_99:                              ;   in Loop: Header=BB19_14 Depth=1
	s_or_b64 exec, exec, s[14:15]
	v_cmp_gt_i32_e64 s[14:15], s64, v2
	s_mov_b64 s[60:61], -1
	s_and_saveexec_b64 s[70:71], s[14:15]
; %bb.100:                              ;   in Loop: Header=BB19_14 Depth=1
	v_cmp_eq_u32_e64 s[14:15], 0, v2
	s_orn2_b64 s[60:61], s[14:15], exec
; %bb.101:                              ;   in Loop: Header=BB19_14 Depth=1
	s_or_b64 exec, exec, s[70:71]
	s_and_b64 exec, exec, s[60:61]
	s_cbranch_execz .LBB19_109
; %bb.102:                              ;   in Loop: Header=BB19_14 Depth=1
	v_add_u32_e32 v3, s57, v161
	v_cmp_gt_i32_e64 s[14:15], s20, v3
	s_and_b64 s[60:61], s[14:15], s[12:13]
	v_mov_b32_e32 v2, 0x47
	s_and_saveexec_b64 s[14:15], s[60:61]
	s_cbranch_execz .LBB19_104
; %bb.103:                              ;   in Loop: Header=BB19_14 Depth=1
	v_mad_u64_u32 v[2:3], s[60:61], v3, s21, v[100:101]
	v_add_u32_e32 v3, 0, v162
	v_add_u32_e32 v3, 0xe0, v3
	ds_read2st64_b32 v[4:5], v3 offset1:15
	v_add_u32_e32 v3, v177, v162
	ds_read2st64_b32 v[6:7], v3 offset1:15
	v_mad_u64_u32 v[2:3], s[60:61], v2, 56, v[38:39]
	v_ashrrev_i32_e32 v3, 31, v2
	v_lshl_add_u64 v[2:3], v[2:3], 3, s[78:79]
	s_waitcnt lgkmcnt(0)
	v_cvt_f32_f16_e32 v8, v6
	v_cvt_f32_f16_sdwa v9, v6 dst_sel:DWORD dst_unused:UNUSED_PAD src0_sel:WORD_1
	v_cvt_f32_f16_e32 v6, v7
	v_cvt_f32_f16_sdwa v7, v7 dst_sel:DWORD dst_unused:UNUSED_PAD src0_sel:WORD_1
	v_pk_fma_f32 v[8:9], v[4:5], v[8:9], 0 op_sel_hi:[0,1,0]
	v_mov_b32_e32 v4, v5
	v_pk_fma_f32 v[4:5], v[4:5], v[6:7], v[8:9] op_sel_hi:[0,1,1]
	global_store_dwordx2 v[2:3], v[4:5], off
	v_mov_b32_e32 v2, 0
.LBB19_104:                             ;   in Loop: Header=BB19_14 Depth=1
	s_or_b64 exec, exec, s[14:15]
	v_cmp_gt_i32_e64 s[14:15], s64, v2
	s_mov_b64 s[60:61], -1
	s_and_saveexec_b64 s[70:71], s[14:15]
; %bb.105:                              ;   in Loop: Header=BB19_14 Depth=1
	v_cmp_eq_u32_e64 s[14:15], 0, v2
	s_orn2_b64 s[60:61], s[14:15], exec
; %bb.106:                              ;   in Loop: Header=BB19_14 Depth=1
	s_or_b64 exec, exec, s[70:71]
	s_and_b64 exec, exec, s[60:61]
	s_cbranch_execz .LBB19_109
; %bb.107:                              ;   in Loop: Header=BB19_14 Depth=1
	v_add_u32_e32 v2, s57, v163
	v_cmp_gt_i32_e64 s[14:15], s20, v2
	s_and_b64 s[12:13], s[14:15], s[12:13]
	s_and_b64 exec, exec, s[12:13]
	s_cbranch_execz .LBB19_109
; %bb.108:                              ;   in Loop: Header=BB19_14 Depth=1
	v_mad_u64_u32 v[2:3], s[12:13], v2, s21, v[100:101]
	v_add_u32_e32 v3, 0, v164
	v_add_u32_e32 v3, 0xe0, v3
	ds_read2st64_b32 v[4:5], v3 offset1:15
	v_add_u32_e32 v3, v177, v164
	ds_read2st64_b32 v[6:7], v3 offset1:15
	v_mad_u64_u32 v[2:3], s[12:13], v2, 56, v[38:39]
	v_ashrrev_i32_e32 v3, 31, v2
	v_lshl_add_u64 v[2:3], v[2:3], 3, s[78:79]
	s_waitcnt lgkmcnt(0)
	v_cvt_f32_f16_e32 v8, v6
	v_cvt_f32_f16_sdwa v9, v6 dst_sel:DWORD dst_unused:UNUSED_PAD src0_sel:WORD_1
	v_cvt_f32_f16_e32 v6, v7
	v_cvt_f32_f16_sdwa v7, v7 dst_sel:DWORD dst_unused:UNUSED_PAD src0_sel:WORD_1
	v_pk_fma_f32 v[8:9], v[4:5], v[8:9], 0 op_sel_hi:[0,1,0]
	v_mov_b32_e32 v4, v5
	v_pk_fma_f32 v[4:5], v[4:5], v[6:7], v[8:9] op_sel_hi:[0,1,1]
	global_store_dwordx2 v[2:3], v[4:5], off
.LBB19_109:                             ;   in Loop: Header=BB19_14 Depth=1
	s_or_b64 exec, exec, s[98:99]
	v_add_u32_e32 v3, s57, v165
	v_cmp_gt_i32_e64 s[12:13], s20, v3
	s_and_b64 s[14:15], s[12:13], s[10:11]
	v_mov_b32_e32 v2, 0x47
	s_and_saveexec_b64 s[12:13], s[14:15]
	s_cbranch_execz .LBB19_111
; %bb.110:                              ;   in Loop: Header=BB19_14 Depth=1
	v_mad_u64_u32 v[2:3], s[14:15], v3, s21, v[92:93]
	v_add_u32_e32 v3, 0, v166
	v_add_u32_e32 v3, 0xe0, v3
	ds_read2st64_b32 v[4:5], v3 offset1:15
	v_add_u32_e32 v3, v142, v166
	v_add_u32_e32 v3, 0x80, v3
	ds_read2st64_b32 v[6:7], v3 offset1:15
	v_mul_lo_u32 v2, v2, 56
	v_ashrrev_i32_e32 v3, 31, v2
	v_lshl_add_u64 v[2:3], v[2:3], 0, v[40:41]
	v_lshl_add_u64 v[2:3], v[2:3], 3, s[78:79]
	s_waitcnt lgkmcnt(0)
	v_cvt_f32_f16_e32 v8, v6
	v_cvt_f32_f16_sdwa v9, v6 dst_sel:DWORD dst_unused:UNUSED_PAD src0_sel:WORD_1
	v_cvt_f32_f16_e32 v6, v7
	v_cvt_f32_f16_sdwa v7, v7 dst_sel:DWORD dst_unused:UNUSED_PAD src0_sel:WORD_1
	v_pk_fma_f32 v[8:9], v[4:5], v[8:9], 0 op_sel_hi:[0,1,0]
	v_mov_b32_e32 v4, v5
	v_pk_fma_f32 v[4:5], v[4:5], v[6:7], v[8:9] op_sel_hi:[0,1,1]
	global_store_dwordx2 v[2:3], v[4:5], off offset:256
	v_mov_b32_e32 v2, 0
.LBB19_111:                             ;   in Loop: Header=BB19_14 Depth=1
	s_or_b64 exec, exec, s[12:13]
	v_cmp_gt_i32_e64 s[12:13], s64, v2
	s_mov_b64 s[60:61], -1
	s_and_saveexec_b64 s[14:15], s[12:13]
; %bb.112:                              ;   in Loop: Header=BB19_14 Depth=1
	v_cmp_eq_u32_e64 s[12:13], 0, v2
	s_orn2_b64 s[60:61], s[12:13], exec
; %bb.113:                              ;   in Loop: Header=BB19_14 Depth=1
	s_or_b64 exec, exec, s[14:15]
	s_and_saveexec_b64 s[14:15], s[60:61]
	s_cbranch_execz .LBB19_126
; %bb.114:                              ;   in Loop: Header=BB19_14 Depth=1
	v_add_u32_e32 v3, s57, v167
	v_cmp_gt_i32_e64 s[12:13], s20, v3
	s_and_b64 s[60:61], s[12:13], s[10:11]
	v_mov_b32_e32 v2, 0x47
	s_and_saveexec_b64 s[12:13], s[60:61]
	s_cbranch_execz .LBB19_116
; %bb.115:                              ;   in Loop: Header=BB19_14 Depth=1
	v_mad_u64_u32 v[2:3], s[60:61], v3, s21, v[92:93]
	v_add_u32_e32 v3, 0, v168
	v_add_u32_e32 v3, 0xe0, v3
	ds_read2st64_b32 v[4:5], v3 offset1:15
	v_add_u32_e32 v3, v142, v168
	v_add_u32_e32 v3, 0x80, v3
	ds_read2st64_b32 v[6:7], v3 offset1:15
	v_mul_lo_u32 v2, v2, 56
	v_ashrrev_i32_e32 v3, 31, v2
	v_lshl_add_u64 v[2:3], v[2:3], 0, v[40:41]
	v_lshl_add_u64 v[2:3], v[2:3], 3, s[78:79]
	s_waitcnt lgkmcnt(0)
	v_cvt_f32_f16_e32 v8, v6
	v_cvt_f32_f16_sdwa v9, v6 dst_sel:DWORD dst_unused:UNUSED_PAD src0_sel:WORD_1
	v_cvt_f32_f16_e32 v6, v7
	v_cvt_f32_f16_sdwa v7, v7 dst_sel:DWORD dst_unused:UNUSED_PAD src0_sel:WORD_1
	v_pk_fma_f32 v[8:9], v[4:5], v[8:9], 0 op_sel_hi:[0,1,0]
	v_mov_b32_e32 v4, v5
	v_pk_fma_f32 v[4:5], v[4:5], v[6:7], v[8:9] op_sel_hi:[0,1,1]
	global_store_dwordx2 v[2:3], v[4:5], off offset:256
	v_mov_b32_e32 v2, 0
.LBB19_116:                             ;   in Loop: Header=BB19_14 Depth=1
	s_or_b64 exec, exec, s[12:13]
	v_cmp_gt_i32_e64 s[12:13], s64, v2
	s_mov_b64 s[60:61], -1
	s_and_saveexec_b64 s[70:71], s[12:13]
; %bb.117:                              ;   in Loop: Header=BB19_14 Depth=1
	v_cmp_eq_u32_e64 s[12:13], 0, v2
	s_orn2_b64 s[60:61], s[12:13], exec
; %bb.118:                              ;   in Loop: Header=BB19_14 Depth=1
	s_or_b64 exec, exec, s[70:71]
	s_and_b64 exec, exec, s[60:61]
	s_cbranch_execz .LBB19_126
; %bb.119:                              ;   in Loop: Header=BB19_14 Depth=1
	v_add_u32_e32 v3, s57, v169
	v_cmp_gt_i32_e64 s[12:13], s20, v3
	s_and_b64 s[60:61], s[12:13], s[10:11]
	v_mov_b32_e32 v2, 0x47
	s_and_saveexec_b64 s[12:13], s[60:61]
	s_cbranch_execz .LBB19_121
; %bb.120:                              ;   in Loop: Header=BB19_14 Depth=1
	v_mad_u64_u32 v[2:3], s[60:61], v3, s21, v[92:93]
	v_add_u32_e32 v3, 0, v170
	v_add_u32_e32 v3, 0xe0, v3
	ds_read2st64_b32 v[4:5], v3 offset1:15
	v_add_u32_e32 v3, v142, v170
	v_add_u32_e32 v3, 0x80, v3
	ds_read2st64_b32 v[6:7], v3 offset1:15
	v_mul_lo_u32 v2, v2, 56
	v_ashrrev_i32_e32 v3, 31, v2
	v_lshl_add_u64 v[2:3], v[2:3], 0, v[40:41]
	v_lshl_add_u64 v[2:3], v[2:3], 3, s[78:79]
	s_waitcnt lgkmcnt(0)
	v_cvt_f32_f16_e32 v8, v6
	v_cvt_f32_f16_sdwa v9, v6 dst_sel:DWORD dst_unused:UNUSED_PAD src0_sel:WORD_1
	v_cvt_f32_f16_e32 v6, v7
	v_cvt_f32_f16_sdwa v7, v7 dst_sel:DWORD dst_unused:UNUSED_PAD src0_sel:WORD_1
	v_pk_fma_f32 v[8:9], v[4:5], v[8:9], 0 op_sel_hi:[0,1,0]
	v_mov_b32_e32 v4, v5
	v_pk_fma_f32 v[4:5], v[4:5], v[6:7], v[8:9] op_sel_hi:[0,1,1]
	global_store_dwordx2 v[2:3], v[4:5], off offset:256
	v_mov_b32_e32 v2, 0
.LBB19_121:                             ;   in Loop: Header=BB19_14 Depth=1
	s_or_b64 exec, exec, s[12:13]
	v_cmp_gt_i32_e64 s[12:13], s64, v2
	s_mov_b64 s[60:61], -1
	s_and_saveexec_b64 s[70:71], s[12:13]
; %bb.122:                              ;   in Loop: Header=BB19_14 Depth=1
	v_cmp_eq_u32_e64 s[12:13], 0, v2
	s_orn2_b64 s[60:61], s[12:13], exec
; %bb.123:                              ;   in Loop: Header=BB19_14 Depth=1
	s_or_b64 exec, exec, s[70:71]
	s_and_b64 exec, exec, s[60:61]
	s_cbranch_execz .LBB19_126
; %bb.124:                              ;   in Loop: Header=BB19_14 Depth=1
	v_add_u32_e32 v2, s57, v171
	v_cmp_gt_i32_e64 s[12:13], s20, v2
	s_and_b64 s[10:11], s[12:13], s[10:11]
	s_and_b64 exec, exec, s[10:11]
	s_cbranch_execz .LBB19_126
; %bb.125:                              ;   in Loop: Header=BB19_14 Depth=1
	v_mad_u64_u32 v[2:3], s[10:11], v2, s21, v[92:93]
	v_add_u32_e32 v3, 0, v172
	v_add_u32_e32 v3, 0xe0, v3
	ds_read2st64_b32 v[4:5], v3 offset1:15
	v_add_u32_e32 v3, v142, v172
	v_add_u32_e32 v3, 0x80, v3
	ds_read2st64_b32 v[6:7], v3 offset1:15
	v_mul_lo_u32 v2, v2, 56
	v_ashrrev_i32_e32 v3, 31, v2
	v_lshl_add_u64 v[2:3], v[2:3], 0, v[40:41]
	v_lshl_add_u64 v[2:3], v[2:3], 3, s[78:79]
	s_waitcnt lgkmcnt(0)
	v_cvt_f32_f16_e32 v8, v6
	v_cvt_f32_f16_sdwa v9, v6 dst_sel:DWORD dst_unused:UNUSED_PAD src0_sel:WORD_1
	v_cvt_f32_f16_e32 v6, v7
	v_cvt_f32_f16_sdwa v7, v7 dst_sel:DWORD dst_unused:UNUSED_PAD src0_sel:WORD_1
	v_pk_fma_f32 v[8:9], v[4:5], v[8:9], 0 op_sel_hi:[0,1,0]
	v_mov_b32_e32 v4, v5
	v_pk_fma_f32 v[4:5], v[4:5], v[6:7], v[8:9] op_sel_hi:[0,1,1]
	global_store_dwordx2 v[2:3], v[4:5], off offset:256
.LBB19_126:                             ;   in Loop: Header=BB19_14 Depth=1
	s_or_b64 exec, exec, s[14:15]
	v_add_u32_e32 v3, s57, v173
	v_cmp_gt_i32_e64 s[10:11], s20, v3
	s_and_b64 s[12:13], s[10:11], vcc
	v_mov_b32_e32 v2, 0x47
	s_and_saveexec_b64 s[10:11], s[12:13]
	s_cbranch_execz .LBB19_128
; %bb.127:                              ;   in Loop: Header=BB19_14 Depth=1
	v_add_u32_e32 v4, v138, v174
	v_add_u32_e32 v4, 0xc0, v4
	ds_read2st64_b32 v[4:5], v4 offset1:15
	v_mad_u64_u32 v[2:3], s[12:13], v3, s21, v[96:97]
	v_mul_lo_u32 v6, v2, 56
	v_add_u32_e32 v2, 0, v174
	v_add_u32_e32 v2, 0xe0, v2
	ds_read2st64_b32 v[2:3], v2 offset1:15
	s_waitcnt lgkmcnt(1)
	v_cvt_f32_f16_e32 v8, v4
	v_cvt_f32_f16_sdwa v9, v4 dst_sel:DWORD dst_unused:UNUSED_PAD src0_sel:WORD_1
	v_cvt_f32_f16_e32 v4, v5
	v_cvt_f32_f16_sdwa v5, v5 dst_sel:DWORD dst_unused:UNUSED_PAD src0_sel:WORD_1
	v_ashrrev_i32_e32 v7, 31, v6
	v_or_b32_e32 v6, v6, v58
	s_waitcnt lgkmcnt(0)
	v_pk_fma_f32 v[8:9], v[2:3], v[8:9], 0 op_sel_hi:[0,1,0]
	v_mov_b32_e32 v2, v3
	v_lshl_add_u64 v[6:7], v[6:7], 3, s[78:79]
	v_pk_fma_f32 v[2:3], v[2:3], v[4:5], v[8:9] op_sel_hi:[0,1,1]
	global_store_dwordx2 v[6:7], v[2:3], off offset:384
	v_mov_b32_e32 v2, 0
.LBB19_128:                             ;   in Loop: Header=BB19_14 Depth=1
	s_or_b64 exec, exec, s[10:11]
	v_cmp_gt_i32_e64 s[10:11], s64, v2
	s_mov_b64 s[12:13], -1
	s_and_saveexec_b64 s[14:15], s[10:11]
; %bb.129:                              ;   in Loop: Header=BB19_14 Depth=1
	v_cmp_eq_u32_e64 s[10:11], 0, v2
	s_orn2_b64 s[12:13], s[10:11], exec
; %bb.130:                              ;   in Loop: Header=BB19_14 Depth=1
	s_or_b64 exec, exec, s[14:15]
	s_and_b64 exec, exec, s[12:13]
	s_cbranch_execz .LBB19_133
; %bb.131:                              ;   in Loop: Header=BB19_14 Depth=1
	v_add_u32_e32 v2, s57, v175
	v_cmp_gt_i32_e64 s[10:11], s20, v2
	s_and_b64 s[10:11], s[10:11], vcc
	s_and_b64 exec, exec, s[10:11]
	s_cbranch_execz .LBB19_133
; %bb.132:                              ;   in Loop: Header=BB19_14 Depth=1
	v_add_u32_e32 v4, v138, v176
	v_add_u32_e32 v4, 0xc0, v4
	ds_read2st64_b32 v[4:5], v4 offset1:15
	v_mad_u64_u32 v[2:3], s[10:11], v2, s21, v[96:97]
	v_mul_lo_u32 v6, v2, 56
	v_add_u32_e32 v2, 0, v176
	v_add_u32_e32 v2, 0xe0, v2
	ds_read2st64_b32 v[2:3], v2 offset1:15
	s_waitcnt lgkmcnt(1)
	v_cvt_f32_f16_e32 v8, v4
	v_cvt_f32_f16_sdwa v9, v4 dst_sel:DWORD dst_unused:UNUSED_PAD src0_sel:WORD_1
	v_cvt_f32_f16_e32 v4, v5
	v_cvt_f32_f16_sdwa v5, v5 dst_sel:DWORD dst_unused:UNUSED_PAD src0_sel:WORD_1
	v_ashrrev_i32_e32 v7, 31, v6
	v_or_b32_e32 v6, v6, v58
	s_waitcnt lgkmcnt(0)
	v_pk_fma_f32 v[8:9], v[2:3], v[8:9], 0 op_sel_hi:[0,1,0]
	v_mov_b32_e32 v2, v3
	v_lshl_add_u64 v[6:7], v[6:7], 3, s[78:79]
	v_pk_fma_f32 v[2:3], v[2:3], v[4:5], v[8:9] op_sel_hi:[0,1,1]
	global_store_dwordx2 v[6:7], v[2:3], off offset:384
.LBB19_133:                             ;   in Loop: Header=BB19_14 Depth=1
	s_or_b64 exec, exec, s[96:97]
	s_barrier
	s_branch .LBB19_13
.LBB19_134:                             ;   in Loop: Header=BB19_14 Depth=1
	s_lshl_b32 s70, s56, 3
	v_add_u32_e32 v2, s70, v182
	v_cmp_le_i32_e64 s[10:11], s20, v2
	v_cmp_le_i32_e64 s[12:13], s3, v103
	v_cmp_gt_i32_e32 vcc, s3, v103
	s_or_b64 s[10:11], s[10:11], s[12:13]
	s_and_saveexec_b64 s[12:13], s[10:11]
	s_xor_b64 s[10:11], exec, s[12:13]
; %bb.135:                              ;   in Loop: Header=BB19_14 Depth=1
	v_add_u32_e32 v2, v177, v184
	ds_write_b32 v2, v49
                                        ; implicit-def: $vgpr2
; %bb.136:                              ;   in Loop: Header=BB19_14 Depth=1
	s_andn2_saveexec_b64 s[10:11], s[10:11]
	s_cbranch_execz .LBB19_138
; %bb.137:                              ;   in Loop: Header=BB19_14 Depth=1
	v_mad_u64_u32 v[2:3], s[12:13], v2, s59, v[102:103]
	v_ashrrev_i32_e32 v3, 31, v2
	v_lshl_add_u64 v[2:3], v[2:3], 3, s[90:91]
	global_load_dwordx2 v[2:3], v[2:3], off
	s_waitcnt vmcnt(0)
	v_cvt_pk_f16_f32 v2, v2, v3
	v_pk_mul_f16 v2, v2, v178
	v_add_u32_e32 v3, v177, v184
	ds_write_b32 v3, v2
.LBB19_138:                             ;   in Loop: Header=BB19_14 Depth=1
	s_or_b64 exec, exec, s[10:11]
	v_add_u32_e32 v2, s70, v139
	v_cmp_le_i32_e64 s[10:11], s20, v2
	s_xor_b64 s[12:13], vcc, -1
	s_or_b64 s[10:11], s[10:11], s[12:13]
	s_and_saveexec_b64 s[14:15], s[10:11]
	s_xor_b64 s[10:11], exec, s[14:15]
; %bb.139:                              ;   in Loop: Header=BB19_14 Depth=1
	v_add_u32_e32 v2, v177, v184
	ds_write_b32 v2, v49 offset:1920
                                        ; implicit-def: $vgpr2
; %bb.140:                              ;   in Loop: Header=BB19_14 Depth=1
	s_andn2_saveexec_b64 s[10:11], s[10:11]
	s_cbranch_execz .LBB19_142
; %bb.141:                              ;   in Loop: Header=BB19_14 Depth=1
	v_mad_u64_u32 v[2:3], s[14:15], v2, s59, v[102:103]
	v_ashrrev_i32_e32 v3, 31, v2
	v_lshl_add_u64 v[2:3], v[2:3], 3, s[90:91]
	global_load_dwordx2 v[2:3], v[2:3], off
	s_waitcnt vmcnt(0)
	v_cvt_pk_f16_f32 v2, v2, v3
	v_pk_mul_f16 v2, v2, v178
	v_add_u32_e32 v3, v177, v184
	ds_write_b32 v3, v2 offset:1920
.LBB19_142:                             ;   in Loop: Header=BB19_14 Depth=1
	s_or_b64 exec, exec, s[10:11]
	v_add_u32_e32 v2, s70, v140
	v_cmp_le_i32_e32 vcc, s20, v2
	s_or_b64 s[10:11], vcc, s[12:13]
	s_and_saveexec_b64 s[14:15], s[10:11]
	s_xor_b64 s[10:11], exec, s[14:15]
; %bb.143:                              ;   in Loop: Header=BB19_14 Depth=1
	v_add_u32_e32 v2, v177, v184
	ds_write_b32 v2, v49 offset:3840
                                        ; implicit-def: $vgpr2
; %bb.144:                              ;   in Loop: Header=BB19_14 Depth=1
	s_andn2_saveexec_b64 s[10:11], s[10:11]
	s_cbranch_execz .LBB19_146
; %bb.145:                              ;   in Loop: Header=BB19_14 Depth=1
	v_mad_u64_u32 v[2:3], s[14:15], v2, s59, v[102:103]
	v_ashrrev_i32_e32 v3, 31, v2
	v_lshl_add_u64 v[2:3], v[2:3], 3, s[90:91]
	global_load_dwordx2 v[2:3], v[2:3], off
	s_waitcnt vmcnt(0)
	v_cvt_pk_f16_f32 v2, v2, v3
	v_pk_mul_f16 v2, v2, v178
	v_add_u32_e32 v3, v177, v184
	ds_write_b32 v3, v2 offset:3840
.LBB19_146:                             ;   in Loop: Header=BB19_14 Depth=1
	s_or_b64 exec, exec, s[10:11]
	v_add_u32_e32 v2, s70, v141
	v_cmp_le_i32_e32 vcc, s20, v2
	s_or_b64 s[10:11], vcc, s[12:13]
	s_and_saveexec_b64 s[12:13], s[10:11]
	s_xor_b64 s[10:11], exec, s[12:13]
; %bb.147:                              ;   in Loop: Header=BB19_14 Depth=1
	v_add_u32_e32 v2, v177, v184
	ds_write_b32 v2, v49 offset:5760
                                        ; implicit-def: $vgpr2
; %bb.148:                              ;   in Loop: Header=BB19_14 Depth=1
	s_andn2_saveexec_b64 s[10:11], s[10:11]
	s_cbranch_execz .LBB19_150
; %bb.149:                              ;   in Loop: Header=BB19_14 Depth=1
	v_mad_u64_u32 v[2:3], s[12:13], v2, s59, v[102:103]
	v_ashrrev_i32_e32 v3, 31, v2
	v_lshl_add_u64 v[2:3], v[2:3], 3, s[90:91]
	global_load_dwordx2 v[2:3], v[2:3], off
	s_waitcnt vmcnt(0)
	v_cvt_pk_f16_f32 v2, v2, v3
	v_pk_mul_f16 v2, v2, v178
	v_add_u32_e32 v3, v177, v184
	ds_write_b32 v3, v2 offset:5760
.LBB19_150:                             ;   in Loop: Header=BB19_14 Depth=1
	s_or_b64 exec, exec, s[10:11]
	v_or_b32_e32 v2, s2, v92
	v_cmp_gt_i32_e64 s[12:13], s3, v2
	v_cmp_le_i32_e32 vcc, s3, v2
	v_add_u32_e32 v2, s70, v143
	v_cmp_le_i32_e64 s[10:11], s20, v2
	s_or_b64 s[10:11], s[10:11], vcc
	s_and_saveexec_b64 s[14:15], s[10:11]
	s_xor_b64 s[10:11], exec, s[14:15]
; %bb.151:                              ;   in Loop: Header=BB19_14 Depth=1
	ds_write_b32 v145, v49 offset:128
                                        ; implicit-def: $vgpr2
; %bb.152:                              ;   in Loop: Header=BB19_14 Depth=1
	s_andn2_saveexec_b64 s[10:11], s[10:11]
	s_cbranch_execz .LBB19_154
; %bb.153:                              ;   in Loop: Header=BB19_14 Depth=1
	v_mad_u64_u32 v[2:3], s[14:15], v2, s59, v[94:95]
	v_ashrrev_i32_e32 v3, 31, v2
	v_lshl_add_u64 v[2:3], v[2:3], 3, s[90:91]
	global_load_dwordx2 v[2:3], v[2:3], off
	s_waitcnt vmcnt(0)
	v_cvt_pk_f16_f32 v2, v2, v3
	v_pk_mul_f16 v2, v2, v178
	v_add_u32_e32 v3, v142, v144
	ds_write_b32 v3, v2 offset:128
.LBB19_154:                             ;   in Loop: Header=BB19_14 Depth=1
	s_or_b64 exec, exec, s[10:11]
	v_add_u32_e32 v2, s70, v146
	v_cmp_le_i32_e32 vcc, s20, v2
	s_xor_b64 s[10:11], s[12:13], -1
	s_or_b64 s[10:11], vcc, s[10:11]
	s_and_saveexec_b64 s[14:15], s[10:11]
	s_xor_b64 s[10:11], exec, s[14:15]
; %bb.155:                              ;   in Loop: Header=BB19_14 Depth=1
	ds_write_b32 v185, v49 offset:128
                                        ; implicit-def: $vgpr2
; %bb.156:                              ;   in Loop: Header=BB19_14 Depth=1
	s_andn2_saveexec_b64 s[10:11], s[10:11]
	s_cbranch_execz .LBB19_158
; %bb.157:                              ;   in Loop: Header=BB19_14 Depth=1
	v_mad_u64_u32 v[2:3], s[14:15], v2, s59, v[94:95]
	v_ashrrev_i32_e32 v3, 31, v2
	v_lshl_add_u64 v[2:3], v[2:3], 3, s[90:91]
	global_load_dwordx2 v[2:3], v[2:3], off
	s_waitcnt vmcnt(0)
	v_cvt_pk_f16_f32 v2, v2, v3
	v_pk_mul_f16 v2, v2, v178
	v_add_u32_e32 v3, v142, v144
	ds_write_b32 v3, v2 offset:3968
.LBB19_158:                             ;   in Loop: Header=BB19_14 Depth=1
	s_or_b64 exec, exec, s[10:11]
	v_add_u32_e32 v2, s70, v137
	v_or_b32_e32 v3, s2, v96
	v_cmp_le_i32_e32 vcc, s20, v2
	v_cmp_le_i32_e64 s[14:15], s3, v3
	v_cmp_gt_i32_e64 s[10:11], s3, v3
	s_or_b64 s[14:15], vcc, s[14:15]
	s_and_saveexec_b64 s[56:57], s[14:15]
	s_xor_b64 s[14:15], exec, s[56:57]
; %bb.159:                              ;   in Loop: Header=BB19_14 Depth=1
	ds_write_b32 v131, v49 offset:192
                                        ; implicit-def: $vgpr2
; %bb.160:                              ;   in Loop: Header=BB19_14 Depth=1
	s_andn2_saveexec_b64 s[14:15], s[14:15]
	s_cbranch_execz .LBB19_162
; %bb.161:                              ;   in Loop: Header=BB19_14 Depth=1
	v_mad_u64_u32 v[2:3], s[56:57], v2, s59, v[98:99]
	v_ashrrev_i32_e32 v3, 31, v2
	v_lshl_add_u64 v[2:3], v[2:3], 3, s[90:91]
	global_load_dwordx2 v[2:3], v[2:3], off
	s_waitcnt vmcnt(0)
	v_cvt_pk_f16_f32 v2, v2, v3
	v_pk_mul_f16 v2, v2, v178
	ds_write_b32 v131, v2 offset:192
.LBB19_162:                             ;   in Loop: Header=BB19_14 Depth=1
	s_or_b64 exec, exec, s[14:15]
	s_waitcnt lgkmcnt(0)
	s_barrier
	ds_read2_b64 v[10:13], v45 offset1:4
	ds_read2_b64 v[6:9], v45 offset0:8 offset1:12
	ds_read2_b64 v[2:5], v45 offset0:16 offset1:20
	ds_read_b64 v[104:105], v45 offset:192
	v_add_u32_e32 v14, s70, v43
	v_mul_hi_u32 v15, s30, v14
	v_add_u32_e32 v15, v14, v15
	v_lshrrev_b32_e32 v15, s31, v15
	v_mul_lo_u32 v15, v15, s20
	s_cmp_lt_i32 s7, 2
	v_sub_u32_e32 v48, v14, v15
	s_waitcnt lgkmcnt(0)
	s_barrier
	s_cbranch_scc1 .LBB19_169
; %bb.163:                              ;   in Loop: Header=BB19_14 Depth=1
	v_and_b32_e32 v14, 64, v186
	v_add_u32_e32 v14, 64, v14
	v_xor_b32_e32 v15, 32, v186
	v_cmp_lt_i32_e32 vcc, v15, v14
	v_readlane_b32 s14, v201, 32
	v_readlane_b32 s15, v201, 33
	v_cndmask_b32_e32 v15, v186, v15, vcc
	v_lshlrev_b32_e32 v189, 2, v15
	v_xor_b32_e32 v15, 16, v186
	v_cmp_lt_i32_e32 vcc, v15, v14
	s_add_i32 s7, s7, -1
	v_lshl_add_u64 v[108:109], v[74:75], 0, s[94:95]
	v_cndmask_b32_e32 v14, v186, v15, vcc
	v_lshlrev_b32_e32 v190, 2, v14
	v_mov_b64_e32 v[14:15], s[92:93]
	v_mad_i64_i32 v[14:15], s[14:15], s14, v48, v[14:15]
	v_lshl_add_u64 v[106:107], v[72:73], 0, v[14:15]
	v_lshl_add_u64 v[110:111], v[78:79], 0, s[94:95]
	v_lshl_add_u64 v[112:113], v[80:81], 0, s[94:95]
	v_lshl_add_u64 v[114:115], v[82:83], 0, s[94:95]
	v_lshl_add_u64 v[116:117], v[84:85], 0, s[88:89]
	v_lshl_add_u64 v[118:119], v[86:87], 0, s[88:89]
	v_lshl_add_u64 v[120:121], v[88:89], 0, s[88:89]
	v_lshl_add_u64 v[122:123], v[90:91], 0, s[88:89]
	v_mov_b32_e32 v35, 0
	v_mov_b32_e32 v15, 0xfeffffff
	;; [unrolled: 1-line block ×3, first 2 shown]
	s_mov_b32 s56, s7
	v_mov_b32_e32 v34, 0
	v_mov_b32_e32 v31, 0
	;; [unrolled: 1-line block ×13, first 2 shown]
	global_load_dword v22, v[106:107], off
	s_waitcnt vmcnt(0)
	ds_write_b32 v47, v22 offset:15360
	s_and_saveexec_b64 s[14:15], s[4:5]
	s_cbranch_execz .LBB19_165
.LBB19_164:                             ;   in Loop: Header=BB19_14 Depth=1
	v_lshl_add_u64 v[22:23], v[122:123], 0, s[84:85]
	global_load_dwordx4 v[124:127], v[22:23], off
	s_waitcnt vmcnt(0)
	ds_write_b128 v99, v[124:127]
.LBB19_165:                             ;   Parent Loop BB19_14 Depth=1
                                        ; =>  This Inner Loop Header: Depth=2
	s_or_b64 exec, exec, s[14:15]
	v_lshl_add_u64 v[22:23], v[116:117], 0, s[84:85]
	global_load_dwordx4 v[124:127], v[22:23], off
	v_lshl_add_u64 v[36:37], v[118:119], 0, s[84:85]
	v_lshl_add_u64 v[192:193], v[120:121], 0, s[84:85]
	v_add_u32_e32 v25, v180, v134
	s_waitcnt vmcnt(0)
	ds_write_b128 v97, v[124:127]
	global_load_dwordx4 v[124:127], v[36:37], off
	s_waitcnt vmcnt(0)
	ds_write_b128 v132, v[124:127]
	global_load_dwordx4 v[124:127], v[192:193], off
	s_waitcnt vmcnt(0)
	ds_write_b128 v179, v[124:127]
	s_waitcnt lgkmcnt(0)
	s_barrier
	ds_read2_b64 v[124:127], v25 offset1:4
	ds_read_b64 v[22:23], v25 offset:192
	s_waitcnt lgkmcnt(1)
	v_mfma_f32_16x16x16_f16 v[192:195], v[124:125], v[10:11], 0
	v_mfma_f32_16x16x16_f16 v[124:127], v[126:127], v[12:13], v[192:195]
	s_nop 6
	ds_read2_b64 v[192:195], v25 offset0:8 offset1:12
	s_waitcnt lgkmcnt(0)
	v_mfma_f32_16x16x16_f16 v[124:127], v[192:193], v[6:7], v[124:127]
	v_mfma_f32_16x16x16_f16 v[124:127], v[194:195], v[8:9], v[124:127]
	ds_read2_b64 v[192:195], v25 offset0:16 offset1:20
	s_waitcnt lgkmcnt(0)
	v_mfma_f32_16x16x16_f16 v[124:127], v[192:193], v[2:3], v[124:127]
	v_mfma_f32_16x16x16_f16 v[124:127], v[194:195], v[4:5], v[124:127]
	;; [unrolled: 1-line block ×3, first 2 shown]
	v_add_u32_e32 v22, 0x1800, v25
	ds_read2_b64 v[192:195], v22 offset0:192 offset1:196
	s_waitcnt lgkmcnt(0)
	v_mfma_f32_16x16x16_f16 v[196:199], v[192:193], v[10:11], 0
	v_mfma_f32_16x16x16_f16 v[192:195], v[194:195], v[12:13], v[196:199]
	s_nop 6
	ds_read2_b64 v[196:199], v22 offset0:200 offset1:204
	s_waitcnt lgkmcnt(0)
	v_mfma_f32_16x16x16_f16 v[192:195], v[196:197], v[6:7], v[192:195]
	v_mfma_f32_16x16x16_f16 v[192:195], v[198:199], v[8:9], v[192:195]
	ds_read2_b64 v[196:199], v22 offset0:208 offset1:212
	ds_read_b64 v[22:23], v25 offset:7872
	s_waitcnt lgkmcnt(0)
	v_mfma_f32_16x16x16_f16 v[192:195], v[196:197], v[2:3], v[192:195]
	s_barrier
	ds_read_b32 v36, v136 offset:15360
	v_mfma_f32_16x16x16_f16 v[192:195], v[198:199], v[4:5], v[192:195]
	s_waitcnt lgkmcnt(0)
	v_cvt_f32_f16_e32 v37, v36
	v_mfma_f32_16x16x16_f16 v[192:195], v[22:23], v[104:105], v[192:195]
	v_add_u32_e32 v22, 0x3c00, v101
	ds_read2_b32 v[22:23], v22 offset1:1
	v_cvt_f32_f16_sdwa v36, v36 dst_sel:DWORD dst_unused:UNUSED_PAD src0_sel:WORD_1
	s_waitcnt lgkmcnt(0)
	v_cvt_f32_f16_e32 v25, v22
	v_cvt_f32_f16_sdwa v26, v22 dst_sel:DWORD dst_unused:UNUSED_PAD src0_sel:WORD_1
	v_add_f32_e32 v22, v124, v25
	v_cvt_f32_f16_e32 v25, v23
	v_cvt_f32_f16_sdwa v23, v23 dst_sel:DWORD dst_unused:UNUSED_PAD src0_sel:WORD_1
	v_add_f32_e32 v29, v125, v26
	v_add_f32_e32 v125, v194, v37
	;; [unrolled: 1-line block ×4, first 2 shown]
	ds_read_b32 v23, v135 offset:15360
	v_add_f32_e32 v126, v195, v36
	v_add_f32_e32 v36, 0x40051340, v22
	;; [unrolled: 1-line block ×3, first 2 shown]
	v_max3_f32 v36, v15, v36, v37
	s_waitcnt lgkmcnt(0)
	v_cvt_f32_f16_e32 v25, v23
	v_cvt_f32_f16_sdwa v23, v23 dst_sel:DWORD dst_unused:UNUSED_PAD src0_sel:WORD_1
	v_add_f32_e32 v37, 0x40051340, v33
	v_add_f32_e32 v103, 0x40051340, v26
	;; [unrolled: 1-line block ×4, first 2 shown]
	v_max3_f32 v36, v36, v37, v103
	v_add_f32_e32 v37, 0x40051340, v25
	v_add_f32_e32 v103, 0x40051340, v23
	v_max3_f32 v36, v36, v37, v103
	v_add_f32_e32 v37, 0x40051340, v125
	v_add_f32_e32 v103, 0x40051340, v126
	v_max3_f32 v36, v36, v37, v103
	ds_bpermute_b32 v37, v189, v36
	s_waitcnt lgkmcnt(0)
	v_max_f32_e32 v37, v37, v37
	v_max_f32_e32 v36, v36, v37
	ds_bpermute_b32 v37, v190, v36
	s_and_saveexec_b64 s[14:15], s[4:5]
	s_cbranch_execz .LBB19_167
; %bb.166:                              ;   in Loop: Header=BB19_165 Depth=2
	v_lshl_add_u64 v[192:193], v[108:109], 0, s[86:87]
	global_load_dwordx4 v[192:195], v[192:193], off
	s_waitcnt vmcnt(0)
	ds_write_b128 v99, v[192:195]
.LBB19_167:                             ;   in Loop: Header=BB19_165 Depth=2
	s_or_b64 exec, exec, s[14:15]
	s_waitcnt lgkmcnt(0)
	v_max_f32_e32 v37, v37, v37
	v_max_f32_e32 v36, v36, v36
	;; [unrolled: 1-line block ×3, first 2 shown]
	v_sub_f32_e32 v22, v22, v103
	v_mul_f32_e32 v36, 0x3fb8aa3b, v22
	v_fma_f32 v37, v22, s29, -v36
	v_rndne_f32_e32 v124, v36
	v_fmac_f32_e32 v37, 0x32a5705f, v22
	v_sub_f32_e32 v36, v36, v124
	v_add_f32_e32 v36, v36, v37
	v_exp_f32_e32 v36, v36
	v_cvt_i32_f32_e32 v37, v124
	v_cmp_ngt_f32_e32 vcc, s26, v22
	v_sub_f32_e32 v29, v29, v103
	v_sub_f32_e32 v33, v33, v103
	v_ldexp_f32 v36, v36, v37
	v_cndmask_b32_e32 v36, 0, v36, vcc
	v_cmp_nlt_f32_e32 vcc, s55, v22
	v_sub_f32_e32 v26, v26, v103
	v_sub_f32_e32 v25, v25, v103
	v_cndmask_b32_e32 v22, v187, v36, vcc
	v_mul_f32_e32 v36, 0x3fb8aa3b, v29
	v_fma_f32 v37, v29, s29, -v36
	v_rndne_f32_e32 v124, v36
	v_fmac_f32_e32 v37, 0x32a5705f, v29
	v_sub_f32_e32 v36, v36, v124
	v_add_f32_e32 v36, v36, v37
	v_exp_f32_e32 v36, v36
	v_cvt_i32_f32_e32 v37, v124
	v_cmp_ngt_f32_e32 vcc, s26, v29
	v_sub_f32_e32 v23, v23, v103
	v_sub_f32_e32 v15, v15, v103
	v_ldexp_f32 v36, v36, v37
	v_mul_f32_e32 v37, 0x3fb8aa3b, v33
	v_fma_f32 v124, v33, s29, -v37
	v_rndne_f32_e32 v127, v37
	v_fmac_f32_e32 v124, 0x32a5705f, v33
	v_sub_f32_e32 v37, v37, v127
	v_add_f32_e32 v37, v37, v124
	v_exp_f32_e32 v37, v37
	v_cvt_i32_f32_e32 v124, v127
	v_cndmask_b32_e32 v36, 0, v36, vcc
	v_cmp_nlt_f32_e32 vcc, s55, v29
	s_add_i32 s56, s56, -1
	v_ldexp_f32 v37, v37, v124
	v_cndmask_b32_e32 v29, v187, v36, vcc
	v_cmp_ngt_f32_e32 vcc, s26, v33
	v_add_f32_e32 v36, v22, v29
	v_lshl_add_u64 v[106:107], v[106:107], 0, s[74:75]
	v_cndmask_b32_e32 v37, 0, v37, vcc
	v_cmp_nlt_f32_e32 vcc, s55, v33
	v_lshl_add_u64 v[108:109], v[108:109], 0, s[72:73]
	v_lshl_add_u64 v[116:117], v[116:117], 0, s[76:77]
	v_cndmask_b32_e32 v33, v187, v37, vcc
	v_add_f32_e32 v37, v33, v36
	v_mul_f32_e32 v36, 0x3fb8aa3b, v26
	v_fma_f32 v124, v26, s29, -v36
	v_rndne_f32_e32 v127, v36
	v_fmac_f32_e32 v124, 0x32a5705f, v26
	v_sub_f32_e32 v36, v36, v127
	v_add_f32_e32 v36, v36, v124
	v_exp_f32_e32 v36, v36
	v_cvt_i32_f32_e32 v124, v127
	v_cmp_ngt_f32_e32 vcc, s26, v26
	v_lshl_add_u64 v[118:119], v[118:119], 0, s[76:77]
	v_lshl_add_u64 v[120:121], v[120:121], 0, s[76:77]
	v_ldexp_f32 v36, v36, v124
	v_cndmask_b32_e32 v36, 0, v36, vcc
	v_cmp_nlt_f32_e32 vcc, s55, v26
	v_lshl_add_u64 v[122:123], v[122:123], 0, s[76:77]
	s_cmp_lg_u32 s56, 0
	v_cndmask_b32_e32 v36, v187, v36, vcc
	v_add_f32_e32 v26, v36, v37
	v_mul_f32_e32 v37, 0x3fb8aa3b, v25
	v_fma_f32 v124, v25, s29, -v37
	v_rndne_f32_e32 v127, v37
	v_fmac_f32_e32 v124, 0x32a5705f, v25
	v_sub_f32_e32 v37, v37, v127
	v_add_f32_e32 v37, v37, v124
	v_exp_f32_e32 v37, v37
	v_cvt_i32_f32_e32 v124, v127
	v_cmp_ngt_f32_e32 vcc, s26, v25
	v_ldexp_f32 v37, v37, v124
	s_nop 0
	v_cndmask_b32_e32 v37, 0, v37, vcc
	v_cmp_nlt_f32_e32 vcc, s55, v25
	s_nop 1
	v_cndmask_b32_e32 v37, v187, v37, vcc
	v_add_f32_e32 v25, v37, v26
	v_mul_f32_e32 v26, 0x3fb8aa3b, v23
	v_fma_f32 v124, v23, s29, -v26
	v_rndne_f32_e32 v127, v26
	v_fmac_f32_e32 v124, 0x32a5705f, v23
	v_sub_f32_e32 v26, v26, v127
	v_add_f32_e32 v26, v26, v124
	v_exp_f32_e32 v26, v26
	v_cvt_i32_f32_e32 v124, v127
	v_cmp_ngt_f32_e32 vcc, s26, v23
	v_ldexp_f32 v26, v26, v124
	s_nop 0
	v_cndmask_b32_e32 v26, 0, v26, vcc
	v_cmp_nlt_f32_e32 vcc, s55, v23
	s_nop 1
	v_cndmask_b32_e32 v124, v187, v26, vcc
	v_add_f32_e32 v23, v124, v25
	v_sub_f32_e32 v25, v125, v103
	v_mul_f32_e32 v26, 0x3fb8aa3b, v25
	v_fma_f32 v125, v25, s29, -v26
	v_rndne_f32_e32 v127, v26
	v_fmac_f32_e32 v125, 0x32a5705f, v25
	v_sub_f32_e32 v26, v26, v127
	v_add_f32_e32 v26, v26, v125
	v_exp_f32_e32 v26, v26
	v_cvt_i32_f32_e32 v125, v127
	v_cmp_ngt_f32_e32 vcc, s26, v25
	v_cvt_pk_f16_f32 v124, v37, v124
	v_ldexp_f32 v26, v26, v125
	v_cndmask_b32_e32 v26, 0, v26, vcc
	v_cmp_nlt_f32_e32 vcc, s55, v25
	v_sub_f32_e32 v25, v126, v103
	s_nop 0
	v_cndmask_b32_e32 v125, v187, v26, vcc
	v_mul_f32_e32 v26, 0x3fb8aa3b, v25
	v_fma_f32 v126, v25, s29, -v26
	v_rndne_f32_e32 v127, v26
	v_fmac_f32_e32 v126, 0x32a5705f, v25
	v_sub_f32_e32 v26, v26, v127
	v_add_f32_e32 v26, v26, v126
	v_exp_f32_e32 v26, v26
	v_cvt_i32_f32_e32 v126, v127
	v_cmp_ngt_f32_e32 vcc, s26, v25
	v_add_f32_e32 v23, v125, v23
	v_cvt_pk_f16_f32 v127, v33, v36
	v_ldexp_f32 v26, v26, v126
	v_cndmask_b32_e32 v26, 0, v26, vcc
	v_cmp_nlt_f32_e32 vcc, s55, v25
	v_cvt_pk_f16_f32 v126, v22, v29
	s_nop 0
	v_cndmask_b32_e32 v193, v187, v26, vcc
	v_add_f32_e32 v188, v193, v23
	v_mul_f32_e32 v23, 0x3fb8aa3b, v15
	v_fma_f32 v25, v15, s29, -v23
	v_rndne_f32_e32 v26, v23
	v_fmac_f32_e32 v25, 0x32a5705f, v15
	v_sub_f32_e32 v23, v23, v26
	v_add_f32_e32 v23, v23, v25
	v_exp_f32_e32 v23, v23
	v_cvt_i32_f32_e32 v25, v26
	v_cmp_ngt_f32_e32 vcc, s26, v15
	v_cvt_pk_f16_f32 v125, v125, v193
	v_ldexp_f32 v23, v23, v25
	v_cndmask_b32_e32 v23, 0, v23, vcc
	v_cmp_nlt_f32_e32 vcc, s55, v15
	s_nop 1
	v_cndmask_b32_e32 v23, v187, v23, vcc
	v_cmp_le_f32_e32 vcc, s16, v15
	s_nop 1
	v_cndmask_b32_e32 v15, 0, v23, vcc
	v_fmac_f32_e32 v188, v14, v15
	v_cvt_f16_f32_e32 v14, v15
	v_mul_u32_u24_e32 v14, 0x10001, v14
	v_pk_mul_f16 v21, v21, v14
	v_pk_mul_f16 v20, v20, v14
	;; [unrolled: 1-line block ×14, first 2 shown]
	v_lshl_add_u64 v[14:15], v[110:111], 0, s[86:87]
	global_load_dwordx4 v[14:17], v[14:15], off
	v_cvt_f32_f16_e32 v194, v19
	v_cvt_f32_f16_sdwa v195, v19 dst_sel:DWORD dst_unused:UNUSED_PAD src0_sel:WORD_1
	v_cvt_f32_f16_e32 v196, v18
	v_cvt_f32_f16_sdwa v197, v18 dst_sel:DWORD dst_unused:UNUSED_PAD src0_sel:WORD_1
	v_lshl_add_u64 v[110:111], v[110:111], 0, s[72:73]
	s_waitcnt vmcnt(0)
	ds_write_b128 v97, v[14:17]
	v_lshl_add_u64 v[14:15], v[112:113], 0, s[86:87]
	global_load_dwordx4 v[14:17], v[14:15], off
	v_lshl_add_u64 v[112:113], v[112:113], 0, s[72:73]
	s_waitcnt vmcnt(0)
	ds_write_b128 v132, v[14:17]
	v_lshl_add_u64 v[14:15], v[114:115], 0, s[86:87]
	global_load_dwordx4 v[14:17], v[14:15], off
	v_lshl_add_u64 v[114:115], v[114:115], 0, s[72:73]
	s_waitcnt vmcnt(0)
	ds_write_b128 v179, v[14:17]
	s_waitcnt lgkmcnt(0)
	s_barrier
	ds_read_u16 v24, v128 offset:240
	v_cvt_f32_f16_e32 v14, v21
	v_cvt_f32_f16_sdwa v15, v21 dst_sel:DWORD dst_unused:UNUSED_PAD src0_sel:WORD_1
	v_cvt_f32_f16_e32 v16, v20
	v_cvt_f32_f16_sdwa v17, v20 dst_sel:DWORD dst_unused:UNUSED_PAD src0_sel:WORD_1
	ds_read_u16 v20, v129
	ds_read_u16 v27, v129 offset:32
	ds_read_u16 v21, v130
	ds_read_u16 v32, v130 offset:32
	s_waitcnt lgkmcnt(1)
	v_perm_b32 v21, v21, v20, s17
	ds_read_u16 v20, v128
	ds_read_u16 v198, v128 offset:32
	s_waitcnt lgkmcnt(2)
	v_perm_b32 v19, v32, v27, s17
	s_waitcnt lgkmcnt(1)
	v_perm_b32 v20, v24, v20, s17
	s_nop 1
	v_mfma_f32_16x16x16_f16 v[14:17], v[20:21], v[126:127], v[14:17]
	ds_read_u16 v20, v128 offset:7680
	ds_read_u16 v22, v128 offset:7920
	;; [unrolled: 1-line block ×4, first 2 shown]
	s_nop 3
	v_cvt_f16_f32_e32 v14, v14
	v_cvt_f16_f32_e32 v15, v15
	;; [unrolled: 1-line block ×4, first 2 shown]
	s_waitcnt lgkmcnt(0)
	v_perm_b32 v21, v24, v21, s17
	v_perm_b32 v20, v22, v20, s17
	v_cvt_f32_f16_e32 v14, v14
	v_cvt_f32_f16_e32 v15, v15
	;; [unrolled: 1-line block ×4, first 2 shown]
	s_nop 1
	v_mfma_f32_16x16x16_f16 v[14:17], v[20:21], v[124:125], v[14:17]
	ds_read_u16 v20, v128 offset:272
	ds_read_u16 v22, v128 offset:7712
	;; [unrolled: 1-line block ×5, first 2 shown]
	s_waitcnt lgkmcnt(2)
	v_perm_b32 v32, v24, v22, s17
	v_perm_b32 v18, v20, v198, s17
	s_waitcnt lgkmcnt(0)
	v_perm_b32 v33, v29, v27, s17
	ds_read_u16 v22, v128 offset:64
	ds_read_u16 v24, v128 offset:304
	;; [unrolled: 1-line block ×4, first 2 shown]
	v_mfma_f32_16x16x16_f16 v[18:21], v[18:19], v[126:127], v[194:197]
	s_waitcnt lgkmcnt(2)
	v_perm_b32 v22, v24, v22, s17
	s_nop 0
	v_cvt_f32_f16_e32 v196, v23
	v_cvt_f32_f16_sdwa v197, v23 dst_sel:DWORD dst_unused:UNUSED_PAD src0_sel:WORD_1
	s_nop 2
	v_cvt_f16_f32_e32 v18, v18
	v_cvt_f16_f32_e32 v19, v19
	;; [unrolled: 1-line block ×4, first 2 shown]
	s_waitcnt lgkmcnt(0)
	v_perm_b32 v23, v29, v27, s17
	v_cvt_f32_f16_e32 v194, v25
	v_cvt_f32_f16_sdwa v195, v25 dst_sel:DWORD dst_unused:UNUSED_PAD src0_sel:WORD_1
	v_cvt_f32_f16_e32 v18, v18
	v_cvt_f32_f16_e32 v19, v19
	;; [unrolled: 1-line block ×4, first 2 shown]
	v_mfma_f32_16x16x16_f16 v[22:25], v[22:23], v[126:127], v[194:197]
	s_nop 0
	v_mfma_f32_16x16x16_f16 v[18:21], v[32:33], v[124:125], v[18:21]
	ds_read_u16 v27, v128 offset:7744
	ds_read_u16 v29, v128 offset:7984
	;; [unrolled: 1-line block ×4, first 2 shown]
	s_nop 1
	v_cvt_f16_f32_e32 v22, v22
	v_cvt_f16_f32_e32 v23, v23
	;; [unrolled: 1-line block ×4, first 2 shown]
	s_waitcnt lgkmcnt(0)
	v_perm_b32 v33, v33, v32, s17
	v_perm_b32 v32, v29, v27, s17
	v_cvt_f32_f16_e32 v22, v22
	v_cvt_f32_f16_e32 v23, v23
	v_cvt_f32_f16_e32 v24, v24
	v_cvt_f32_f16_e32 v25, v25
	v_cvt_f32_f16_e32 v196, v26
	v_cvt_f32_f16_sdwa v197, v26 dst_sel:DWORD dst_unused:UNUSED_PAD src0_sel:WORD_1
	v_mfma_f32_16x16x16_f16 v[22:25], v[32:33], v[124:125], v[22:25]
	ds_read_u16 v29, v128 offset:96
	ds_read_u16 v32, v128 offset:336
	;; [unrolled: 1-line block ×4, first 2 shown]
	v_cvt_f32_f16_e32 v194, v28
	v_cvt_f32_f16_sdwa v195, v28 dst_sel:DWORD dst_unused:UNUSED_PAD src0_sel:WORD_1
	s_waitcnt lgkmcnt(2)
	v_perm_b32 v26, v32, v29, s17
	v_cvt_pk_f16_f32 v24, v24, v25
	s_waitcnt lgkmcnt(0)
	v_perm_b32 v27, v33, v27, s17
	ds_read_u16 v32, v128 offset:7776
	ds_read_u16 v36, v128 offset:8016
	;; [unrolled: 1-line block ×4, first 2 shown]
	v_mfma_f32_16x16x16_f16 v[26:29], v[26:27], v[126:127], v[194:197]
	s_waitcnt lgkmcnt(0)
	v_perm_b32 v33, v37, v33, s17
	v_perm_b32 v32, v36, v32, s17
	v_cvt_f32_f16_e32 v194, v31
	s_nop 3
	v_cvt_f16_f32_e32 v26, v26
	v_cvt_f16_f32_e32 v27, v27
	;; [unrolled: 1-line block ×4, first 2 shown]
	v_cvt_f32_f16_e32 v26, v26
	v_cvt_f32_f16_e32 v27, v27
	;; [unrolled: 1-line block ×4, first 2 shown]
	v_cvt_f32_f16_sdwa v195, v31 dst_sel:DWORD dst_unused:UNUSED_PAD src0_sel:WORD_1
	v_cvt_f32_f16_e32 v196, v30
	v_mfma_f32_16x16x16_f16 v[26:29], v[32:33], v[124:125], v[26:29]
	ds_read_u16 v32, v128 offset:128
	ds_read_u16 v33, v128 offset:368
	;; [unrolled: 1-line block ×4, first 2 shown]
	v_cvt_f32_f16_sdwa v197, v30 dst_sel:DWORD dst_unused:UNUSED_PAD src0_sel:WORD_1
	v_cvt_pk_f16_f32 v19, v18, v19
	s_waitcnt lgkmcnt(2)
	v_perm_b32 v30, v33, v32, s17
	v_cvt_pk_f16_f32 v18, v20, v21
	s_waitcnt lgkmcnt(0)
	v_perm_b32 v31, v37, v36, s17
	v_cvt_pk_f16_f32 v21, v14, v15
	v_cvt_pk_f16_f32 v20, v16, v17
	v_mfma_f32_16x16x16_f16 v[30:33], v[30:31], v[126:127], v[194:197]
	ds_read_u16 v36, v128 offset:7808
	ds_read_u16 v193, v128 offset:8048
	;; [unrolled: 1-line block ×4, first 2 shown]
	v_cvt_f32_f16_sdwa v195, v35 dst_sel:DWORD dst_unused:UNUSED_PAD src0_sel:WORD_1
	v_cvt_f32_f16_e32 v196, v34
	s_nop 1
	v_cvt_f16_f32_e32 v30, v30
	v_cvt_f16_f32_e32 v31, v31
	;; [unrolled: 1-line block ×4, first 2 shown]
	s_waitcnt lgkmcnt(0)
	v_perm_b32 v37, v194, v37, s17
	v_perm_b32 v36, v193, v36, s17
	v_cvt_f32_f16_e32 v30, v30
	v_cvt_f32_f16_e32 v31, v31
	;; [unrolled: 1-line block ×5, first 2 shown]
	v_cvt_f32_f16_sdwa v197, v34 dst_sel:DWORD dst_unused:UNUSED_PAD src0_sel:WORD_1
	v_mfma_f32_16x16x16_f16 v[30:33], v[36:37], v[124:125], v[30:33]
	ds_read_u16 v36, v128 offset:160
	ds_read_u16 v37, v128 offset:400
	;; [unrolled: 1-line block ×4, first 2 shown]
	s_waitcnt lgkmcnt(2)
	v_perm_b32 v34, v37, v36, s17
	s_nop 1
	v_cvt_pk_f16_f32 v31, v30, v31
	s_waitcnt lgkmcnt(0)
	v_perm_b32 v35, v198, v193, s17
	v_cvt_pk_f16_f32 v30, v32, v33
	v_cvt_pk_f16_f32 v32, v26, v27
	v_mfma_f32_16x16x16_f16 v[34:37], v[34:35], v[126:127], v[194:197]
	ds_read_u16 v193, v128 offset:7840
	s_nop 1
	ds_read_u16 v194, v128 offset:8080
	ds_read_u16 v195, v129 offset:7840
	;; [unrolled: 1-line block ×3, first 2 shown]
	v_cvt_f32_f16_sdwa v197, v191 dst_sel:DWORD dst_unused:UNUSED_PAD src0_sel:WORD_1
	v_cvt_pk_f16_f32 v27, v28, v29
	v_cvt_f16_f32_e32 v34, v34
	v_cvt_f16_f32_e32 v35, v35
	;; [unrolled: 1-line block ×4, first 2 shown]
	s_waitcnt lgkmcnt(0)
	v_perm_b32 v195, v196, v195, s17
	v_perm_b32 v194, v194, v193, s17
	ds_read_u16 v198, v128 offset:192
	ds_read_u16 v199, v128 offset:432
	;; [unrolled: 1-line block ×4, first 2 shown]
	v_cvt_f32_f16_e32 v34, v34
	v_cvt_f32_f16_e32 v35, v35
	;; [unrolled: 1-line block ×4, first 2 shown]
	s_waitcnt lgkmcnt(0)
	v_perm_b32 v193, v200, v193, s17
	v_cvt_f32_f16_e32 v196, v191
	v_mfma_f32_16x16x16_f16 v[34:37], v[194:195], v[124:125], v[34:37]
	v_cvt_f32_f16_e32 v194, v192
	v_cvt_f32_f16_sdwa v195, v192 dst_sel:DWORD dst_unused:UNUSED_PAD src0_sel:WORD_1
	v_perm_b32 v192, v199, v198, s17
	v_cvt_pk_f16_f32 v28, v22, v23
	s_nop 3
	v_cvt_pk_f16_f32 v35, v34, v35
	v_mfma_f32_16x16x16_f16 v[192:195], v[192:193], v[126:127], v[194:197]
	v_cvt_pk_f16_f32 v34, v36, v37
	s_nop 6
	v_cvt_f16_f32_e32 v127, v192
	v_cvt_f16_f32_e32 v191, v193
	;; [unrolled: 1-line block ×4, first 2 shown]
	ds_read_u16 v126, v128 offset:7872
	ds_read_u16 v194, v128 offset:8112
	;; [unrolled: 1-line block ×4, first 2 shown]
	v_cvt_f32_f16_e32 v196, v127
	v_cvt_f32_f16_e32 v197, v191
	s_waitcnt lgkmcnt(2)
	v_perm_b32 v126, v194, v126, s17
	v_cvt_f32_f16_e32 v198, v192
	s_waitcnt lgkmcnt(0)
	v_perm_b32 v127, v200, v195, s17
	v_cvt_f32_f16_e32 v199, v193
	s_barrier
	s_nop 0
	v_mfma_f32_16x16x16_f16 v[124:127], v[126:127], v[124:125], v[196:199]
	s_nop 7
	v_cvt_pk_f16_f32 v17, v124, v125
	v_cvt_pk_f16_f32 v16, v126, v127
	s_cbranch_scc0 .LBB19_170
; %bb.168:                              ;   in Loop: Header=BB19_165 Depth=2
	v_mov_b32_e32 v14, v188
	v_mov_b32_e32 v15, v103
	global_load_dword v22, v[106:107], off
	s_waitcnt vmcnt(0)
	ds_write_b32 v47, v22 offset:15360
	s_and_saveexec_b64 s[14:15], s[4:5]
	s_cbranch_execnz .LBB19_164
	s_branch .LBB19_165
.LBB19_169:                             ;   in Loop: Header=BB19_14 Depth=1
	v_mov_b32_e32 v103, 0xfeffffff
	v_mov_b32_e32 v188, 0
	s_mov_b64 s[14:15], 0
	v_mov_b32_e32 v16, 0
	v_mov_b32_e32 v17, 0
	;; [unrolled: 1-line block ×14, first 2 shown]
	s_branch .LBB19_171
.LBB19_170:                             ;   in Loop: Header=BB19_14 Depth=1
	s_lshl_b32 s64, s7, 6
	s_mov_b64 s[14:15], s[64:65]
	s_movk_i32 s64, 0x47
.LBB19_171:                             ;   in Loop: Header=BB19_14 Depth=1
	v_readlane_b32 s56, v201, 30
	v_readlane_b32 s57, v201, 31
	s_mul_i32 s7, s14, s23
	v_mad_i64_i32 v[14:15], s[56:57], v48, s56, 0
	s_lshl_b64 s[56:57], s[14:15], 1
	s_add_u32 s56, s82, s56
	s_addc_u32 s57, s83, s57
	v_lshl_add_u64 v[14:15], v[14:15], 1, s[56:57]
	v_lshlrev_b32_e32 v48, 1, v42
	v_lshl_add_u64 v[14:15], v[14:15], 0, v[48:49]
	global_load_dword v14, v[14:15], off
	s_mul_hi_u32 s15, s14, s22
	s_mul_i32 s56, s14, s22
	s_add_i32 s57, s15, s7
	s_lshl_b64 s[56:57], s[56:57], 2
	s_add_u32 s82, s6, s56
	s_addc_u32 s83, s33, s57
	s_waitcnt vmcnt(0)
	ds_write_b32 v47, v14 offset:15360
	s_and_saveexec_b64 s[84:85], s[4:5]
	s_cbranch_execz .LBB19_173
; %bb.172:                              ;   in Loop: Header=BB19_14 Depth=1
	v_lshl_add_u64 v[14:15], v[62:63], 2, s[82:83]
	v_lshlrev_b32_e32 v48, 2, v46
	v_lshl_add_u64 v[14:15], v[14:15], 0, v[48:49]
	global_load_dwordx4 v[106:109], v[14:15], off offset:192
	s_waitcnt vmcnt(0)
	ds_write_b128 v99, v[106:109]
.LBB19_173:                             ;   in Loop: Header=BB19_14 Depth=1
	s_or_b64 exec, exec, s[84:85]
	v_lshl_add_u64 v[14:15], v[52:53], 2, s[82:83]
	v_lshlrev_b32_e32 v48, 2, v44
	v_lshl_add_u64 v[22:23], v[14:15], 0, v[48:49]
	v_lshlrev_b32_e32 v14, 2, v60
	v_mov_b32_e32 v15, v49
	v_lshl_add_u64 v[106:107], v[56:57], 2, s[82:83]
	v_lshl_add_u64 v[110:111], v[106:107], 0, v[14:15]
	global_load_dwordx4 v[106:109], v[22:23], off offset:128
	v_lshl_add_u64 v[36:37], v[54:55], 2, s[82:83]
	v_lshl_add_u64 v[36:37], v[36:37], 0, v[14:15]
	v_add_u32_e32 v25, v180, v134
	s_mul_i32 s6, s14, s19
	s_mul_hi_u32 s7, s14, s18
	s_add_i32 s7, s7, s6
	s_mul_i32 s6, s14, s18
	s_lshl_b64 s[6:7], s[6:7], 2
	s_add_u32 s14, s66, s6
	s_addc_u32 s15, s28, s7
	s_waitcnt vmcnt(0)
	ds_write_b128 v97, v[106:109]
	global_load_dwordx4 v[106:109], v[36:37], off
	s_waitcnt vmcnt(0)
	ds_write_b128 v132, v[106:109]
	global_load_dwordx4 v[106:109], v[110:111], off
	s_waitcnt vmcnt(0)
	ds_write_b128 v179, v[106:109]
	s_waitcnt lgkmcnt(0)
	s_barrier
	ds_read2_b64 v[106:109], v25 offset1:4
	s_waitcnt lgkmcnt(0)
	v_mfma_f32_16x16x16_f16 v[110:113], v[106:107], v[10:11], 0
	ds_read_b64 v[22:23], v25 offset:192
	v_mfma_f32_16x16x16_f16 v[106:109], v[108:109], v[12:13], v[110:113]
	s_nop 5
	ds_read2_b64 v[110:113], v25 offset0:8 offset1:12
	s_waitcnt lgkmcnt(0)
	v_mfma_f32_16x16x16_f16 v[106:109], v[110:111], v[6:7], v[106:109]
	v_mfma_f32_16x16x16_f16 v[106:109], v[112:113], v[8:9], v[106:109]
	ds_read2_b64 v[110:113], v25 offset0:16 offset1:20
	s_waitcnt lgkmcnt(0)
	v_mfma_f32_16x16x16_f16 v[106:109], v[110:111], v[2:3], v[106:109]
	v_mfma_f32_16x16x16_f16 v[106:109], v[112:113], v[4:5], v[106:109]
	;; [unrolled: 1-line block ×3, first 2 shown]
	v_add_u32_e32 v22, 0x1800, v25
	ds_read2_b64 v[110:113], v22 offset0:192 offset1:196
	s_waitcnt lgkmcnt(0)
	v_mfma_f32_16x16x16_f16 v[114:117], v[110:111], v[10:11], 0
	v_mfma_f32_16x16x16_f16 v[10:13], v[112:113], v[12:13], v[114:117]
	ds_read2_b64 v[110:113], v22 offset0:200 offset1:204
	s_waitcnt lgkmcnt(0)
	v_mfma_f32_16x16x16_f16 v[10:13], v[110:111], v[6:7], v[10:13]
	v_mfma_f32_16x16x16_f16 v[6:9], v[112:113], v[8:9], v[10:13]
	s_nop 6
	ds_read2_b64 v[10:13], v22 offset0:208 offset1:212
	s_waitcnt lgkmcnt(0)
	v_mfma_f32_16x16x16_f16 v[6:9], v[10:11], v[2:3], v[6:9]
	v_mfma_f32_16x16x16_f16 v[2:5], v[12:13], v[4:5], v[6:9]
	s_nop 6
	ds_read_b64 v[6:7], v25 offset:7872
	s_waitcnt lgkmcnt(0)
	v_mfma_f32_16x16x16_f16 v[10:13], v[6:7], v[104:105], v[2:5]
	s_nop 2
	v_add_u32_e32 v2, 0x3c00, v101
	s_barrier
	ds_read2_b32 v[2:3], v2 offset1:1
	s_waitcnt lgkmcnt(0)
	v_cvt_f32_f16_e32 v4, v2
	v_cvt_f32_f16_sdwa v2, v2 dst_sel:DWORD dst_unused:UNUSED_PAD src0_sel:WORD_1
	v_add_f32_e32 v9, v106, v4
	v_add_f32_e32 v8, v107, v2
	v_cvt_f32_f16_e32 v2, v3
	v_cvt_f32_f16_sdwa v3, v3 dst_sel:DWORD dst_unused:UNUSED_PAD src0_sel:WORD_1
	v_add_f32_e32 v7, v108, v2
	ds_read_b32 v2, v135 offset:15360
	v_add_f32_e32 v6, v109, v3
	s_waitcnt lgkmcnt(0)
	v_cvt_f32_f16_e32 v3, v2
	v_cvt_f32_f16_sdwa v2, v2 dst_sel:DWORD dst_unused:UNUSED_PAD src0_sel:WORD_1
	v_add_f32_e32 v5, v10, v3
	v_add_f32_e32 v4, v11, v2
	ds_read_b32 v2, v136 offset:15360
	v_add_f32_e32 v10, 0x40051340, v9
	v_add_f32_e32 v11, 0x40051340, v8
	v_max3_f32 v10, v103, v10, v11
	v_add_f32_e32 v11, 0x40051340, v7
	s_waitcnt lgkmcnt(0)
	v_cvt_f32_f16_e32 v3, v2
	v_cvt_f32_f16_sdwa v2, v2 dst_sel:DWORD dst_unused:UNUSED_PAD src0_sel:WORD_1
	v_add_f32_e32 v3, v12, v3
	v_add_f32_e32 v12, 0x40051340, v6
	;; [unrolled: 1-line block ×3, first 2 shown]
	v_max3_f32 v10, v10, v11, v12
	v_add_f32_e32 v11, 0x40051340, v5
	v_add_f32_e32 v12, 0x40051340, v4
	v_max3_f32 v10, v10, v11, v12
	v_add_f32_e32 v11, 0x40051340, v3
	v_add_f32_e32 v12, 0x40051340, v2
	v_max3_f32 v10, v10, v11, v12
	v_and_b32_e32 v11, 64, v186
	v_add_u32_e32 v11, 64, v11
	v_xor_b32_e32 v12, 32, v186
	v_cmp_lt_i32_e32 vcc, v12, v11
	s_nop 1
	v_cndmask_b32_e32 v12, v186, v12, vcc
	v_lshlrev_b32_e32 v23, 2, v12
	ds_bpermute_b32 v12, v23, v10
	s_waitcnt lgkmcnt(0)
	v_max_f32_e32 v12, v12, v12
	v_max_f32_e32 v10, v10, v12
	v_xor_b32_e32 v12, 16, v186
	v_cmp_lt_i32_e32 vcc, v12, v11
	s_nop 1
	v_cndmask_b32_e32 v11, v186, v12, vcc
	v_lshlrev_b32_e32 v26, 2, v11
	ds_bpermute_b32 v11, v26, v10
	s_and_saveexec_b64 s[82:83], s[4:5]
	s_cbranch_execz .LBB19_175
; %bb.174:                              ;   in Loop: Header=BB19_14 Depth=1
	v_lshl_add_u64 v[12:13], v[64:65], 2, s[14:15]
	v_lshlrev_b32_e32 v36, 2, v46
	v_mov_b32_e32 v37, v49
	v_lshl_add_u64 v[12:13], v[12:13], 0, v[36:37]
	global_load_dwordx4 v[104:107], v[12:13], off offset:192
	s_waitcnt vmcnt(0)
	ds_write_b128 v99, v[104:107]
.LBB19_175:                             ;   in Loop: Header=BB19_14 Depth=1
	s_or_b64 exec, exec, s[82:83]
	s_waitcnt lgkmcnt(0)
	v_max_f32_e32 v11, v11, v11
	v_max_f32_e32 v10, v10, v10
	;; [unrolled: 1-line block ×3, first 2 shown]
	v_sub_f32_e32 v9, v9, v22
	v_mul_f32_e32 v10, 0x3fb8aa3b, v9
	v_fma_f32 v11, v9, s29, -v10
	v_rndne_f32_e32 v12, v10
	v_fmac_f32_e32 v11, 0x32a5705f, v9
	v_sub_f32_e32 v10, v10, v12
	v_add_f32_e32 v10, v10, v11
	v_exp_f32_e32 v10, v10
	v_cvt_i32_f32_e32 v11, v12
	v_sub_f32_e32 v8, v8, v22
	v_cmp_ngt_f32_e32 vcc, s26, v9
	v_sub_f32_e32 v7, v7, v22
	v_ldexp_f32 v10, v10, v11
	v_mul_f32_e32 v11, 0x3fb8aa3b, v8
	v_fma_f32 v12, v8, s29, -v11
	v_rndne_f32_e32 v13, v11
	v_fmac_f32_e32 v12, 0x32a5705f, v8
	v_sub_f32_e32 v11, v11, v13
	v_add_f32_e32 v11, v11, v12
	v_exp_f32_e32 v11, v11
	v_cvt_i32_f32_e32 v12, v13
	v_cndmask_b32_e32 v10, 0, v10, vcc
	v_cmp_nlt_f32_e32 vcc, s55, v9
	v_sub_f32_e32 v6, v6, v22
	v_ldexp_f32 v9, v11, v12
	v_cndmask_b32_e32 v33, v187, v10, vcc
	v_mul_f32_e32 v10, 0x3fb8aa3b, v7
	v_fma_f32 v11, v7, s29, -v10
	v_rndne_f32_e32 v12, v10
	v_fmac_f32_e32 v11, 0x32a5705f, v7
	v_sub_f32_e32 v10, v10, v12
	v_add_f32_e32 v10, v10, v11
	v_exp_f32_e32 v10, v10
	v_cvt_i32_f32_e32 v11, v12
	v_cmp_ngt_f32_e32 vcc, s26, v8
	v_sub_f32_e32 v5, v5, v22
	v_lshl_add_u64 v[36:37], v[66:67], 2, s[14:15]
	v_cndmask_b32_e32 v9, 0, v9, vcc
	v_cmp_nlt_f32_e32 vcc, s55, v8
	v_sub_f32_e32 v4, v4, v22
	v_sub_f32_e32 v3, v3, v22
	v_cndmask_b32_e32 v108, v187, v9, vcc
	v_ldexp_f32 v9, v10, v11
	v_mul_f32_e32 v10, 0x3fb8aa3b, v6
	v_fma_f32 v11, v6, s29, -v10
	v_rndne_f32_e32 v12, v10
	v_fmac_f32_e32 v11, 0x32a5705f, v6
	v_sub_f32_e32 v10, v10, v12
	v_add_f32_e32 v10, v10, v11
	v_exp_f32_e32 v10, v10
	v_cvt_i32_f32_e32 v11, v12
	v_cmp_ngt_f32_e32 vcc, s26, v7
	v_add_f32_e32 v8, v33, v108
	v_sub_f32_e32 v2, v2, v22
	v_cndmask_b32_e32 v9, 0, v9, vcc
	v_cmp_nlt_f32_e32 vcc, s55, v7
	s_cmp_lg_u64 s[80:81], 0
	s_cselect_b64 s[6:7], -1, 0
	v_cndmask_b32_e32 v25, v187, v9, vcc
	v_mul_f32_e32 v9, 0x3fb8aa3b, v5
	v_add_f32_e32 v7, v25, v8
	v_ldexp_f32 v8, v10, v11
	v_fma_f32 v10, v5, s29, -v9
	v_rndne_f32_e32 v11, v9
	v_fmac_f32_e32 v10, 0x32a5705f, v5
	v_sub_f32_e32 v9, v9, v11
	v_add_f32_e32 v9, v9, v10
	v_cmp_ngt_f32_e32 vcc, s26, v6
	v_exp_f32_e32 v9, v9
	v_cvt_i32_f32_e32 v10, v11
	v_cndmask_b32_e32 v8, 0, v8, vcc
	v_cmp_nlt_f32_e32 vcc, s55, v6
	s_and_b64 s[6:7], s[0:1], s[6:7]
	v_ldexp_f32 v110, v9, v10
	v_cndmask_b32_e32 v109, v187, v8, vcc
	v_add_f32_e32 v29, v109, v7
	v_lshl_add_u64 v[6:7], v[70:71], 2, s[14:15]
	v_lshl_add_u64 v[6:7], v[6:7], 0, v[48:49]
	;; [unrolled: 1-line block ×3, first 2 shown]
	global_load_dwordx4 v[6:9], v[6:7], off offset:128
	v_lshl_add_u64 v[10:11], v[10:11], 0, v[14:15]
	global_load_dwordx4 v[10:13], v[10:11], off
	v_lshl_add_u64 v[14:15], v[36:37], 0, v[14:15]
	global_load_dwordx4 v[104:107], v[14:15], off
	v_mul_f32_e32 v15, 0x3fb8aa3b, v4
	v_fma_f32 v36, v4, s29, -v15
	v_rndne_f32_e32 v37, v15
	v_fmac_f32_e32 v36, 0x32a5705f, v4
	v_sub_f32_e32 v15, v15, v37
	v_add_f32_e32 v15, v15, v36
	v_exp_f32_e32 v15, v15
	v_cvt_i32_f32_e32 v36, v37
	v_cmp_ngt_f32_e32 vcc, s26, v5
	v_cvt_pk_f16_f32 v25, v25, v109
	s_waitcnt vmcnt(2)
	ds_write_b128 v97, v[6:9]
	s_waitcnt vmcnt(1)
	ds_write_b128 v132, v[10:13]
	;; [unrolled: 2-line block ×3, first 2 shown]
	v_cndmask_b32_e32 v14, 0, v110, vcc
	v_cmp_nlt_f32_e32 vcc, s55, v5
	s_waitcnt lgkmcnt(0)
	s_barrier
	v_cndmask_b32_e32 v37, v187, v14, vcc
	v_ldexp_f32 v14, v15, v36
	v_mul_f32_e32 v15, 0x3fb8aa3b, v3
	v_add_f32_e32 v5, v37, v29
	v_fma_f32 v29, v3, s29, -v15
	v_rndne_f32_e32 v36, v15
	v_fmac_f32_e32 v29, 0x32a5705f, v3
	v_sub_f32_e32 v15, v15, v36
	v_add_f32_e32 v15, v15, v29
	v_exp_f32_e32 v15, v15
	v_cvt_i32_f32_e32 v29, v36
	v_cmp_ngt_f32_e32 vcc, s26, v4
	ds_read_u16 v6, v128 offset:240
	s_nop 0
	v_cndmask_b32_e32 v14, 0, v14, vcc
	v_cmp_nlt_f32_e32 vcc, s55, v4
	ds_read_u16 v7, v129
	ds_read_u16 v8, v130
	;; [unrolled: 1-line block ×3, first 2 shown]
	v_cndmask_b32_e32 v36, v187, v14, vcc
	v_mul_f32_e32 v14, 0x3fb8aa3b, v2
	v_add_f32_e32 v4, v36, v5
	v_ldexp_f32 v5, v15, v29
	v_fma_f32 v15, v2, s29, -v14
	v_rndne_f32_e32 v29, v14
	v_fmac_f32_e32 v15, 0x32a5705f, v2
	v_sub_f32_e32 v14, v14, v29
	v_add_f32_e32 v14, v14, v15
	v_exp_f32_e32 v14, v14
	v_cvt_i32_f32_e32 v15, v29
	v_cmp_ngt_f32_e32 vcc, s26, v3
	s_waitcnt lgkmcnt(1)
	v_perm_b32 v7, v8, v7, s17
	s_waitcnt lgkmcnt(0)
	v_perm_b32 v6, v6, v9, s17
	v_cndmask_b32_e32 v5, 0, v5, vcc
	v_cmp_nlt_f32_e32 vcc, s55, v3
	ds_read_u16 v9, v129 offset:32
	ds_read_u16 v10, v130 offset:32
	v_cndmask_b32_e32 v48, v187, v5, vcc
	v_sub_f32_e32 v5, v103, v22
	v_add_f32_e32 v3, v48, v4
	v_ldexp_f32 v4, v14, v15
	v_mul_f32_e32 v14, 0x3fb8aa3b, v5
	v_fma_f32 v15, v5, s29, -v14
	v_rndne_f32_e32 v29, v14
	v_fmac_f32_e32 v15, 0x32a5705f, v5
	v_sub_f32_e32 v14, v14, v29
	v_add_f32_e32 v14, v14, v15
	v_exp_f32_e32 v14, v14
	v_cvt_i32_f32_e32 v15, v29
	v_cmp_ngt_f32_e32 vcc, s26, v2
	v_cmp_ngt_f32_e64 s[14:15], s26, v5
	s_nop 0
	v_cndmask_b32_e32 v4, 0, v4, vcc
	v_cmp_nlt_f32_e32 vcc, s55, v2
	v_ldexp_f32 v2, v14, v15
	v_cndmask_b32_e64 v2, 0, v2, s[14:15]
	v_cmp_nlt_f32_e64 s[14:15], s55, v5
	v_cndmask_b32_e32 v103, v187, v4, vcc
	v_add_f32_e32 v29, v103, v3
	v_cndmask_b32_e64 v2, v187, v2, s[14:15]
	v_cmp_le_f32_e64 s[14:15], s16, v5
	s_nop 1
	v_cndmask_b32_e64 v2, 0, v2, s[14:15]
	v_cvt_f16_f32_e32 v5, v2
	v_fmac_f32_e32 v29, v188, v2
	ds_bpermute_b32 v23, v23, v29
	v_mul_u32_u24_e32 v110, 0x10001, v5
	v_pk_mul_f16 v3, v21, v110
	v_pk_mul_f16 v5, v20, v110
	v_cvt_f32_f16_e32 v2, v3
	v_cvt_f32_f16_sdwa v3, v3 dst_sel:DWORD dst_unused:UNUSED_PAD src0_sel:WORD_1
	v_cvt_f32_f16_e32 v4, v5
	v_cvt_f32_f16_sdwa v5, v5 dst_sel:DWORD dst_unused:UNUSED_PAD src0_sel:WORD_1
	v_pk_mul_f16 v111, v24, v110
	v_cvt_pk_f16_f32 v24, v33, v108
	v_pk_mul_f16 v19, v19, v110
	v_pk_mul_f16 v18, v18, v110
	v_mfma_f32_16x16x16_f16 v[2:5], v[6:7], v[24:25], v[2:5]
	ds_read_u16 v6, v128 offset:7680
	ds_read_u16 v7, v129 offset:7680
	;; [unrolled: 1-line block ×6, first 2 shown]
	s_nop 1
	v_cvt_f16_f32_e32 v2, v2
	v_cvt_f16_f32_e32 v3, v3
	;; [unrolled: 1-line block ×4, first 2 shown]
	s_waitcnt lgkmcnt(3)
	v_perm_b32 v7, v8, v7, s17
	s_waitcnt lgkmcnt(2)
	v_perm_b32 v6, v11, v6, s17
	v_cvt_f32_f16_e32 v2, v2
	v_cvt_f32_f16_e32 v3, v3
	v_cvt_f32_f16_e32 v4, v4
	v_cvt_f32_f16_e32 v5, v5
	v_cvt_pk_f16_f32 v21, v48, v103
	v_cvt_pk_f16_f32 v20, v37, v36
	v_perm_b32 v11, v10, v9, s17
	s_waitcnt lgkmcnt(0)
	v_perm_b32 v10, v13, v12, s17
	v_mfma_f32_16x16x16_f16 v[2:5], v[6:7], v[20:21], v[2:5]
	v_cvt_f32_f16_e32 v6, v19
	v_cvt_f32_f16_sdwa v7, v19 dst_sel:DWORD dst_unused:UNUSED_PAD src0_sel:WORD_1
	v_cvt_f32_f16_e32 v8, v18
	v_cvt_f32_f16_sdwa v9, v18 dst_sel:DWORD dst_unused:UNUSED_PAD src0_sel:WORD_1
	v_pk_mul_f16 v14, v27, v110
	v_pk_mul_f16 v48, v30, v110
	v_mfma_f32_16x16x16_f16 v[6:9], v[10:11], v[24:25], v[6:9]
	ds_read_u16 v10, v128 offset:7712
	ds_read_u16 v11, v129 offset:7712
	;; [unrolled: 1-line block ×4, first 2 shown]
	v_pk_mul_f16 v103, v17, v110
	v_pk_mul_f16 v27, v16, v110
	s_nop 1
	v_cvt_f16_f32_e32 v6, v6
	v_cvt_f16_f32_e32 v7, v7
	;; [unrolled: 1-line block ×4, first 2 shown]
	s_waitcnt lgkmcnt(0)
	v_perm_b32 v10, v13, v10, s17
	ds_read_u16 v13, v128 offset:64
	ds_read_u16 v16, v129 offset:64
	;; [unrolled: 1-line block ×4, first 2 shown]
	v_perm_b32 v11, v12, v11, s17
	v_cvt_f32_f16_e32 v6, v6
	v_cvt_f32_f16_e32 v7, v7
	;; [unrolled: 1-line block ×4, first 2 shown]
	v_pk_mul_f16 v28, v28, v110
	s_waitcnt lgkmcnt(1)
	v_perm_b32 v17, v17, v16, s17
	s_waitcnt lgkmcnt(0)
	v_perm_b32 v16, v30, v13, s17
	v_mfma_f32_16x16x16_f16 v[6:9], v[10:11], v[20:21], v[6:9]
	v_cvt_f32_f16_e32 v10, v28
	v_cvt_f32_f16_sdwa v11, v28 dst_sel:DWORD dst_unused:UNUSED_PAD src0_sel:WORD_1
	v_cvt_f32_f16_e32 v12, v111
	v_cvt_f32_f16_sdwa v13, v111 dst_sel:DWORD dst_unused:UNUSED_PAD src0_sel:WORD_1
	v_pk_mul_f16 v33, v31, v110
	v_cvt_f16_f32_e32 v4, v4
	v_mfma_f32_16x16x16_f16 v[10:13], v[16:17], v[24:25], v[10:13]
	ds_read_u16 v16, v128 offset:7744
	ds_read_u16 v17, v129 offset:7744
	ds_read_u16 v30, v130 offset:7744
	ds_read_u16 v31, v128 offset:7984
	v_cvt_f16_f32_e32 v5, v5
	v_pk_mul_f16 v15, v32, v110
	s_nop 1
	v_cvt_f16_f32_e32 v10, v10
	v_cvt_f16_f32_e32 v11, v11
	;; [unrolled: 1-line block ×4, first 2 shown]
	s_waitcnt lgkmcnt(1)
	v_perm_b32 v17, v30, v17, s17
	s_waitcnt lgkmcnt(0)
	v_perm_b32 v16, v31, v16, s17
	v_cvt_f32_f16_e32 v10, v10
	v_cvt_f32_f16_e32 v11, v11
	;; [unrolled: 1-line block ×4, first 2 shown]
	v_perm_b32 v4, v5, v4, s17
	v_pk_mul_f16 v18, v35, v110
	v_mfma_f32_16x16x16_f16 v[10:13], v[16:17], v[20:21], v[10:13]
	ds_read_u16 v5, v128 offset:96
	ds_read_u16 v16, v129 offset:96
	;; [unrolled: 1-line block ×4, first 2 shown]
	v_pk_mul_f16 v19, v34, v110
	v_cvt_f32_f16_e32 v34, v15
	v_cvt_f32_f16_sdwa v35, v15 dst_sel:DWORD dst_unused:UNUSED_PAD src0_sel:WORD_1
	s_waitcnt lgkmcnt(1)
	v_perm_b32 v17, v17, v16, s17
	s_waitcnt lgkmcnt(0)
	v_perm_b32 v16, v32, v5, s17
	v_cvt_f32_f16_e32 v36, v14
	v_cvt_f32_f16_sdwa v37, v14 dst_sel:DWORD dst_unused:UNUSED_PAD src0_sel:WORD_1
	v_cvt_f16_f32_e32 v5, v8
	v_cvt_f16_f32_e32 v104, v9
	v_mfma_f32_16x16x16_f16 v[14:17], v[16:17], v[24:25], v[34:37]
	s_nop 2
	ds_read_u16 v34, v128 offset:7776
	ds_read_u16 v35, v129 offset:7776
	;; [unrolled: 1-line block ×4, first 2 shown]
	v_perm_b32 v5, v104, v5, s17
	v_cvt_f32_f16_e32 v104, v33
	v_cvt_f16_f32_e32 v8, v14
	v_cvt_f16_f32_e32 v9, v15
	;; [unrolled: 1-line block ×4, first 2 shown]
	v_cvt_f32_f16_e32 v14, v8
	v_cvt_f32_f16_e32 v15, v9
	s_waitcnt lgkmcnt(1)
	v_perm_b32 v9, v36, v35, s17
	s_waitcnt lgkmcnt(0)
	v_perm_b32 v8, v37, v34, s17
	v_cvt_f32_f16_e32 v16, v16
	v_cvt_f32_f16_e32 v17, v17
	v_cvt_f16_f32_e32 v35, v12
	v_cvt_f16_f32_e32 v36, v13
	v_mfma_f32_16x16x16_f16 v[12:15], v[8:9], v[20:21], v[14:17]
	ds_read_u16 v8, v128 offset:128
	ds_read_u16 v9, v129 offset:128
	s_nop 0
	ds_read_u16 v16, v130 offset:128
	ds_read_u16 v34, v128 offset:368
	v_cvt_f32_f16_sdwa v105, v33 dst_sel:DWORD dst_unused:UNUSED_PAD src0_sel:WORD_1
	v_cvt_f32_f16_e32 v106, v48
	v_cvt_f32_f16_sdwa v107, v48 dst_sel:DWORD dst_unused:UNUSED_PAD src0_sel:WORD_1
	s_waitcnt lgkmcnt(1)
	v_perm_b32 v17, v16, v9, s17
	s_waitcnt lgkmcnt(0)
	v_perm_b32 v16, v34, v8, s17
	v_perm_b32 v8, v36, v35, s17
	v_add_f32_e32 v23, v29, v23
	v_mfma_f32_16x16x16_f16 v[104:107], v[16:17], v[24:25], v[104:107]
	ds_bpermute_b32 v29, v26, v23
	v_cvt_f16_f32_e32 v28, v2
	v_cvt_f16_f32_e32 v30, v3
	s_nop 4
	v_cvt_f16_f32_e32 v35, v107
	ds_read_u16 v36, v128 offset:7808
	ds_read_u16 v37, v129 offset:7808
	;; [unrolled: 1-line block ×4, first 2 shown]
	v_cvt_f16_f32_e32 v16, v105
	v_cvt_f16_f32_e32 v17, v106
	;; [unrolled: 1-line block ×4, first 2 shown]
	v_cvt_f32_f16_e32 v105, v16
	v_cvt_f32_f16_e32 v106, v17
	s_waitcnt lgkmcnt(1)
	v_perm_b32 v17, v48, v37, s17
	s_waitcnt lgkmcnt(0)
	v_perm_b32 v16, v107, v36, s17
	v_cvt_f32_f16_e32 v104, v9
	v_cvt_f32_f16_e32 v107, v35
	v_cvt_f16_f32_e32 v9, v14
	v_cvt_f16_f32_e32 v37, v15
	v_mfma_f32_16x16x16_f16 v[14:17], v[16:17], v[20:21], v[104:107]
	ds_read_u16 v36, v128 offset:160
	ds_read_u16 v48, v129 offset:160
	s_nop 0
	ds_read_u16 v107, v130 offset:160
	ds_read_u16 v108, v128 offset:400
	v_cvt_f32_f16_e32 v104, v18
	v_cvt_f32_f16_sdwa v105, v18 dst_sel:DWORD dst_unused:UNUSED_PAD src0_sel:WORD_1
	v_cvt_f32_f16_e32 v106, v19
	s_waitcnt lgkmcnt(1)
	v_perm_b32 v109, v107, v48, s17
	s_waitcnt lgkmcnt(0)
	v_perm_b32 v108, v108, v36, s17
	v_cvt_f32_f16_sdwa v107, v19 dst_sel:DWORD dst_unused:UNUSED_PAD src0_sel:WORD_1
	v_cvt_f16_f32_e32 v32, v7
	v_cvt_f16_f32_e32 v33, v10
	v_mfma_f32_16x16x16_f16 v[104:107], v[108:109], v[24:25], v[104:107]
	ds_read_u16 v108, v128 offset:7840
	ds_read_u16 v109, v129 offset:7840
	;; [unrolled: 1-line block ×4, first 2 shown]
	v_cvt_f16_f32_e32 v34, v11
	v_cvt_f16_f32_e32 v35, v12
	s_nop 1
	v_cvt_f16_f32_e32 v18, v104
	v_cvt_f16_f32_e32 v19, v105
	;; [unrolled: 1-line block ×4, first 2 shown]
	v_cvt_f32_f16_e32 v104, v18
	v_cvt_f32_f16_e32 v105, v19
	s_waitcnt lgkmcnt(1)
	v_perm_b32 v19, v110, v109, s17
	s_waitcnt lgkmcnt(0)
	v_perm_b32 v18, v111, v108, s17
	v_cvt_f32_f16_e32 v106, v48
	v_cvt_f32_f16_e32 v107, v107
	v_cvt_f16_f32_e32 v110, v16
	v_cvt_f16_f32_e32 v111, v17
	v_mfma_f32_16x16x16_f16 v[16:19], v[18:19], v[20:21], v[104:107]
	s_nop 2
	ds_read_u16 v107, v128 offset:192
	ds_read_u16 v108, v129 offset:192
	;; [unrolled: 1-line block ×4, first 2 shown]
	v_cvt_f32_f16_e32 v104, v103
	v_cvt_f32_f16_sdwa v105, v103 dst_sel:DWORD dst_unused:UNUSED_PAD src0_sel:WORD_1
	v_cvt_f32_f16_e32 v106, v27
	s_waitcnt lgkmcnt(1)
	v_perm_b32 v109, v109, v108, s17
	s_waitcnt lgkmcnt(0)
	v_perm_b32 v108, v112, v107, s17
	v_cvt_f32_f16_sdwa v107, v27 dst_sel:DWORD dst_unused:UNUSED_PAD src0_sel:WORD_1
	v_perm_b32 v27, v111, v110, s17
	v_cvt_f16_f32_e32 v18, v18
	v_mfma_f32_16x16x16_f16 v[104:107], v[108:109], v[24:25], v[104:107]
	v_cvt_f16_f32_e32 v19, v19
	v_cvt_f16_f32_e32 v36, v13
	v_perm_b32 v9, v37, v9, s17
	v_cvt_f16_f32_e32 v37, v14
	s_nop 3
	v_cvt_f16_f32_e32 v103, v104
	v_cvt_f16_f32_e32 v104, v105
	;; [unrolled: 1-line block ×4, first 2 shown]
	ds_read_u16 v25, v128 offset:7872
	ds_read_u16 v106, v129 offset:7872
	;; [unrolled: 1-line block ×4, first 2 shown]
	v_cvt_f32_f16_e32 v111, v104
	v_cvt_f32_f16_e32 v112, v105
	v_cvt_f32_f16_e32 v110, v103
	s_waitcnt lgkmcnt(1)
	v_perm_b32 v105, v107, v106, s17
	s_waitcnt lgkmcnt(0)
	v_perm_b32 v104, v108, v25, s17
	v_cvt_f32_f16_e32 v113, v24
	v_perm_b32 v24, v19, v18, s17
	v_cvt_f16_f32_e32 v48, v15
	v_mfma_f32_16x16x16_f16 v[18:21], v[104:105], v[20:21], v[110:113]
	v_cvt_f16_f32_e32 v25, v16
	v_cvt_f16_f32_e32 v103, v17
	v_add_f32_e32 v23, v23, v29
	v_perm_b32 v29, v36, v35, s17
	s_nop 3
	v_cvt_f16_f32_e32 v104, v18
	v_cvt_f16_f32_e32 v20, v20
	;; [unrolled: 1-line block ×4, first 2 shown]
	v_perm_b32 v33, v34, v33, s17
	v_perm_b32 v31, v32, v31, s17
	;; [unrolled: 1-line block ×7, first 2 shown]
	s_barrier
	s_and_saveexec_b64 s[14:15], s[6:7]
	s_cbranch_execz .LBB19_177
; %bb.176:                              ;   in Loop: Header=BB19_14 Depth=1
	v_cvt_pk_f16_f32 v3, v2, v3
	v_lshlrev_b32_e32 v2, 2, v76
	v_cvt_pk_f16_f32 v6, v6, v7
	v_cvt_pk_f16_f32 v7, v10, v11
	;; [unrolled: 1-line block ×3, first 2 shown]
	global_load_dword v14, v2, s[80:81]
	v_max_f32_e32 v15, v22, v22
	v_cvt_pk_f16_f32 v10, v12, v13
	v_cvt_pk_f16_f32 v12, v16, v17
	;; [unrolled: 1-line block ×3, first 2 shown]
	s_waitcnt vmcnt(0)
	v_max_f32_e32 v2, v14, v14
	v_max_f32_e32 v2, v15, v2
	v_sub_f32_e32 v15, v22, v2
	v_mul_f32_e32 v16, 0x3fb8aa3b, v15
	v_fma_f32 v17, v15, s29, -v16
	v_rndne_f32_e32 v18, v16
	v_fmac_f32_e32 v17, 0x32a5705f, v15
	v_sub_f32_e32 v16, v16, v18
	v_add_f32_e32 v16, v16, v17
	v_exp_f32_e32 v16, v16
	v_cvt_i32_f32_e32 v17, v18
	v_cmp_ngt_f32_e32 vcc, s26, v15
	v_sub_f32_e32 v14, v14, v2
	v_ldexp_f32 v16, v16, v17
	v_cndmask_b32_e32 v16, 0, v16, vcc
	v_cmp_nlt_f32_e32 vcc, s55, v15
	s_nop 1
	v_cndmask_b32_e32 v16, v187, v16, vcc
	v_cmp_le_f32_e32 vcc, s16, v15
	s_nop 1
	v_cndmask_b32_e32 v15, 0, v16, vcc
	v_cvt_f16_f32_e32 v16, v15
	v_cmp_ngt_f32_e32 vcc, s26, v14
	v_mul_u32_u24_e32 v16, 0x10001, v16
	v_pk_mul_f16 v28, v3, v16
	v_mul_f32_e32 v3, 0x3fb8aa3b, v14
	v_pk_mul_f16 v31, v6, v16
	v_pk_mul_f16 v33, v7, v16
	v_fma_f32 v6, v14, s29, -v3
	v_rndne_f32_e32 v7, v3
	v_fmac_f32_e32 v6, 0x32a5705f, v14
	v_sub_f32_e32 v3, v3, v7
	v_add_f32_e32 v3, v3, v6
	v_exp_f32_e32 v3, v3
	v_cvt_i32_f32_e32 v6, v7
	v_pk_mul_f16 v4, v4, v16
	v_pk_mul_f16 v5, v5, v16
	;; [unrolled: 1-line block ×3, first 2 shown]
	v_ldexp_f32 v3, v3, v6
	v_cndmask_b32_e32 v3, 0, v3, vcc
	v_cmp_nlt_f32_e32 vcc, s55, v14
	v_pk_mul_f16 v29, v10, v16
	v_pk_mul_f16 v9, v9, v16
	v_cndmask_b32_e32 v3, v187, v3, vcc
	v_fmac_f32_e32 v3, v23, v15
	v_pk_mul_f16 v25, v11, v16
	v_pk_mul_f16 v27, v27, v16
	;; [unrolled: 1-line block ×6, first 2 shown]
	v_mov_b64_e32 v[22:23], v[2:3]
.LBB19_177:                             ;   in Loop: Header=BB19_14 Depth=1
	s_or_b64 exec, exec, s[14:15]
	s_mov_b64 s[14:15], exec
	v_readlane_b32 s6, v201, 19
	v_readlane_b32 s7, v201, 20
	s_and_b64 s[6:7], s[14:15], s[6:7]
	s_mov_b64 exec, s[6:7]
; %bb.178:                              ;   in Loop: Header=BB19_14 Depth=1
	v_add_u32_e32 v2, 0, v147
	ds_write2_b32 v2, v22, v23 offset0:56 offset1:57
; %bb.179:                              ;   in Loop: Header=BB19_14 Depth=1
	s_or_b64 exec, exec, s[14:15]
	v_readlane_b32 s14, v201, 10
	v_readlane_b32 s15, v201, 11
	s_waitcnt lgkmcnt(0)
	s_barrier
	s_and_saveexec_b64 s[6:7], s[14:15]
	s_xor_b64 s[14:15], exec, s[6:7]
	s_cbranch_execz .LBB19_181
; %bb.180:                              ;   in Loop: Header=BB19_14 Depth=1
	s_barrier
                                        ; implicit-def: $vgpr26
.LBB19_181:                             ;   in Loop: Header=BB19_14 Depth=1
	s_andn2_saveexec_b64 s[14:15], s[14:15]
	s_cbranch_execz .LBB19_185
; %bb.182:                              ;   in Loop: Header=BB19_14 Depth=1
	v_add_u32_e32 v6, 0, v148
	ds_read_b64 v[2:3], v6 offset:224
	s_waitcnt lgkmcnt(0)
	s_barrier
	ds_bpermute_b32 v7, v26, v2
	v_max_f32_e32 v10, v2, v2
	s_waitcnt lgkmcnt(0)
	v_max_f32_e32 v7, v7, v7
	v_max_f32_e32 v7, v10, v7
	v_sub_f32_e32 v2, v2, v7
	v_mul_f32_e32 v7, 0x3fb8aa3b, v2
	v_fma_f32 v10, v2, s29, -v7
	v_rndne_f32_e32 v11, v7
	v_fmac_f32_e32 v10, 0x32a5705f, v2
	v_sub_f32_e32 v7, v7, v11
	v_add_f32_e32 v7, v7, v10
	v_cvt_i32_f32_e32 v11, v11
	v_exp_f32_e32 v7, v7
	v_cmp_ngt_f32_e32 vcc, s26, v2
	v_ldexp_f32 v7, v7, v11
	s_nop 0
	v_cndmask_b32_e32 v7, 0, v7, vcc
	v_cmp_nlt_f32_e32 vcc, s55, v2
	s_nop 1
	v_cndmask_b32_e32 v2, v187, v7, vcc
	v_mul_f32_e32 v3, v3, v2
	ds_bpermute_b32 v7, v26, v3
	s_mov_b64 s[60:61], exec
	v_readlane_b32 s6, v201, 21
	v_readlane_b32 s7, v201, 22
	s_and_b64 s[6:7], s[60:61], s[6:7]
	s_mov_b64 exec, s[6:7]
	s_cbranch_execz .LBB19_184
; %bb.183:                              ;   in Loop: Header=BB19_14 Depth=1
	s_waitcnt lgkmcnt(0)
	v_add_f32_e32 v3, v3, v7
	ds_write_b64 v6, v[2:3] offset:224
.LBB19_184:                             ;   in Loop: Header=BB19_14 Depth=1
	s_or_b64 exec, exec, s[60:61]
.LBB19_185:                             ;   in Loop: Header=BB19_14 Depth=1
	s_or_b64 exec, exec, s[14:15]
	v_add_u32_e32 v2, v133, v149
	ds_write2_b32 v2, v28, v4 offset1:1
	ds_write2_b32 v2, v31, v5 offset0:8 offset1:9
	ds_write2_b32 v2, v33, v8 offset0:16 offset1:17
	;; [unrolled: 1-line block ×6, first 2 shown]
	s_waitcnt lgkmcnt(0)
	s_barrier
	s_and_saveexec_b64 s[80:81], s[0:1]
	s_cbranch_execz .LBB19_12
; %bb.186:                              ;   in Loop: Header=BB19_14 Depth=1
	v_add_u32_e32 v3, s70, v181
	v_or_b32_e32 v2, s2, v100
	v_cmp_gt_i32_e32 vcc, s20, v3
	v_cmp_gt_i32_e64 s[14:15], s3, v2
	s_and_b64 s[6:7], vcc, s[14:15]
	v_mov_b32_e32 v2, 0x47
	s_and_saveexec_b64 s[82:83], s[6:7]
	s_cbranch_execz .LBB19_188
; %bb.187:                              ;   in Loop: Header=BB19_14 Depth=1
	v_mad_u64_u32 v[2:3], s[6:7], v3, s21, v[100:101]
	v_add_u32_e32 v8, 0, v150
	v_add_u32_e32 v3, v177, v150
	ds_read2_b32 v[4:5], v8 offset0:56 offset1:57
	ds_read2st64_b32 v[6:7], v3 offset1:15
	ds_read_b32 v8, v8 offset:4064
	v_mad_u64_u32 v[2:3], s[6:7], v2, 56, v[38:39]
	v_ashrrev_i32_e32 v3, 31, v2
	s_waitcnt lgkmcnt(1)
	v_cvt_f32_f16_e32 v10, v6
	v_cvt_f32_f16_sdwa v11, v6 dst_sel:DWORD dst_unused:UNUSED_PAD src0_sel:WORD_1
	v_cvt_f32_f16_e32 v6, v7
	v_cvt_f32_f16_sdwa v7, v7 dst_sel:DWORD dst_unused:UNUSED_PAD src0_sel:WORD_1
	v_lshl_add_u64 v[2:3], v[2:3], 3, s[78:79]
	v_pk_fma_f32 v[10:11], v[4:5], v[10:11], 0 op_sel_hi:[0,1,0]
	s_waitcnt lgkmcnt(0)
	v_pk_fma_f32 v[6:7], v[8:9], v[6:7], v[10:11] op_sel_hi:[0,1,1]
	v_div_scale_f32 v4, s[6:7], v5, v5, v7
	v_rcp_f32_e32 v8, v4
	s_nop 0
	v_fma_f32 v9, -v4, v8, 1.0
	v_fmac_f32_e32 v8, v9, v8
	v_div_scale_f32 v9, vcc, v7, v5, v7
	v_mul_f32_e32 v10, v9, v8
	v_fma_f32 v11, -v4, v10, v9
	v_fmac_f32_e32 v10, v11, v8
	v_fma_f32 v4, -v4, v10, v9
	v_div_fmas_f32 v4, v4, v8, v10
	v_div_fixup_f32 v7, v4, v5, v7
	v_div_scale_f32 v4, s[6:7], v5, v5, v6
	v_rcp_f32_e32 v8, v4
	s_nop 0
	v_fma_f32 v9, -v4, v8, 1.0
	v_fmac_f32_e32 v8, v9, v8
	v_div_scale_f32 v9, vcc, v6, v5, v6
	v_mul_f32_e32 v10, v9, v8
	v_fma_f32 v11, -v4, v10, v9
	v_fmac_f32_e32 v10, v11, v8
	v_fma_f32 v4, -v4, v10, v9
	v_div_fmas_f32 v4, v4, v8, v10
	v_div_fixup_f32 v6, v4, v5, v6
	global_store_dwordx2 v[2:3], v[6:7], off
	v_mov_b32_e32 v2, 0
.LBB19_188:                             ;   in Loop: Header=BB19_14 Depth=1
	s_or_b64 exec, exec, s[82:83]
	v_cmp_gt_i32_e32 vcc, s64, v2
	s_mov_b64 s[84:85], -1
	s_and_saveexec_b64 s[60:61], vcc
; %bb.189:                              ;   in Loop: Header=BB19_14 Depth=1
	v_cmp_eq_u32_e32 vcc, 0, v2
	s_orn2_b64 s[84:85], vcc, exec
; %bb.190:                              ;   in Loop: Header=BB19_14 Depth=1
	s_or_b64 exec, exec, s[60:61]
	s_and_saveexec_b64 s[82:83], s[84:85]
	s_cbranch_execz .LBB19_223
; %bb.191:                              ;   in Loop: Header=BB19_14 Depth=1
	v_add_u32_e32 v3, s70, v151
	v_cmp_gt_i32_e32 vcc, s20, v3
	s_and_b64 s[6:7], vcc, s[14:15]
	v_mov_b32_e32 v2, 0x47
	s_and_saveexec_b64 s[84:85], s[6:7]
	s_cbranch_execz .LBB19_193
; %bb.192:                              ;   in Loop: Header=BB19_14 Depth=1
	v_mad_u64_u32 v[2:3], s[6:7], v3, s21, v[100:101]
	v_add_u32_e32 v8, 0, v152
	v_add_u32_e32 v3, v177, v152
	ds_read2_b32 v[4:5], v8 offset0:56 offset1:57
	ds_read2st64_b32 v[6:7], v3 offset1:15
	ds_read_b32 v8, v8 offset:4064
	v_mad_u64_u32 v[2:3], s[6:7], v2, 56, v[38:39]
	v_ashrrev_i32_e32 v3, 31, v2
	s_waitcnt lgkmcnt(1)
	v_cvt_f32_f16_e32 v10, v6
	v_cvt_f32_f16_sdwa v11, v6 dst_sel:DWORD dst_unused:UNUSED_PAD src0_sel:WORD_1
	v_cvt_f32_f16_e32 v6, v7
	v_cvt_f32_f16_sdwa v7, v7 dst_sel:DWORD dst_unused:UNUSED_PAD src0_sel:WORD_1
	v_lshl_add_u64 v[2:3], v[2:3], 3, s[78:79]
	v_pk_fma_f32 v[10:11], v[4:5], v[10:11], 0 op_sel_hi:[0,1,0]
	s_waitcnt lgkmcnt(0)
	v_pk_fma_f32 v[6:7], v[8:9], v[6:7], v[10:11] op_sel_hi:[0,1,1]
	v_div_scale_f32 v4, s[6:7], v5, v5, v7
	v_rcp_f32_e32 v8, v4
	s_nop 0
	v_fma_f32 v9, -v4, v8, 1.0
	v_fmac_f32_e32 v8, v9, v8
	v_div_scale_f32 v9, vcc, v7, v5, v7
	v_mul_f32_e32 v10, v9, v8
	v_fma_f32 v11, -v4, v10, v9
	v_fmac_f32_e32 v10, v11, v8
	v_fma_f32 v4, -v4, v10, v9
	v_div_fmas_f32 v4, v4, v8, v10
	v_div_fixup_f32 v7, v4, v5, v7
	v_div_scale_f32 v4, s[6:7], v5, v5, v6
	v_rcp_f32_e32 v8, v4
	s_nop 0
	v_fma_f32 v9, -v4, v8, 1.0
	v_fmac_f32_e32 v8, v9, v8
	v_div_scale_f32 v9, vcc, v6, v5, v6
	v_mul_f32_e32 v10, v9, v8
	v_fma_f32 v11, -v4, v10, v9
	v_fmac_f32_e32 v10, v11, v8
	v_fma_f32 v4, -v4, v10, v9
	v_div_fmas_f32 v4, v4, v8, v10
	v_div_fixup_f32 v6, v4, v5, v6
	global_store_dwordx2 v[2:3], v[6:7], off
	v_mov_b32_e32 v2, 0
.LBB19_193:                             ;   in Loop: Header=BB19_14 Depth=1
	s_or_b64 exec, exec, s[84:85]
	v_cmp_gt_i32_e32 vcc, s64, v2
	s_mov_b64 s[84:85], -1
	s_and_saveexec_b64 s[60:61], vcc
; %bb.194:                              ;   in Loop: Header=BB19_14 Depth=1
	v_cmp_eq_u32_e32 vcc, 0, v2
	s_orn2_b64 s[84:85], vcc, exec
; %bb.195:                              ;   in Loop: Header=BB19_14 Depth=1
	s_or_b64 exec, exec, s[60:61]
	s_and_b64 exec, exec, s[84:85]
	s_cbranch_execz .LBB19_223
; %bb.196:                              ;   in Loop: Header=BB19_14 Depth=1
	v_add_u32_e32 v3, s70, v153
	v_cmp_gt_i32_e32 vcc, s20, v3
	s_and_b64 s[6:7], vcc, s[14:15]
	v_mov_b32_e32 v2, 0x47
	s_and_saveexec_b64 s[84:85], s[6:7]
	s_cbranch_execz .LBB19_198
; %bb.197:                              ;   in Loop: Header=BB19_14 Depth=1
	v_mad_u64_u32 v[2:3], s[6:7], v3, s21, v[100:101]
	v_add_u32_e32 v8, 0, v154
	v_add_u32_e32 v3, v177, v154
	ds_read2_b32 v[4:5], v8 offset0:56 offset1:57
	ds_read2st64_b32 v[6:7], v3 offset1:15
	ds_read_b32 v8, v8 offset:4064
	v_mad_u64_u32 v[2:3], s[6:7], v2, 56, v[38:39]
	v_ashrrev_i32_e32 v3, 31, v2
	s_waitcnt lgkmcnt(1)
	v_cvt_f32_f16_e32 v10, v6
	v_cvt_f32_f16_sdwa v11, v6 dst_sel:DWORD dst_unused:UNUSED_PAD src0_sel:WORD_1
	v_cvt_f32_f16_e32 v6, v7
	v_cvt_f32_f16_sdwa v7, v7 dst_sel:DWORD dst_unused:UNUSED_PAD src0_sel:WORD_1
	v_lshl_add_u64 v[2:3], v[2:3], 3, s[78:79]
	v_pk_fma_f32 v[10:11], v[4:5], v[10:11], 0 op_sel_hi:[0,1,0]
	s_waitcnt lgkmcnt(0)
	v_pk_fma_f32 v[6:7], v[8:9], v[6:7], v[10:11] op_sel_hi:[0,1,1]
	v_div_scale_f32 v4, s[6:7], v5, v5, v7
	v_rcp_f32_e32 v8, v4
	s_nop 0
	v_fma_f32 v9, -v4, v8, 1.0
	v_fmac_f32_e32 v8, v9, v8
	v_div_scale_f32 v9, vcc, v7, v5, v7
	v_mul_f32_e32 v10, v9, v8
	v_fma_f32 v11, -v4, v10, v9
	v_fmac_f32_e32 v10, v11, v8
	v_fma_f32 v4, -v4, v10, v9
	v_div_fmas_f32 v4, v4, v8, v10
	v_div_fixup_f32 v7, v4, v5, v7
	v_div_scale_f32 v4, s[6:7], v5, v5, v6
	v_rcp_f32_e32 v8, v4
	s_nop 0
	v_fma_f32 v9, -v4, v8, 1.0
	v_fmac_f32_e32 v8, v9, v8
	v_div_scale_f32 v9, vcc, v6, v5, v6
	v_mul_f32_e32 v10, v9, v8
	v_fma_f32 v11, -v4, v10, v9
	v_fmac_f32_e32 v10, v11, v8
	v_fma_f32 v4, -v4, v10, v9
	v_div_fmas_f32 v4, v4, v8, v10
	v_div_fixup_f32 v6, v4, v5, v6
	global_store_dwordx2 v[2:3], v[6:7], off
	v_mov_b32_e32 v2, 0
.LBB19_198:                             ;   in Loop: Header=BB19_14 Depth=1
	s_or_b64 exec, exec, s[84:85]
	v_cmp_gt_i32_e32 vcc, s64, v2
	s_mov_b64 s[84:85], -1
	s_and_saveexec_b64 s[60:61], vcc
; %bb.199:                              ;   in Loop: Header=BB19_14 Depth=1
	v_cmp_eq_u32_e32 vcc, 0, v2
	s_orn2_b64 s[84:85], vcc, exec
; %bb.200:                              ;   in Loop: Header=BB19_14 Depth=1
	s_or_b64 exec, exec, s[60:61]
	s_and_b64 exec, exec, s[84:85]
	;; [unrolled: 63-line block ×6, first 2 shown]
	s_cbranch_execz .LBB19_223
; %bb.221:                              ;   in Loop: Header=BB19_14 Depth=1
	v_add_u32_e32 v2, s70, v163
	v_cmp_gt_i32_e32 vcc, s20, v2
	s_and_b64 s[6:7], vcc, s[14:15]
	s_and_b64 exec, exec, s[6:7]
	s_cbranch_execz .LBB19_223
; %bb.222:                              ;   in Loop: Header=BB19_14 Depth=1
	v_mad_u64_u32 v[2:3], s[6:7], v2, s21, v[100:101]
	v_add_u32_e32 v8, 0, v164
	v_add_u32_e32 v3, v177, v164
	ds_read2_b32 v[4:5], v8 offset0:56 offset1:57
	ds_read2st64_b32 v[6:7], v3 offset1:15
	ds_read_b32 v8, v8 offset:4064
	v_mad_u64_u32 v[2:3], s[6:7], v2, 56, v[38:39]
	v_ashrrev_i32_e32 v3, 31, v2
	s_waitcnt lgkmcnt(1)
	v_cvt_f32_f16_e32 v10, v6
	v_cvt_f32_f16_sdwa v11, v6 dst_sel:DWORD dst_unused:UNUSED_PAD src0_sel:WORD_1
	v_cvt_f32_f16_e32 v6, v7
	v_cvt_f32_f16_sdwa v7, v7 dst_sel:DWORD dst_unused:UNUSED_PAD src0_sel:WORD_1
	v_lshl_add_u64 v[2:3], v[2:3], 3, s[78:79]
	v_pk_fma_f32 v[10:11], v[4:5], v[10:11], 0 op_sel_hi:[0,1,0]
	s_waitcnt lgkmcnt(0)
	v_pk_fma_f32 v[6:7], v[8:9], v[6:7], v[10:11] op_sel_hi:[0,1,1]
	v_div_scale_f32 v4, s[6:7], v5, v5, v7
	v_rcp_f32_e32 v8, v4
	s_nop 0
	v_fma_f32 v9, -v4, v8, 1.0
	v_fmac_f32_e32 v8, v9, v8
	v_div_scale_f32 v9, vcc, v7, v5, v7
	v_mul_f32_e32 v10, v9, v8
	v_fma_f32 v11, -v4, v10, v9
	v_fmac_f32_e32 v10, v11, v8
	v_fma_f32 v4, -v4, v10, v9
	v_div_fmas_f32 v4, v4, v8, v10
	v_div_fixup_f32 v7, v4, v5, v7
	v_div_scale_f32 v4, s[6:7], v5, v5, v6
	v_rcp_f32_e32 v8, v4
	s_nop 0
	v_fma_f32 v9, -v4, v8, 1.0
	v_fmac_f32_e32 v8, v9, v8
	v_div_scale_f32 v9, vcc, v6, v5, v6
	v_mul_f32_e32 v10, v9, v8
	v_fma_f32 v11, -v4, v10, v9
	v_fmac_f32_e32 v10, v11, v8
	v_fma_f32 v4, -v4, v10, v9
	v_div_fmas_f32 v4, v4, v8, v10
	v_div_fixup_f32 v6, v4, v5, v6
	global_store_dwordx2 v[2:3], v[6:7], off
.LBB19_223:                             ;   in Loop: Header=BB19_14 Depth=1
	s_or_b64 exec, exec, s[82:83]
	v_add_u32_e32 v3, s70, v165
	v_cmp_gt_i32_e32 vcc, s20, v3
	s_and_b64 s[6:7], vcc, s[12:13]
	v_mov_b32_e32 v2, 0x47
	s_and_saveexec_b64 s[14:15], s[6:7]
	s_cbranch_execz .LBB19_225
; %bb.224:                              ;   in Loop: Header=BB19_14 Depth=1
	v_mad_u64_u32 v[2:3], s[6:7], v3, s21, v[92:93]
	v_add_u32_e32 v3, v142, v166
	v_add_u32_e32 v8, 0, v166
	;; [unrolled: 1-line block ×3, first 2 shown]
	ds_read2_b32 v[4:5], v8 offset0:56 offset1:57
	ds_read2st64_b32 v[6:7], v3 offset1:15
	ds_read_b32 v8, v8 offset:4064
	v_mul_lo_u32 v2, v2, 56
	v_ashrrev_i32_e32 v3, 31, v2
	v_lshl_add_u64 v[2:3], v[2:3], 0, v[40:41]
	s_waitcnt lgkmcnt(1)
	v_cvt_f32_f16_e32 v10, v6
	v_cvt_f32_f16_sdwa v11, v6 dst_sel:DWORD dst_unused:UNUSED_PAD src0_sel:WORD_1
	v_cvt_f32_f16_e32 v6, v7
	v_cvt_f32_f16_sdwa v7, v7 dst_sel:DWORD dst_unused:UNUSED_PAD src0_sel:WORD_1
	v_lshl_add_u64 v[2:3], v[2:3], 3, s[78:79]
	v_pk_fma_f32 v[10:11], v[4:5], v[10:11], 0 op_sel_hi:[0,1,0]
	s_waitcnt lgkmcnt(0)
	v_pk_fma_f32 v[6:7], v[8:9], v[6:7], v[10:11] op_sel_hi:[0,1,1]
	v_div_scale_f32 v4, s[6:7], v5, v5, v7
	v_rcp_f32_e32 v8, v4
	s_nop 0
	v_fma_f32 v9, -v4, v8, 1.0
	v_fmac_f32_e32 v8, v9, v8
	v_div_scale_f32 v9, vcc, v7, v5, v7
	v_mul_f32_e32 v10, v9, v8
	v_fma_f32 v11, -v4, v10, v9
	v_fmac_f32_e32 v10, v11, v8
	v_fma_f32 v4, -v4, v10, v9
	v_div_fmas_f32 v4, v4, v8, v10
	v_div_fixup_f32 v7, v4, v5, v7
	v_div_scale_f32 v4, s[6:7], v5, v5, v6
	v_rcp_f32_e32 v8, v4
	s_nop 0
	v_fma_f32 v9, -v4, v8, 1.0
	v_fmac_f32_e32 v8, v9, v8
	v_div_scale_f32 v9, vcc, v6, v5, v6
	v_mul_f32_e32 v10, v9, v8
	v_fma_f32 v11, -v4, v10, v9
	v_fmac_f32_e32 v10, v11, v8
	v_fma_f32 v4, -v4, v10, v9
	v_div_fmas_f32 v4, v4, v8, v10
	v_div_fixup_f32 v6, v4, v5, v6
	global_store_dwordx2 v[2:3], v[6:7], off offset:256
	v_mov_b32_e32 v2, 0
.LBB19_225:                             ;   in Loop: Header=BB19_14 Depth=1
	s_or_b64 exec, exec, s[14:15]
	v_cmp_gt_i32_e32 vcc, s64, v2
	s_mov_b64 s[82:83], -1
	s_and_saveexec_b64 s[14:15], vcc
; %bb.226:                              ;   in Loop: Header=BB19_14 Depth=1
	v_cmp_eq_u32_e32 vcc, 0, v2
	s_orn2_b64 s[82:83], vcc, exec
; %bb.227:                              ;   in Loop: Header=BB19_14 Depth=1
	s_or_b64 exec, exec, s[14:15]
	s_and_saveexec_b64 s[14:15], s[82:83]
	s_cbranch_execz .LBB19_240
; %bb.228:                              ;   in Loop: Header=BB19_14 Depth=1
	v_add_u32_e32 v3, s70, v167
	v_cmp_gt_i32_e32 vcc, s20, v3
	s_and_b64 s[6:7], vcc, s[12:13]
	v_mov_b32_e32 v2, 0x47
	s_and_saveexec_b64 s[82:83], s[6:7]
	s_cbranch_execz .LBB19_230
; %bb.229:                              ;   in Loop: Header=BB19_14 Depth=1
	v_mad_u64_u32 v[2:3], s[6:7], v3, s21, v[92:93]
	v_add_u32_e32 v3, v142, v168
	v_add_u32_e32 v8, 0, v168
	;; [unrolled: 1-line block ×3, first 2 shown]
	ds_read2_b32 v[4:5], v8 offset0:56 offset1:57
	ds_read2st64_b32 v[6:7], v3 offset1:15
	ds_read_b32 v8, v8 offset:4064
	v_mul_lo_u32 v2, v2, 56
	v_ashrrev_i32_e32 v3, 31, v2
	v_lshl_add_u64 v[2:3], v[2:3], 0, v[40:41]
	s_waitcnt lgkmcnt(1)
	v_cvt_f32_f16_e32 v10, v6
	v_cvt_f32_f16_sdwa v11, v6 dst_sel:DWORD dst_unused:UNUSED_PAD src0_sel:WORD_1
	v_cvt_f32_f16_e32 v6, v7
	v_cvt_f32_f16_sdwa v7, v7 dst_sel:DWORD dst_unused:UNUSED_PAD src0_sel:WORD_1
	v_lshl_add_u64 v[2:3], v[2:3], 3, s[78:79]
	v_pk_fma_f32 v[10:11], v[4:5], v[10:11], 0 op_sel_hi:[0,1,0]
	s_waitcnt lgkmcnt(0)
	v_pk_fma_f32 v[6:7], v[8:9], v[6:7], v[10:11] op_sel_hi:[0,1,1]
	v_div_scale_f32 v4, s[6:7], v5, v5, v7
	v_rcp_f32_e32 v8, v4
	s_nop 0
	v_fma_f32 v9, -v4, v8, 1.0
	v_fmac_f32_e32 v8, v9, v8
	v_div_scale_f32 v9, vcc, v7, v5, v7
	v_mul_f32_e32 v10, v9, v8
	v_fma_f32 v11, -v4, v10, v9
	v_fmac_f32_e32 v10, v11, v8
	v_fma_f32 v4, -v4, v10, v9
	v_div_fmas_f32 v4, v4, v8, v10
	v_div_fixup_f32 v7, v4, v5, v7
	v_div_scale_f32 v4, s[6:7], v5, v5, v6
	v_rcp_f32_e32 v8, v4
	s_nop 0
	v_fma_f32 v9, -v4, v8, 1.0
	v_fmac_f32_e32 v8, v9, v8
	v_div_scale_f32 v9, vcc, v6, v5, v6
	v_mul_f32_e32 v10, v9, v8
	v_fma_f32 v11, -v4, v10, v9
	v_fmac_f32_e32 v10, v11, v8
	v_fma_f32 v4, -v4, v10, v9
	v_div_fmas_f32 v4, v4, v8, v10
	v_div_fixup_f32 v6, v4, v5, v6
	global_store_dwordx2 v[2:3], v[6:7], off offset:256
	v_mov_b32_e32 v2, 0
.LBB19_230:                             ;   in Loop: Header=BB19_14 Depth=1
	s_or_b64 exec, exec, s[82:83]
	v_cmp_gt_i32_e32 vcc, s64, v2
	s_mov_b64 s[82:83], -1
	s_and_saveexec_b64 s[60:61], vcc
; %bb.231:                              ;   in Loop: Header=BB19_14 Depth=1
	v_cmp_eq_u32_e32 vcc, 0, v2
	s_orn2_b64 s[82:83], vcc, exec
; %bb.232:                              ;   in Loop: Header=BB19_14 Depth=1
	s_or_b64 exec, exec, s[60:61]
	s_and_b64 exec, exec, s[82:83]
	s_cbranch_execz .LBB19_240
; %bb.233:                              ;   in Loop: Header=BB19_14 Depth=1
	v_add_u32_e32 v3, s70, v169
	v_cmp_gt_i32_e32 vcc, s20, v3
	s_and_b64 s[6:7], vcc, s[12:13]
	v_mov_b32_e32 v2, 0x47
	s_and_saveexec_b64 s[82:83], s[6:7]
	s_cbranch_execz .LBB19_235
; %bb.234:                              ;   in Loop: Header=BB19_14 Depth=1
	v_mad_u64_u32 v[2:3], s[6:7], v3, s21, v[92:93]
	v_add_u32_e32 v3, v142, v170
	v_add_u32_e32 v8, 0, v170
	;; [unrolled: 1-line block ×3, first 2 shown]
	ds_read2_b32 v[4:5], v8 offset0:56 offset1:57
	ds_read2st64_b32 v[6:7], v3 offset1:15
	ds_read_b32 v8, v8 offset:4064
	v_mul_lo_u32 v2, v2, 56
	v_ashrrev_i32_e32 v3, 31, v2
	v_lshl_add_u64 v[2:3], v[2:3], 0, v[40:41]
	s_waitcnt lgkmcnt(1)
	v_cvt_f32_f16_e32 v10, v6
	v_cvt_f32_f16_sdwa v11, v6 dst_sel:DWORD dst_unused:UNUSED_PAD src0_sel:WORD_1
	v_cvt_f32_f16_e32 v6, v7
	v_cvt_f32_f16_sdwa v7, v7 dst_sel:DWORD dst_unused:UNUSED_PAD src0_sel:WORD_1
	v_lshl_add_u64 v[2:3], v[2:3], 3, s[78:79]
	v_pk_fma_f32 v[10:11], v[4:5], v[10:11], 0 op_sel_hi:[0,1,0]
	s_waitcnt lgkmcnt(0)
	v_pk_fma_f32 v[6:7], v[8:9], v[6:7], v[10:11] op_sel_hi:[0,1,1]
	v_div_scale_f32 v4, s[6:7], v5, v5, v7
	v_rcp_f32_e32 v8, v4
	s_nop 0
	v_fma_f32 v9, -v4, v8, 1.0
	v_fmac_f32_e32 v8, v9, v8
	v_div_scale_f32 v9, vcc, v7, v5, v7
	v_mul_f32_e32 v10, v9, v8
	v_fma_f32 v11, -v4, v10, v9
	v_fmac_f32_e32 v10, v11, v8
	v_fma_f32 v4, -v4, v10, v9
	v_div_fmas_f32 v4, v4, v8, v10
	v_div_fixup_f32 v7, v4, v5, v7
	v_div_scale_f32 v4, s[6:7], v5, v5, v6
	v_rcp_f32_e32 v8, v4
	s_nop 0
	v_fma_f32 v9, -v4, v8, 1.0
	v_fmac_f32_e32 v8, v9, v8
	v_div_scale_f32 v9, vcc, v6, v5, v6
	v_mul_f32_e32 v10, v9, v8
	v_fma_f32 v11, -v4, v10, v9
	v_fmac_f32_e32 v10, v11, v8
	v_fma_f32 v4, -v4, v10, v9
	v_div_fmas_f32 v4, v4, v8, v10
	v_div_fixup_f32 v6, v4, v5, v6
	global_store_dwordx2 v[2:3], v[6:7], off offset:256
	v_mov_b32_e32 v2, 0
.LBB19_235:                             ;   in Loop: Header=BB19_14 Depth=1
	s_or_b64 exec, exec, s[82:83]
	v_cmp_gt_i32_e32 vcc, s64, v2
	s_mov_b64 s[82:83], -1
	s_and_saveexec_b64 s[60:61], vcc
; %bb.236:                              ;   in Loop: Header=BB19_14 Depth=1
	v_cmp_eq_u32_e32 vcc, 0, v2
	s_orn2_b64 s[82:83], vcc, exec
; %bb.237:                              ;   in Loop: Header=BB19_14 Depth=1
	s_or_b64 exec, exec, s[60:61]
	s_and_b64 exec, exec, s[82:83]
	s_cbranch_execz .LBB19_240
; %bb.238:                              ;   in Loop: Header=BB19_14 Depth=1
	v_add_u32_e32 v2, s70, v171
	v_cmp_gt_i32_e32 vcc, s20, v2
	s_and_b64 s[6:7], vcc, s[12:13]
	s_and_b64 exec, exec, s[6:7]
	s_cbranch_execz .LBB19_240
; %bb.239:                              ;   in Loop: Header=BB19_14 Depth=1
	v_mad_u64_u32 v[2:3], s[6:7], v2, s21, v[92:93]
	v_add_u32_e32 v3, v142, v172
	v_add_u32_e32 v8, 0, v172
	;; [unrolled: 1-line block ×3, first 2 shown]
	ds_read2_b32 v[4:5], v8 offset0:56 offset1:57
	ds_read2st64_b32 v[6:7], v3 offset1:15
	ds_read_b32 v8, v8 offset:4064
	v_mul_lo_u32 v2, v2, 56
	v_ashrrev_i32_e32 v3, 31, v2
	v_lshl_add_u64 v[2:3], v[2:3], 0, v[40:41]
	s_waitcnt lgkmcnt(1)
	v_cvt_f32_f16_e32 v10, v6
	v_cvt_f32_f16_sdwa v11, v6 dst_sel:DWORD dst_unused:UNUSED_PAD src0_sel:WORD_1
	v_cvt_f32_f16_e32 v6, v7
	v_cvt_f32_f16_sdwa v7, v7 dst_sel:DWORD dst_unused:UNUSED_PAD src0_sel:WORD_1
	v_lshl_add_u64 v[2:3], v[2:3], 3, s[78:79]
	v_pk_fma_f32 v[10:11], v[4:5], v[10:11], 0 op_sel_hi:[0,1,0]
	s_waitcnt lgkmcnt(0)
	v_pk_fma_f32 v[6:7], v[8:9], v[6:7], v[10:11] op_sel_hi:[0,1,1]
	v_div_scale_f32 v4, s[6:7], v5, v5, v7
	v_rcp_f32_e32 v8, v4
	s_nop 0
	v_fma_f32 v9, -v4, v8, 1.0
	v_fmac_f32_e32 v8, v9, v8
	v_div_scale_f32 v9, vcc, v7, v5, v7
	v_mul_f32_e32 v10, v9, v8
	v_fma_f32 v11, -v4, v10, v9
	v_fmac_f32_e32 v10, v11, v8
	v_fma_f32 v4, -v4, v10, v9
	v_div_fmas_f32 v4, v4, v8, v10
	v_div_fixup_f32 v7, v4, v5, v7
	v_div_scale_f32 v4, s[6:7], v5, v5, v6
	v_rcp_f32_e32 v8, v4
	s_nop 0
	v_fma_f32 v9, -v4, v8, 1.0
	v_fmac_f32_e32 v8, v9, v8
	v_div_scale_f32 v9, vcc, v6, v5, v6
	v_mul_f32_e32 v10, v9, v8
	v_fma_f32 v11, -v4, v10, v9
	v_fmac_f32_e32 v10, v11, v8
	v_fma_f32 v4, -v4, v10, v9
	v_div_fmas_f32 v4, v4, v8, v10
	v_div_fixup_f32 v6, v4, v5, v6
	global_store_dwordx2 v[2:3], v[6:7], off offset:256
.LBB19_240:                             ;   in Loop: Header=BB19_14 Depth=1
	s_or_b64 exec, exec, s[14:15]
	v_add_u32_e32 v3, s70, v173
	v_cmp_gt_i32_e32 vcc, s20, v3
	s_and_b64 s[6:7], vcc, s[10:11]
	v_mov_b32_e32 v2, 0x47
	s_and_saveexec_b64 s[12:13], s[6:7]
	s_cbranch_execz .LBB19_242
; %bb.241:                              ;   in Loop: Header=BB19_14 Depth=1
	v_mad_u64_u32 v[2:3], s[6:7], v3, s21, v[96:97]
	v_mul_lo_u32 v7, v2, 56
	v_add_u32_e32 v2, v138, v174
	v_add_u32_e32 v6, 0, v174
	v_add_u32_e32 v2, 0xc0, v2
	ds_read2_b32 v[4:5], v6 offset0:56 offset1:57
	ds_read2st64_b32 v[2:3], v2 offset1:15
	ds_read_b32 v6, v6 offset:4064
	v_ashrrev_i32_e32 v9, 31, v7
	v_or_b32_e32 v8, v7, v58
	v_lshl_add_u64 v[8:9], v[8:9], 3, s[78:79]
	s_waitcnt lgkmcnt(1)
	v_cvt_f32_f16_e32 v10, v2
	v_cvt_f32_f16_sdwa v11, v2 dst_sel:DWORD dst_unused:UNUSED_PAD src0_sel:WORD_1
	v_cvt_f32_f16_e32 v2, v3
	v_cvt_f32_f16_sdwa v3, v3 dst_sel:DWORD dst_unused:UNUSED_PAD src0_sel:WORD_1
	v_pk_fma_f32 v[10:11], v[4:5], v[10:11], 0 op_sel_hi:[0,1,0]
	s_waitcnt lgkmcnt(0)
	v_pk_fma_f32 v[2:3], v[6:7], v[2:3], v[10:11] op_sel_hi:[0,1,1]
	v_div_scale_f32 v4, s[6:7], v5, v5, v3
	v_rcp_f32_e32 v6, v4
	s_nop 0
	v_fma_f32 v7, -v4, v6, 1.0
	v_fmac_f32_e32 v6, v7, v6
	v_div_scale_f32 v7, vcc, v3, v5, v3
	v_mul_f32_e32 v10, v7, v6
	v_fma_f32 v11, -v4, v10, v7
	v_fmac_f32_e32 v10, v11, v6
	v_fma_f32 v4, -v4, v10, v7
	v_div_fmas_f32 v4, v4, v6, v10
	v_div_fixup_f32 v3, v4, v5, v3
	v_div_scale_f32 v4, s[6:7], v5, v5, v2
	v_rcp_f32_e32 v6, v4
	s_nop 0
	v_fma_f32 v7, -v4, v6, 1.0
	v_fmac_f32_e32 v6, v7, v6
	v_div_scale_f32 v7, vcc, v2, v5, v2
	v_mul_f32_e32 v10, v7, v6
	v_fma_f32 v11, -v4, v10, v7
	v_fmac_f32_e32 v10, v11, v6
	v_fma_f32 v4, -v4, v10, v7
	v_div_fmas_f32 v4, v4, v6, v10
	v_div_fixup_f32 v2, v4, v5, v2
	global_store_dwordx2 v[8:9], v[2:3], off offset:384
	v_mov_b32_e32 v2, 0
.LBB19_242:                             ;   in Loop: Header=BB19_14 Depth=1
	s_or_b64 exec, exec, s[12:13]
	v_cmp_gt_i32_e32 vcc, s64, v2
	s_mov_b64 s[12:13], -1
	s_and_saveexec_b64 s[14:15], vcc
; %bb.243:                              ;   in Loop: Header=BB19_14 Depth=1
	v_cmp_eq_u32_e32 vcc, 0, v2
	s_orn2_b64 s[12:13], vcc, exec
; %bb.244:                              ;   in Loop: Header=BB19_14 Depth=1
	s_or_b64 exec, exec, s[14:15]
	s_and_b64 exec, exec, s[12:13]
	s_cbranch_execz .LBB19_12
; %bb.245:                              ;   in Loop: Header=BB19_14 Depth=1
	v_add_u32_e32 v2, s70, v175
	v_cmp_gt_i32_e32 vcc, s20, v2
	s_and_b64 s[6:7], vcc, s[10:11]
	s_and_b64 exec, exec, s[6:7]
	s_cbranch_execz .LBB19_12
; %bb.246:                              ;   in Loop: Header=BB19_14 Depth=1
	v_add_u32_e32 v3, v138, v176
	v_add_u32_e32 v3, 0xc0, v3
	ds_read2st64_b32 v[4:5], v3 offset1:15
	v_add_u32_e32 v3, 0, v176
	ds_read2_b32 v[6:7], v3 offset0:56 offset1:57
	ds_read_b32 v8, v3 offset:4064
	v_mad_u64_u32 v[2:3], s[6:7], v2, s21, v[96:97]
	s_waitcnt lgkmcnt(2)
	v_cvt_f32_f16_e32 v10, v4
	v_cvt_f32_f16_sdwa v11, v4 dst_sel:DWORD dst_unused:UNUSED_PAD src0_sel:WORD_1
	v_cvt_f32_f16_e32 v4, v5
	v_cvt_f32_f16_sdwa v5, v5 dst_sel:DWORD dst_unused:UNUSED_PAD src0_sel:WORD_1
	v_mul_lo_u32 v9, v2, 56
	s_waitcnt lgkmcnt(1)
	v_pk_fma_f32 v[2:3], v[6:7], v[10:11], 0 op_sel_hi:[0,1,0]
	s_waitcnt lgkmcnt(0)
	v_pk_fma_f32 v[2:3], v[8:9], v[4:5], v[2:3] op_sel_hi:[0,1,1]
	v_div_scale_f32 v6, s[6:7], v7, v7, v3
	v_rcp_f32_e32 v8, v6
	v_ashrrev_i32_e32 v5, 31, v9
	v_or_b32_e32 v4, v9, v58
	v_lshl_add_u64 v[4:5], v[4:5], 3, s[78:79]
	v_fma_f32 v9, -v6, v8, 1.0
	v_fmac_f32_e32 v8, v9, v8
	v_div_scale_f32 v9, vcc, v3, v7, v3
	v_mul_f32_e32 v10, v9, v8
	v_fma_f32 v11, -v6, v10, v9
	v_fmac_f32_e32 v10, v11, v8
	v_fma_f32 v6, -v6, v10, v9
	v_div_scale_f32 v9, s[6:7], v7, v7, v2
	v_rcp_f32_e32 v11, v9
	v_div_fmas_f32 v6, v6, v8, v10
	v_div_fixup_f32 v3, v6, v7, v3
	v_fma_f32 v6, -v9, v11, 1.0
	v_fmac_f32_e32 v11, v6, v11
	v_div_scale_f32 v6, vcc, v2, v7, v2
	v_mul_f32_e32 v8, v6, v11
	v_fma_f32 v10, -v9, v8, v6
	v_fmac_f32_e32 v8, v10, v11
	v_fma_f32 v6, -v9, v8, v6
	v_div_fmas_f32 v6, v6, v11, v8
	v_div_fixup_f32 v2, v6, v7, v2
	global_store_dwordx2 v[4:5], v[2:3], off offset:384
	s_branch .LBB19_12
.LBB19_247:
	v_readlane_b32 s28, v201, 16
	v_readlane_b32 s29, v201, 9
	;; [unrolled: 1-line block ×7, first 2 shown]
	s_andn2_b64 vcc, exec, s[10:11]
	s_cbranch_vccnz .LBB19_10
.LBB19_248:
	v_readlane_b32 s8, v201, 3
	s_abs_i32 s0, s8
	v_cvt_f32_u32_e32 v2, s0
	s_sub_i32 s4, 0, s0
	s_abs_i32 s2, s58
	s_xor_b32 s1, s58, s8
	v_rcp_iflag_f32_e32 v2, v2
	s_ashr_i32 s1, s1, 31
	v_readlane_b32 s10, v201, 2
	v_readlane_b32 s11, v201, 1
	v_mul_f32_e32 v2, 0x4f7ffffe, v2
	v_cvt_u32_f32_e32 v2, v2
	v_mov_b32_e32 v12, s7
	v_readfirstlane_b32 s5, v2
	s_mul_i32 s4, s4, s5
	s_mul_hi_u32 s4, s5, s4
	s_add_i32 s5, s5, s4
	s_mul_hi_u32 s4, s2, s5
	s_mul_i32 s5, s4, s0
	s_sub_i32 s2, s2, s5
	s_add_i32 s6, s4, 1
	s_sub_i32 s5, s2, s0
	s_cmp_ge_u32 s2, s0
	s_cselect_b32 s4, s6, s4
	s_cselect_b32 s2, s5, s2
	s_add_i32 s5, s4, 1
	s_cmp_ge_u32 s2, s0
	s_cselect_b32 s0, s5, s4
	s_abs_i32 s4, s10
	v_cvt_f32_u32_e32 v2, s4
	s_xor_b32 s0, s0, s1
	s_sub_i32 s2, s0, s1
	s_sub_i32 s5, 0, s4
	v_rcp_iflag_f32_e32 v2, v2
	s_mul_i32 s0, s2, s8
	s_sub_i32 s0, s58, s0
	s_abs_i32 s6, s0
	v_mul_f32_e32 v2, 0x4f7ffffe, v2
	v_cvt_u32_f32_e32 v2, v2
	s_xor_b32 s1, s0, s10
	s_ashr_i32 s1, s1, 31
	v_readfirstlane_b32 s8, v2
	s_mul_i32 s5, s5, s8
	s_mul_hi_u32 s5, s8, s5
	s_add_i32 s8, s8, s5
	s_mul_hi_u32 s5, s6, s8
	s_mul_i32 s8, s5, s4
	s_sub_i32 s6, s6, s8
	s_add_i32 s9, s5, 1
	s_sub_i32 s8, s6, s4
	s_cmp_ge_u32 s6, s4
	s_cselect_b32 s5, s9, s5
	s_cselect_b32 s6, s8, s6
	s_add_i32 s8, s5, 1
	s_cmp_ge_u32 s6, s4
	s_cselect_b32 s4, s8, s5
	s_abs_i32 s5, s11
	v_cvt_f32_u32_e32 v2, s5
	s_xor_b32 s4, s4, s1
	s_sub_i32 s6, 0, s5
	s_sub_i32 s8, s4, s1
	v_rcp_iflag_f32_e32 v2, v2
	s_mul_i32 s1, s8, s10
	s_sub_i32 s1, s0, s1
	s_abs_i32 s4, s1
	v_mul_f32_e32 v2, 0x4f7ffffe, v2
	v_cvt_u32_f32_e32 v2, v2
	s_xor_b32 s0, s1, s11
	s_ashr_i32 s0, s0, 31
	v_readfirstlane_b32 s9, v2
	s_mul_i32 s6, s6, s9
	s_mul_hi_u32 s6, s9, s6
	s_add_i32 s9, s9, s6
	s_mul_hi_u32 s6, s4, s9
	s_mul_i32 s9, s6, s5
	s_sub_i32 s4, s4, s9
	s_add_i32 s10, s6, 1
	s_sub_i32 s9, s4, s5
	s_cmp_ge_u32 s4, s5
	s_cselect_b32 s6, s10, s6
	s_cselect_b32 s4, s9, s4
	s_add_i32 s9, s6, 1
	s_cmp_ge_u32 s4, s5
	s_cselect_b32 s4, s9, s6
	s_xor_b32 s4, s4, s0
	s_sub_i32 s0, s4, s0
	s_mul_i32 s4, s0, s11
	s_sub_i32 s1, s1, s4
	s_ashr_i32 s4, s1, 31
	v_readlane_b32 s5, v201, 8
	s_abs_i32 s1, s1
	s_xor_b32 s4, s4, s5
	s_mul_hi_u32 s5, s1, s54
	s_mul_i32 s6, s5, s63
	s_sub_i32 s1, s1, s6
	s_add_i32 s6, s5, 1
	s_sub_i32 s9, s1, s63
	s_cmp_ge_u32 s1, s63
	s_cselect_b32 s5, s6, s5
	s_cselect_b32 s1, s9, s1
	s_add_i32 s6, s5, 1
	s_cmp_ge_u32 s1, s63
	s_cselect_b32 s1, s6, s5
	s_abs_i32 s9, s12
	v_cvt_f32_u32_e32 v2, s9
	s_xor_b32 s1, s1, s4
	s_sub_i32 s1, s1, s4
	s_cmp_eq_u64 s[46:47], 0
	v_rcp_iflag_f32_e32 v2, v2
	s_nop 0
	v_mul_f32_e32 v2, 0x4f7ffffe, v2
	v_cvt_u32_f32_e32 v2, v2
	s_nop 0
	v_readfirstlane_b32 s12, v2
	s_cbranch_scc1 .LBB19_250
; %bb.249:
	v_readlane_b32 s4, v201, 0
	s_mul_i32 s4, s2, s4
	s_add_i32 s4, s1, s4
	s_ashr_i32 s5, s4, 31
	s_lshl_b64 s[4:5], s[4:5], 2
	s_add_u32 s4, s46, s4
	s_addc_u32 s5, s47, s5
	v_mov_b32_e32 v2, 0
	global_load_dword v2, v2, s[4:5]
	s_waitcnt vmcnt(0)
	v_ashrrev_i32_e32 v3, 31, v2
	v_lshrrev_b32_e32 v3, 26, v3
	v_add_u32_e32 v2, v2, v3
	v_ashrrev_i32_e32 v2, 6, v2
	v_min_i32_e32 v12, s7, v2
.LBB19_250:
	v_readlane_b32 s6, v201, 4
	s_mul_i32 s4, s8, s3
	s_lshl_b32 s11, s0, 2
	v_readlane_b32 s7, v201, 5
	s_add_i32 s0, s11, s4
	s_mul_i32 s4, s2, s7
	s_ashr_i32 s5, s4, 31
	s_add_u32 s4, s36, s4
	s_mul_i32 s0, s0, s6
	s_addc_u32 s5, s37, s5
	s_ashr_i32 s7, s0, 31
	s_add_u32 s6, s4, s0
	v_add_u32_e32 v14, v59, v77
	s_addc_u32 s7, s5, s7
	s_lshl_b32 s10, s1, 3
	v_lshrrev_b32_e32 v3, 2, v14
	v_and_b32_e32 v2, 3, v14
	v_add_u32_e32 v3, s10, v3
	v_or_b32_e32 v4, s11, v2
	v_cmp_le_i32_e64 s[0:1], s20, v3
	v_cmp_le_i32_e64 s[4:5], s3, v4
	s_mov_b32 s13, 0x10001
	v_lshl_add_u32 v41, v38, 2, 0
	v_cmp_gt_i32_e32 vcc, s3, v4
	s_or_b64 s[0:1], s[0:1], s[4:5]
	s_and_saveexec_b64 s[4:5], s[0:1]
	s_xor_b64 s[0:1], exec, s[4:5]
; %bb.251:
	s_movk_i32 s4, 0xf0
	v_mad_u32_u24 v3, v14, s4, v41
	v_mov_b32_e32 v4, 0
	ds_write_b32 v3, v4
                                        ; implicit-def: $vgpr3
; %bb.252:
	s_or_saveexec_b64 s[0:1], s[0:1]
	v_mul_lo_u32 v1, v1, s13
	s_xor_b64 exec, exec, s[0:1]
	s_cbranch_execz .LBB19_254
; %bb.253:
	v_mul_lo_u32 v3, v3, s59
	v_mul_lo_u32 v4, v2, s19
	v_add3_u32 v4, v4, v38, v3
	v_ashrrev_i32_e32 v5, 31, v4
	v_lshl_add_u64 v[4:5], v[4:5], 3, s[6:7]
	global_load_dwordx2 v[4:5], v[4:5], off
	s_movk_i32 s4, 0xf0
	s_waitcnt vmcnt(0)
	v_cvt_pk_f16_f32 v3, v4, v5
	v_pk_mul_f16 v3, v3, v1
	v_mad_u32_u24 v4, v14, s4, v41
	ds_write_b32 v4, v3
.LBB19_254:
	s_or_b64 exec, exec, s[0:1]
	v_add_u32_e32 v3, 8, v14
	v_lshrrev_b32_e32 v4, 2, v3
	v_add_u32_e32 v4, s10, v4
	v_cmp_le_i32_e64 s[0:1], s20, v4
	s_xor_b64 s[4:5], vcc, -1
	s_or_b64 s[0:1], s[0:1], s[4:5]
	s_and_saveexec_b64 s[14:15], s[0:1]
	s_xor_b64 s[0:1], exec, s[14:15]
; %bb.255:
	s_movk_i32 s13, 0xf0
	v_mad_u32_u24 v3, v3, s13, v41
	v_mov_b32_e32 v4, 0
	ds_write_b32 v3, v4
                                        ; implicit-def: $vgpr4
                                        ; implicit-def: $vgpr3
; %bb.256:
	s_andn2_saveexec_b64 s[0:1], s[0:1]
	s_cbranch_execz .LBB19_258
; %bb.257:
	v_mul_lo_u32 v4, v4, s59
	v_mul_lo_u32 v5, v2, s19
	v_add3_u32 v4, v5, v38, v4
	v_ashrrev_i32_e32 v5, 31, v4
	v_lshl_add_u64 v[4:5], v[4:5], 3, s[6:7]
	global_load_dwordx2 v[4:5], v[4:5], off
	s_movk_i32 s13, 0xf0
	v_mad_u32_u24 v3, v3, s13, v41
	s_waitcnt vmcnt(0)
	v_cvt_pk_f16_f32 v4, v4, v5
	v_pk_mul_f16 v4, v4, v1
	ds_write_b32 v3, v4
.LBB19_258:
	s_or_b64 exec, exec, s[0:1]
	v_add_u32_e32 v3, 16, v14
	v_lshrrev_b32_e32 v4, 2, v3
	v_add_u32_e32 v4, s10, v4
	v_cmp_le_i32_e32 vcc, s20, v4
	s_or_b64 s[0:1], vcc, s[4:5]
	s_and_saveexec_b64 s[14:15], s[0:1]
	s_xor_b64 s[0:1], exec, s[14:15]
; %bb.259:
	s_movk_i32 s13, 0xf0
	v_mad_u32_u24 v3, v3, s13, v41
	v_mov_b32_e32 v4, 0
	ds_write_b32 v3, v4
                                        ; implicit-def: $vgpr4
                                        ; implicit-def: $vgpr3
; %bb.260:
	s_andn2_saveexec_b64 s[0:1], s[0:1]
	s_cbranch_execz .LBB19_262
; %bb.261:
	v_mul_lo_u32 v4, v4, s59
	v_mul_lo_u32 v5, v2, s19
	v_add3_u32 v4, v5, v38, v4
	v_ashrrev_i32_e32 v5, 31, v4
	v_lshl_add_u64 v[4:5], v[4:5], 3, s[6:7]
	global_load_dwordx2 v[4:5], v[4:5], off
	s_movk_i32 s13, 0xf0
	v_mad_u32_u24 v3, v3, s13, v41
	s_waitcnt vmcnt(0)
	v_cvt_pk_f16_f32 v4, v4, v5
	v_pk_mul_f16 v4, v4, v1
	ds_write_b32 v3, v4
.LBB19_262:
	s_or_b64 exec, exec, s[0:1]
	v_add_u32_e32 v3, 24, v14
	v_lshrrev_b32_e32 v4, 2, v3
	v_add_u32_e32 v4, s10, v4
	v_cmp_le_i32_e32 vcc, s20, v4
	s_or_b64 s[0:1], vcc, s[4:5]
	s_and_saveexec_b64 s[4:5], s[0:1]
	s_xor_b64 s[0:1], exec, s[4:5]
; %bb.263:
	s_movk_i32 s4, 0xf0
	v_mad_u32_u24 v2, v3, s4, v41
	v_mov_b32_e32 v3, 0
	ds_write_b32 v2, v3
                                        ; implicit-def: $vgpr4
                                        ; implicit-def: $vgpr2
                                        ; implicit-def: $vgpr3
; %bb.264:
	s_or_saveexec_b64 s[0:1], s[0:1]
	v_and_b32_e32 v52, 0x3ff, v0
	s_xor_b64 exec, exec, s[0:1]
	s_cbranch_execz .LBB19_266
; %bb.265:
	v_mul_lo_u32 v0, v4, s59
	v_mul_lo_u32 v2, v2, s19
	v_add3_u32 v4, v2, v38, v0
	v_ashrrev_i32_e32 v5, 31, v4
	v_lshl_add_u64 v[4:5], v[4:5], 3, s[6:7]
	global_load_dwordx2 v[4:5], v[4:5], off
	s_movk_i32 s4, 0xf0
	v_mad_u32_u24 v2, v3, s4, v41
	s_waitcnt vmcnt(0)
	v_cvt_pk_f16_f32 v0, v4, v5
	v_pk_mul_f16 v0, v0, v1
	ds_write_b32 v2, v0
.LBB19_266:
	s_or_b64 exec, exec, s[0:1]
	v_lshrrev_b32_e32 v56, 4, v52
	v_and_b32_e32 v0, 3, v56
	v_add_u32_e32 v2, v39, v56
	v_or_b32_e32 v3, s11, v0
	v_cmp_gt_i32_e32 vcc, s3, v3
	v_cmp_le_i32_e64 s[0:1], s3, v3
	v_lshrrev_b32_e32 v3, 2, v2
	v_add_u32_e32 v3, s10, v3
	v_cmp_le_i32_e64 s[4:5], s20, v3
	s_sub_i32 s13, 0, s9
	v_and_b32_e32 v55, 15, v52
	v_mul_lo_u32 v0, s19, v0
	s_or_b64 s[0:1], s[4:5], s[0:1]
	s_and_saveexec_b64 s[4:5], s[0:1]
	s_xor_b64 s[0:1], exec, s[4:5]
; %bb.267:
	v_mul_u32_u24_e32 v3, 0xf0, v2
	v_lshlrev_b32_e32 v4, 2, v55
	v_add3_u32 v3, 0, v3, v4
	v_mov_b32_e32 v4, 0
	ds_write_b32 v3, v4 offset:128
                                        ; implicit-def: $vgpr3
; %bb.268:
	s_or_saveexec_b64 s[0:1], s[0:1]
	s_mul_i32 s13, s13, s12
	v_add3_u32 v0, v0, v55, 32
	v_lshl_add_u32 v53, v55, 2, 0
	s_xor_b64 exec, exec, s[0:1]
	s_cbranch_execz .LBB19_270
; %bb.269:
	v_mad_u64_u32 v[4:5], s[4:5], v3, s59, v[0:1]
	v_ashrrev_i32_e32 v5, 31, v4
	v_lshl_add_u64 v[4:5], v[4:5], 3, s[6:7]
	global_load_dwordx2 v[4:5], v[4:5], off
	s_movk_i32 s4, 0xf0
	s_waitcnt vmcnt(0)
	v_cvt_pk_f16_f32 v3, v4, v5
	v_pk_mul_f16 v3, v3, v1
	v_mad_u32_u24 v4, v2, s4, v53
	ds_write_b32 v4, v3 offset:128
.LBB19_270:
	s_or_b64 exec, exec, s[0:1]
	v_add_u32_e32 v2, 16, v2
	v_lshrrev_b32_e32 v3, 2, v2
	v_add_u32_e32 v3, s10, v3
	v_cmp_le_i32_e64 s[0:1], s20, v3
	s_xor_b64 s[14:15], vcc, -1
	s_mul_hi_u32 s4, s12, s13
	s_or_b64 s[0:1], s[0:1], s[14:15]
	s_and_saveexec_b64 s[14:15], s[0:1]
	s_xor_b64 s[0:1], exec, s[14:15]
; %bb.271:
	v_mul_u32_u24_e32 v0, 0xf0, v2
	v_lshlrev_b32_e32 v2, 2, v55
	v_add3_u32 v0, 0, v0, v2
	v_mov_b32_e32 v2, 0
	ds_write_b32 v0, v2 offset:128
                                        ; implicit-def: $vgpr0
                                        ; implicit-def: $vgpr3
                                        ; implicit-def: $vgpr2
; %bb.272:
	s_or_saveexec_b64 s[0:1], s[0:1]
	s_abs_i32 s13, s2
	s_add_i32 s12, s12, s4
	s_xor_b64 exec, exec, s[0:1]
	s_cbranch_execz .LBB19_274
; %bb.273:
	v_mad_u64_u32 v[4:5], s[4:5], v3, s59, v[0:1]
	v_ashrrev_i32_e32 v5, 31, v4
	v_lshl_add_u64 v[4:5], v[4:5], 3, s[6:7]
	global_load_dwordx2 v[4:5], v[4:5], off
	s_movk_i32 s4, 0xf0
	v_mad_u32_u24 v2, v2, s4, v53
	s_waitcnt vmcnt(0)
	v_cvt_pk_f16_f32 v0, v4, v5
	v_pk_mul_f16 v0, v0, v1
	ds_write_b32 v2, v0 offset:128
.LBB19_274:
	s_or_b64 exec, exec, s[0:1]
	v_lshrrev_b32_e32 v54, 3, v52
	v_add_u32_e32 v15, v93, v54
	v_lshrrev_b32_e32 v2, 2, v15
	v_and_b32_e32 v0, 3, v54
	v_add_u32_e32 v2, s10, v2
	v_or_b32_e32 v3, s11, v0
	v_cmp_le_i32_e32 vcc, s20, v2
	v_cmp_le_i32_e64 s[0:1], s3, v3
	s_mul_hi_u32 s12, s13, s12
	s_or_b64 s[0:1], vcc, s[0:1]
	s_and_saveexec_b64 s[4:5], s[0:1]
	s_xor_b64 s[0:1], exec, s[4:5]
	s_cbranch_execz .LBB19_276
; %bb.275:
	v_and_b32_e32 v1, 7, v52
	v_mul_u32_u24_e32 v0, 0xf0, v15
	v_lshlrev_b32_e32 v1, 2, v1
	v_add3_u32 v0, 0, v0, v1
	v_mov_b32_e32 v1, 0
	ds_write_b32 v0, v1 offset:192
                                        ; implicit-def: $vgpr2
                                        ; implicit-def: $vgpr0
                                        ; implicit-def: $vgpr1
.LBB19_276:
	s_or_saveexec_b64 s[0:1], s[0:1]
	s_ashr_i32 s3, s2, 31
	s_xor_b64 exec, exec, s[0:1]
	s_cbranch_execz .LBB19_278
; %bb.277:
	v_mul_lo_u32 v3, v2, s59
	v_and_b32_e32 v2, 7, v52
	v_mad_u64_u32 v[4:5], s[4:5], s19, v0, v[2:3]
	v_add3_u32 v4, v4, v3, 48
	v_ashrrev_i32_e32 v5, 31, v4
	v_lshl_add_u64 v[4:5], v[4:5], 3, s[6:7]
	global_load_dwordx2 v[4:5], v[4:5], off
	v_mul_u32_u24_e32 v0, 0xf0, v15
	v_lshlrev_b32_e32 v2, 2, v2
	v_add3_u32 v0, 0, v0, v2
	s_waitcnt vmcnt(0)
	v_cvt_pk_f16_f32 v3, v4, v5
	v_pk_mul_f16 v1, v3, v1
	ds_write_b32 v0, v1 offset:192
.LBB19_278:
	s_or_b64 exec, exec, s[0:1]
	s_mul_hi_u32 s0, s24, s2
	s_mul_i32 s1, s24, s3
	s_add_i32 s0, s0, s1
	s_mul_i32 s1, s25, s2
	v_readlane_b32 s4, v201, 6
	s_add_i32 s0, s0, s1
	s_mul_i32 s1, s24, s2
	v_readlane_b32 s5, v201, 7
	s_add_u32 s1, s38, s1
	s_mul_i32 s4, s8, s5
	s_addc_u32 s0, s39, s0
	s_ashr_i32 s5, s4, 31
	s_add_u32 s4, s1, s4
	s_mul_i32 s12, s12, s9
	s_addc_u32 s5, s0, s5
	s_sub_i32 s0, s13, s12
	s_sub_i32 s1, s0, s9
	s_cmp_ge_u32 s0, s9
	s_cselect_b32 s0, s1, s0
	s_sub_i32 s1, s0, s9
	s_cmp_ge_u32 s0, s9
	s_cselect_b32 s0, s1, s0
	s_xor_b32 s0, s0, s3
	s_sub_i32 s0, s0, s3
	s_ashr_i32 s1, s0, 31
	s_mul_i32 s1, s52, s1
	s_mul_hi_u32 s6, s52, s0
	s_add_i32 s1, s6, s1
	s_mul_i32 s6, s53, s0
	s_add_i32 s1, s1, s6
	s_mul_i32 s0, s52, s0
	s_add_u32 s6, s42, s0
	s_addc_u32 s7, s43, s1
	s_mul_hi_u32 s0, s34, s2
	s_mul_i32 s1, s34, s3
	s_add_i32 s0, s0, s1
	s_mul_i32 s1, s35, s2
	s_add_i32 s0, s0, s1
	s_mul_i32 s1, s34, s2
	s_add_u32 s1, s40, s1
	s_mul_i32 s8, s8, s27
	s_addc_u32 s0, s41, s0
	s_ashr_i32 s3, s8, 31
	s_add_u32 s2, s1, s8
	s_addc_u32 s3, s0, s3
	v_and_b32_e32 v19, 0x1ff0, v93
	s_movk_i32 s0, 0xf0
	v_and_b32_e32 v1, 0x7e, v54
	v_mad_u32_u24 v0, v19, s0, 0
	v_mul_u32_u24_e32 v80, 0xf0, v55
	v_lshlrev_b32_e32 v57, 2, v1
	v_add3_u32 v13, v0, v80, v57
	s_waitcnt lgkmcnt(0)
	s_barrier
	ds_read2_b64 v[8:11], v13 offset1:4
	ds_read2_b64 v[4:7], v13 offset0:8 offset1:12
	ds_read2_b64 v[0:3], v13 offset0:16 offset1:20
	ds_read_b64 v[20:21], v13 offset:192
	v_add_u32_e32 v90, -1, v12
	v_add_u32_e32 v12, s10, v14
	v_mul_hi_u32 v13, s30, v12
	v_add_u32_e32 v13, v12, v13
	v_lshrrev_b32_e32 v13, s31, v13
	v_cmp_lt_i32_e32 vcc, s60, v90
	v_mul_lo_u32 v13, v13, s20
	v_sub_u32_e32 v36, v12, v13
	s_waitcnt lgkmcnt(0)
	s_barrier
	s_cbranch_vccnz .LBB19_281
; %bb.279:
	v_lshlrev_b32_e32 v12, 1, v52
	v_lshlrev_b32_e32 v58, 4, v61
	v_lshrrev_b32_e32 v81, 2, v52
	v_and_b32_e32 v26, 62, v12
	v_lshrrev_b32_e32 v12, 1, v52
	v_add_u32_e32 v75, v58, v81
	v_mul_lo_u32 v28, s22, v15
	v_mov_b32_e32 v27, 0
	s_ashr_i32 s23, s22, 31
	v_lshl_add_u32 v79, v61, 5, v12
	v_mul_lo_u32 v22, s22, v75
	v_lshlrev_b32_e32 v88, 2, v52
	v_mov_b32_e32 v12, 0x1e00
	v_lshl_add_u32 v32, s22, 5, v28
	v_mad_i64_i32 v[30:31], s[8:9], v36, s56, 0
	v_mul_u32_u24_e32 v83, 0xf0, v75
	v_ashrrev_i32_e32 v23, 31, v22
	v_and_or_b32 v16, v88, 12, 32
	v_mov_b32_e32 v17, v27
	v_mul_u32_u24_e32 v85, 0xf0, v15
	v_and_b32_e32 v24, 28, v88
	v_mov_b32_e32 v25, v27
	v_ashrrev_i32_e32 v29, 31, v28
	v_add_u32_e32 v78, 32, v15
	v_mad_u32_u24 v87, v15, s0, v12
	v_ashrrev_i32_e32 v33, 31, v32
	v_and_b32_e32 v82, 16, v58
	s_mov_b64 s[0:1], 0
	v_mov_b64_e32 v[12:13], s[22:23]
	s_branch .LBB19_282
.LBB19_280:
                                        ; implicit-def: $sgpr62_sgpr63
	s_load_dwordx2 s[30:31], s[0:1], 0x5c
	s_branch .LBB19_7
.LBB19_281:
	s_mov_b64 s[0:1], -1
                                        ; implicit-def: $vgpr26
                                        ; implicit-def: $vgpr30_vgpr31
                                        ; implicit-def: $vgpr12_vgpr13
                                        ; implicit-def: $vgpr79
                                        ; implicit-def: $vgpr58
                                        ; implicit-def: $vgpr81
                                        ; implicit-def: $vgpr75
                                        ; implicit-def: $vgpr83
                                        ; implicit-def: $vgpr22_vgpr23
                                        ; implicit-def: $vgpr88
                                        ; implicit-def: $vgpr16
                                        ; implicit-def: $vgpr85
                                        ; implicit-def: $vgpr24
                                        ; implicit-def: $vgpr28_vgpr29
                                        ; implicit-def: $vgpr78
                                        ; implicit-def: $vgpr87
                                        ; implicit-def: $vgpr32_vgpr33
                                        ; implicit-def: $vgpr82
.LBB19_282:
	v_mul_lo_u32 v18, s18, v15
	v_mul_u32_u24_e32 v89, 0x90, v14
	s_andn2_b64 vcc, exec, s[0:1]
	v_and_or_b32 v86, v52, 12, v19
	v_lshlrev_b32_e32 v74, 1, v54
	v_and_b32_e32 v72, 8, v93
	v_ashrrev_i32_e32 v19, 31, v18
	v_lshlrev_b32_e32 v71, 1, v55
	s_cbranch_vccnz .LBB19_290
; %bb.283:
	v_lshlrev_b32_e32 v12, 1, v52
	v_and_b32_e32 v26, 62, v12
	v_mad_i64_i32 v[30:31], s[0:1], v36, s56, 0
	v_mov_b32_e32 v35, 0
	v_lshlrev_b32_e32 v34, 1, v26
	v_lshl_add_u64 v[12:13], v[30:31], 1, s[6:7]
	v_lshlrev_b32_e32 v58, 4, v61
	v_lshrrev_b32_e32 v81, 2, v52
	v_lshlrev_b32_e32 v88, 2, v52
	v_lshl_add_u64 v[36:37], v[12:13], 0, v[34:35]
	v_lshrrev_b32_e32 v12, 1, v52
	v_add_u32_e32 v75, v58, v81
	s_movk_i32 s8, 0xf0
	v_and_b32_e32 v14, 12, v88
	v_lshl_add_u32 v79, v61, 5, v12
	v_mad_u32_u24 v12, v75, s8, 0
	v_lshlrev_b32_e32 v13, 2, v14
	s_movk_i32 s9, 0x80
	v_and_b32_e32 v24, 28, v88
	v_add3_u32 v96, v12, v13, s9
	v_mul_u32_u24_e32 v85, 0xf0, v15
	v_lshlrev_b32_e32 v12, 2, v24
	v_add3_u32 v97, 0, v85, v12
	v_mov_b32_e32 v12, 0x1e00
	v_and_b32_e32 v40, 4, v88
	v_mul_lo_u32 v28, s22, v15
	v_add_u32_e32 v78, 32, v15
	v_mad_u32_u24 v87, v15, s8, v12
	v_mad_u32_u24 v12, v79, s8, 0
	v_lshlrev_b32_e32 v15, 2, v40
	s_movk_i32 s8, 0xc0
	v_and_b32_e32 v82, 16, v58
	v_add3_u32 v99, v12, v15, s8
	v_and_b32_e32 v12, 0xfc, v81
	v_add3_u32 v94, 0, v89, v34
	v_add_u32_e32 v34, v12, v82
	v_lshrrev_b32_e32 v44, 2, v86
	s_movk_i32 s8, 0x90
	v_add_u16_e32 v12, v12, v82
	v_mad_u32_u24 v44, v44, s8, 0
	v_lshrrev_b16_e32 v12, 1, v12
	v_lshl_add_u32 v51, v12, 2, v44
	v_lshl_add_u32 v12, v34, 1, v44
	v_add_u32_e32 v100, 64, v12
	v_add_u32_e32 v101, 0x44, v12
	v_mbcnt_hi_u32_b32 v12, -1, v95
	v_and_b32_e32 v34, 64, v12
	v_add_u32_e32 v34, 64, v34
	v_xor_b32_e32 v44, 32, v12
	v_cmp_lt_i32_e32 vcc, v44, v34
	v_and_b32_e32 v46, 0xfc, v74
	s_movk_i32 s8, 0x1e0
	v_cndmask_b32_e32 v44, v12, v44, vcc
	v_lshlrev_b32_e32 v102, 2, v44
	v_xor_b32_e32 v44, 16, v12
	v_cmp_lt_i32_e32 vcc, v44, v34
	v_or_b32_e32 v34, 2, v74
	v_mul_lo_u32 v22, s22, v75
	v_cndmask_b32_e32 v12, v12, v44, vcc
	v_lshlrev_b32_e32 v103, 2, v12
	v_or_b32_e32 v12, 3, v74
	v_lshl_add_u32 v32, s22, 5, v28
	v_add3_u32 v13, 0, v80, v57
	v_mul_lo_u32 v42, s22, v79
	v_mul_u32_u24_e32 v15, 0xf0, v82
	v_mul_lo_u32 v44, s18, v79
	v_mul_u32_u24_e32 v12, 0xf0, v12
	v_mul_u32_u24_e32 v34, 0xf0, v34
	;; [unrolled: 1-line block ×3, first 2 shown]
	v_mul_lo_u32 v46, s18, v78
	v_mul_lo_u32 v48, s18, v75
	v_mad_u32_u24 v60, v72, s8, 0
	v_mov_b32_e32 v27, v35
	s_ashr_i32 s23, s22, 31
	v_cmp_gt_u32_e64 s[0:1], 64, v79
	v_mul_u32_u24_e32 v83, 0xf0, v75
	v_ashrrev_i32_e32 v23, 31, v22
	v_or_b32_e32 v16, 32, v14
	v_mov_b32_e32 v17, v35
	v_mov_b32_e32 v25, v35
	v_ashrrev_i32_e32 v29, 31, v28
	v_add_u32_e32 v98, 0x1e00, v97
	v_ashrrev_i32_e32 v33, 31, v32
	v_ashrrev_i32_e32 v43, 31, v42
	v_ashrrev_i32_e32 v45, 31, v44
	v_ashrrev_i32_e32 v47, 31, v46
	v_ashrrev_i32_e32 v49, 31, v48
	v_add3_u32 v104, v60, v50, v71
	v_add3_u32 v105, v60, v34, v71
	;; [unrolled: 1-line block ×3, first 2 shown]
	s_lshl_b32 s8, s60, 6
	v_mov_b32_e32 v12, 0xfeffffff
	v_lshlrev_b32_e32 v34, 2, v14
	v_lshlrev_b32_e32 v50, 2, v24
	v_add_u32_e32 v107, v13, v15
	v_add_u32_e32 v108, 0x3c00, v51
	s_mov_b32 s14, 0x3fb8aa3b
	s_mov_b32 s15, 0xc2ce8ed0
	;; [unrolled: 1-line block ×5, first 2 shown]
	v_mov_b32_e32 v109, 0x7f800000
	v_mov_b32_e32 v110, v35
	;; [unrolled: 1-line block ×16, first 2 shown]
.LBB19_284:                             ; =>This Inner Loop Header: Depth=1
	s_ashr_i32 s9, s8, 31
	v_lshl_add_u64 v[14:15], s[8:9], 1, v[36:37]
	global_load_dword v13, v[14:15], off
	s_mul_hi_i32 s11, s8, s22
	s_mul_i32 s10, s8, s22
	s_lshl_b64 s[10:11], s[10:11], 2
	s_add_u32 s10, s4, s10
	s_addc_u32 s11, s5, s11
	s_waitcnt vmcnt(0)
	ds_write_b32 v94, v13 offset:15360
	s_and_saveexec_b64 s[12:13], s[0:1]
	s_cbranch_execz .LBB19_286
; %bb.285:                              ;   in Loop: Header=BB19_284 Depth=1
	v_lshl_add_u64 v[14:15], v[42:43], 2, s[10:11]
	v_lshlrev_b32_e32 v112, 2, v40
	v_mov_b32_e32 v113, v35
	v_lshl_add_u64 v[14:15], v[14:15], 0, v[112:113]
	global_load_dwordx4 v[112:115], v[14:15], off offset:192
	s_waitcnt vmcnt(0)
	ds_write_b128 v99, v[112:115]
.LBB19_286:                             ;   in Loop: Header=BB19_284 Depth=1
	s_or_b64 exec, exec, s[12:13]
	v_lshl_add_u64 v[14:15], v[22:23], 2, s[10:11]
	v_lshl_add_u64 v[112:113], v[28:29], 2, s[10:11]
	v_mov_b32_e32 v51, v35
	v_lshl_add_u64 v[14:15], v[14:15], 0, v[34:35]
	v_lshl_add_u64 v[124:125], v[112:113], 0, v[50:51]
	v_lshl_add_u64 v[112:113], v[32:33], 2, s[10:11]
	v_lshl_add_u64 v[126:127], v[112:113], 0, v[50:51]
	global_load_dwordx4 v[112:115], v[14:15], off offset:128
	global_load_dwordx4 v[116:119], v[124:125], off
	global_load_dwordx4 v[120:123], v[126:127], off
	v_add_u32_e32 v13, 0x1800, v107
	s_mul_hi_i32 s11, s8, s18
	s_mul_i32 s10, s8, s18
	s_lshl_b64 s[10:11], s[10:11], 2
	s_add_u32 s10, s2, s10
	s_addc_u32 s11, s3, s11
	s_waitcnt vmcnt(2)
	ds_write_b128 v96, v[112:115]
	s_waitcnt vmcnt(1)
	ds_write_b128 v97, v[116:119]
	;; [unrolled: 2-line block ×3, first 2 shown]
	s_waitcnt lgkmcnt(0)
	s_barrier
	ds_read2_b64 v[112:115], v107 offset1:4
	ds_read2_b64 v[120:123], v13 offset0:192 offset1:196
	s_waitcnt lgkmcnt(1)
	v_mfma_f32_16x16x16_f16 v[116:119], v[112:113], v[8:9], 0
	s_waitcnt lgkmcnt(0)
	v_mfma_f32_16x16x16_f16 v[124:127], v[120:121], v[8:9], 0
	v_mfma_f32_16x16x16_f16 v[112:115], v[114:115], v[10:11], v[116:119]
	;; [unrolled: 1-line block ×3, first 2 shown]
	ds_read2_b64 v[120:123], v107 offset0:8 offset1:12
	s_nop 4
	ds_read2_b64 v[124:127], v13 offset0:200 offset1:204
	s_waitcnt lgkmcnt(1)
	v_mfma_f32_16x16x16_f16 v[112:115], v[120:121], v[4:5], v[112:115]
	s_waitcnt lgkmcnt(0)
	v_mfma_f32_16x16x16_f16 v[116:119], v[124:125], v[4:5], v[116:119]
	v_mfma_f32_16x16x16_f16 v[112:115], v[122:123], v[6:7], v[112:115]
	ds_read2_b64 v[120:123], v107 offset0:16 offset1:20
	v_mfma_f32_16x16x16_f16 v[116:119], v[126:127], v[6:7], v[116:119]
	ds_read2_b64 v[124:127], v13 offset0:208 offset1:212
	ds_read_b64 v[14:15], v107 offset:192
	ds_read_b64 v[128:129], v107 offset:7872
	s_waitcnt lgkmcnt(0)
	v_mfma_f32_16x16x16_f16 v[112:115], v[120:121], v[0:1], v[112:115]
	s_barrier
	ds_read2_b32 v[120:121], v108 offset1:1
	v_mfma_f32_16x16x16_f16 v[116:119], v[124:125], v[0:1], v[116:119]
	ds_read_b32 v13, v100 offset:15360
	ds_read_b32 v84, v101 offset:15360
	s_waitcnt lgkmcnt(2)
	v_cvt_f32_f16_e32 v111, v120
	v_mfma_f32_16x16x16_f16 v[112:115], v[122:123], v[2:3], v[112:115]
	v_cvt_f32_f16_sdwa v124, v120 dst_sel:DWORD dst_unused:UNUSED_PAD src0_sel:WORD_1
	v_cvt_f32_f16_e32 v125, v121
	v_mfma_f32_16x16x16_f16 v[116:119], v[126:127], v[2:3], v[116:119]
	v_cvt_f32_f16_sdwa v126, v121 dst_sel:DWORD dst_unused:UNUSED_PAD src0_sel:WORD_1
	s_waitcnt lgkmcnt(1)
	v_cvt_f32_f16_e32 v127, v13
	v_cvt_f32_f16_sdwa v13, v13 dst_sel:DWORD dst_unused:UNUSED_PAD src0_sel:WORD_1
	v_mfma_f32_16x16x16_f16 v[120:123], v[14:15], v[20:21], v[112:115]
	s_waitcnt lgkmcnt(0)
	v_cvt_f32_f16_e32 v14, v84
	v_cvt_f32_f16_sdwa v84, v84 dst_sel:DWORD dst_unused:UNUSED_PAD src0_sel:WORD_1
	v_mfma_f32_16x16x16_f16 v[116:119], v[128:129], v[20:21], v[116:119]
	s_nop 3
	v_add_f32_e32 v115, v120, v111
	v_add_f32_e32 v111, v121, v124
	;; [unrolled: 1-line block ×12, first 2 shown]
	v_max3_f32 v84, v12, v84, v116
	v_add_f32_e32 v119, 0x40051340, v114
	v_add_f32_e32 v120, 0x40051340, v15
	v_max3_f32 v84, v84, v117, v118
	v_add_f32_e32 v121, 0x40051340, v14
	v_add_f32_e32 v122, 0x40051340, v13
	v_max3_f32 v84, v84, v119, v120
	v_max3_f32 v84, v84, v121, v122
	ds_bpermute_b32 v116, v102, v84
	s_waitcnt lgkmcnt(0)
	v_max_f32_e32 v116, v116, v116
	v_max_f32_e32 v84, v84, v116
	ds_bpermute_b32 v116, v103, v84
	s_and_saveexec_b64 s[12:13], s[0:1]
	s_cbranch_execz .LBB19_288
; %bb.287:                              ;   in Loop: Header=BB19_284 Depth=1
	v_lshl_add_u64 v[118:119], v[44:45], 2, s[10:11]
	v_lshlrev_b32_e32 v120, 2, v40
	v_mov_b32_e32 v121, v35
	v_lshl_add_u64 v[118:119], v[118:119], 0, v[120:121]
	global_load_dwordx4 v[118:121], v[118:119], off offset:192
	s_waitcnt vmcnt(0)
	ds_write_b128 v99, v[118:121]
.LBB19_288:                             ;   in Loop: Header=BB19_284 Depth=1
	s_or_b64 exec, exec, s[12:13]
	s_waitcnt lgkmcnt(0)
	v_max_f32_e32 v116, v116, v116
	v_max_f32_e32 v84, v84, v84
	;; [unrolled: 1-line block ×3, first 2 shown]
	v_sub_f32_e32 v115, v115, v84
	v_mul_f32_e32 v116, 0x3fb8aa3b, v115
	v_fma_f32 v117, v115, s14, -v116
	v_rndne_f32_e32 v118, v116
	v_fmac_f32_e32 v117, 0x32a5705f, v115
	v_sub_f32_e32 v116, v116, v118
	v_add_f32_e32 v116, v116, v117
	v_exp_f32_e32 v116, v116
	v_cvt_i32_f32_e32 v117, v118
	v_cmp_ngt_f32_e32 vcc, s15, v115
	v_sub_f32_e32 v126, v113, v84
	v_mul_f32_e32 v113, 0x3fb8aa3b, v126
	v_ldexp_f32 v116, v116, v117
	v_sub_f32_e32 v117, v111, v84
	v_mul_f32_e32 v111, 0x3fb8aa3b, v117
	v_fma_f32 v118, v117, s14, -v111
	v_rndne_f32_e32 v119, v111
	v_fmac_f32_e32 v118, 0x32a5705f, v117
	v_sub_f32_e32 v111, v111, v119
	v_add_f32_e32 v111, v111, v118
	v_exp_f32_e32 v118, v111
	v_cvt_i32_f32_e32 v119, v119
	v_cndmask_b32_e32 v111, 0, v116, vcc
	v_sub_f32_e32 v116, v112, v84
	v_mul_f32_e32 v112, 0x3fb8aa3b, v116
	v_cmp_nlt_f32_e32 vcc, s16, v115
	v_ldexp_f32 v115, v118, v119
	v_fma_f32 v118, v116, s14, -v112
	v_rndne_f32_e32 v119, v112
	v_fmac_f32_e32 v118, 0x32a5705f, v116
	v_sub_f32_e32 v112, v112, v119
	v_add_f32_e32 v112, v112, v118
	v_exp_f32_e32 v118, v112
	v_cvt_i32_f32_e32 v119, v119
	v_cndmask_b32_e32 v111, v109, v111, vcc
	v_cmp_ngt_f32_e32 vcc, s15, v117
	v_sub_f32_e32 v128, v114, v84
	v_lshl_add_u64 v[122:123], v[46:47], 2, s[10:11]
	v_cndmask_b32_e32 v112, 0, v115, vcc
	v_cmp_nlt_f32_e32 vcc, s16, v117
	v_ldexp_f32 v115, v118, v119
	v_fma_f32 v117, v126, s14, -v113
	v_rndne_f32_e32 v118, v113
	v_fmac_f32_e32 v117, 0x32a5705f, v126
	v_sub_f32_e32 v113, v113, v118
	v_add_f32_e32 v113, v113, v117
	v_exp_f32_e32 v117, v113
	v_cvt_i32_f32_e32 v118, v118
	v_cndmask_b32_e32 v112, v109, v112, vcc
	v_cmp_ngt_f32_e32 vcc, s15, v116
	v_lshl_add_u64 v[122:123], v[122:123], 0, v[50:51]
	v_ldexp_f32 v127, v117, v118
	v_cndmask_b32_e32 v113, 0, v115, vcc
	v_cmp_nlt_f32_e32 vcc, s16, v116
	v_lshl_add_u64 v[114:115], v[48:49], 2, s[10:11]
	v_lshl_add_u64 v[116:117], v[18:19], 2, s[10:11]
	;; [unrolled: 1-line block ×4, first 2 shown]
	global_load_dwordx4 v[114:117], v[114:115], off offset:128
	s_nop 0
	global_load_dwordx4 v[118:121], v[118:119], off
	v_mul_f32_e32 v129, 0x3fb8aa3b, v128
	global_load_dwordx4 v[122:125], v[122:123], off
	v_fma_f32 v130, v128, s14, -v129
	v_rndne_f32_e32 v51, v129
	v_fmac_f32_e32 v130, 0x32a5705f, v128
	v_sub_f32_e32 v129, v129, v51
	v_add_f32_e32 v129, v129, v130
	v_exp_f32_e32 v129, v129
	v_cvt_i32_f32_e32 v130, v51
	v_cndmask_b32_e32 v113, v109, v113, vcc
	v_cmp_ngt_f32_e32 vcc, s15, v126
	v_sub_f32_e32 v15, v15, v84
	v_sub_f32_e32 v14, v14, v84
	v_cndmask_b32_e32 v51, 0, v127, vcc
	v_mul_f32_e32 v127, 0x3fb8aa3b, v15
	v_cmp_nlt_f32_e32 vcc, s16, v126
	v_ldexp_f32 v126, v129, v130
	v_fma_f32 v129, v15, s14, -v127
	v_rndne_f32_e32 v130, v127
	v_fmac_f32_e32 v129, 0x32a5705f, v15
	v_sub_f32_e32 v127, v127, v130
	v_add_f32_e32 v127, v127, v129
	v_exp_f32_e32 v127, v127
	v_cvt_i32_f32_e32 v129, v130
	v_cndmask_b32_e32 v51, v109, v51, vcc
	v_cmp_ngt_f32_e32 vcc, s15, v128
	v_sub_f32_e32 v13, v13, v84
	v_sub_f32_e32 v12, v12, v84
	v_cndmask_b32_e32 v126, 0, v126, vcc
	v_cmp_nlt_f32_e32 vcc, s16, v128
	v_cvt_pk_f16_f32 v131, v113, v51
	s_add_i32 s60, s60, 1
	v_cndmask_b32_e32 v134, v109, v126, vcc
	v_ldexp_f32 v126, v127, v129
	v_mul_f32_e32 v127, 0x3fb8aa3b, v14
	v_fma_f32 v128, v14, s14, -v127
	v_rndne_f32_e32 v129, v127
	v_fmac_f32_e32 v128, 0x32a5705f, v14
	v_sub_f32_e32 v127, v127, v129
	v_add_f32_e32 v127, v127, v128
	v_exp_f32_e32 v127, v127
	v_cvt_i32_f32_e32 v128, v129
	v_cmp_ngt_f32_e32 vcc, s15, v15
	s_add_i32 s8, s8, 64
	s_waitcnt vmcnt(2)
	ds_write_b128 v96, v[114:117]
	s_waitcnt vmcnt(1)
	ds_write_b128 v97, v[118:121]
	;; [unrolled: 2-line block ×3, first 2 shown]
	v_cndmask_b32_e32 v126, 0, v126, vcc
	v_cmp_nlt_f32_e32 vcc, s16, v15
	v_ldexp_f32 v15, v127, v128
	s_waitcnt lgkmcnt(0)
	v_cndmask_b32_e32 v135, v109, v126, vcc
	v_mul_f32_e32 v126, 0x3fb8aa3b, v13
	v_fma_f32 v127, v13, s14, -v126
	v_rndne_f32_e32 v128, v126
	v_fmac_f32_e32 v127, 0x32a5705f, v13
	v_sub_f32_e32 v126, v126, v128
	v_add_f32_e32 v126, v126, v127
	v_cvt_i32_f32_e32 v127, v128
	v_mul_f32_e32 v128, 0x3fb8aa3b, v12
	v_fma_f32 v129, v12, s14, -v128
	v_rndne_f32_e32 v130, v128
	v_fmac_f32_e32 v129, 0x32a5705f, v12
	v_sub_f32_e32 v128, v128, v130
	v_add_f32_e32 v128, v128, v129
	v_exp_f32_e32 v128, v128
	v_cvt_i32_f32_e32 v129, v130
	v_cmp_ngt_f32_e32 vcc, s15, v14
	v_exp_f32_e32 v126, v126
	s_barrier
	v_cndmask_b32_e32 v15, 0, v15, vcc
	v_cmp_nlt_f32_e32 vcc, s16, v14
	v_ldexp_f32 v14, v126, v127
	s_nop 0
	v_cndmask_b32_e32 v136, v109, v15, vcc
	v_ldexp_f32 v15, v128, v129
	v_cmp_ngt_f32_e32 vcc, s15, v12
	v_cvt_pk_f16_f32 v130, v111, v112
	v_cvt_pk_f16_f32 v132, v134, v135
	v_cndmask_b32_e32 v15, 0, v15, vcc
	v_cmp_nlt_f32_e32 vcc, s16, v12
	s_nop 1
	v_cndmask_b32_e32 v15, v109, v15, vcc
	v_cmp_le_f32_e32 vcc, s17, v12
	s_nop 1
	v_cndmask_b32_e32 v137, 0, v15, vcc
	v_cvt_f16_f32_e32 v12, v137
	v_cmp_ngt_f32_e32 vcc, s15, v13
	v_mul_u32_u24_e32 v139, 0x10001, v12
	s_nop 0
	v_cndmask_b32_e32 v14, 0, v14, vcc
	v_cmp_nlt_f32_e32 vcc, s16, v13
	v_pk_mul_f16 v13, v92, v139
	v_pk_mul_f16 v15, v91, v139
	ds_read_u16 v91, v105
	ds_read_u16 v92, v105 offset:32
	ds_read_u16 v122, v105 offset:64
	;; [unrolled: 1-line block ×4, first 2 shown]
	ds_read_u16 v114, v106
	ds_read_u16 v117, v106 offset:32
	ds_read_u16 v123, v106 offset:64
	;; [unrolled: 1-line block ×6, first 2 shown]
	s_waitcnt lgkmcnt(6)
	v_perm_b32 v115, v114, v91, s19
	ds_read_u16 v91, v104 offset:240
	ds_read_u16 v114, v104
	ds_read_u16 v118, v104 offset:32
	ds_read_u16 v124, v104 offset:64
	;; [unrolled: 1-line block ×6, first 2 shown]
	s_waitcnt lgkmcnt(6)
	v_perm_b32 v114, v91, v114, s19
	v_cndmask_b32_e32 v138, v109, v14, vcc
	v_cvt_f32_f16_e32 v12, v13
	v_cvt_f32_f16_sdwa v13, v13 dst_sel:DWORD dst_unused:UNUSED_PAD src0_sel:WORD_1
	v_cvt_f32_f16_e32 v14, v15
	v_cvt_f32_f16_sdwa v15, v15 dst_sel:DWORD dst_unused:UNUSED_PAD src0_sel:WORD_1
	ds_read_u16 v91, v104 offset:7920
	v_pk_mul_f16 v76, v76, v139
	v_mfma_f32_16x16x16_f16 v[12:15], v[114:115], v[130:131], v[12:15]
	ds_read_u16 v114, v105 offset:7680
	ds_read_u16 v120, v105 offset:7712
	;; [unrolled: 1-line block ×14, first 2 shown]
	s_waitcnt lgkmcnt(7)
	v_perm_b32 v115, v115, v114, s19
	ds_read_u16 v114, v104 offset:7680
	ds_read_u16 v155, v104 offset:272
	;; [unrolled: 1-line block ×11, first 2 shown]
	v_cvt_f16_f32_e32 v12, v12
	v_cvt_f16_f32_e32 v13, v13
	;; [unrolled: 1-line block ×4, first 2 shown]
	s_waitcnt lgkmcnt(10)
	v_perm_b32 v114, v91, v114, s19
	v_cvt_f32_f16_e32 v12, v12
	v_cvt_f32_f16_e32 v13, v13
	;; [unrolled: 1-line block ×4, first 2 shown]
	v_pk_mul_f16 v73, v73, v139
	v_cvt_pk_f16_f32 v133, v136, v138
	v_perm_b32 v119, v117, v92, s19
	s_waitcnt lgkmcnt(9)
	v_perm_b32 v118, v155, v118, s19
	v_mfma_f32_16x16x16_f16 v[12:15], v[114:115], v[132:133], v[12:15]
	v_cvt_f32_f16_e32 v114, v76
	v_cvt_f32_f16_sdwa v115, v76 dst_sel:DWORD dst_unused:UNUSED_PAD src0_sel:WORD_1
	v_cvt_f32_f16_e32 v116, v73
	v_cvt_f32_f16_sdwa v117, v73 dst_sel:DWORD dst_unused:UNUSED_PAD src0_sel:WORD_1
	v_pk_mul_f16 v70, v70, v139
	v_pk_mul_f16 v69, v69, v139
	v_mfma_f32_16x16x16_f16 v[114:117], v[118:119], v[130:131], v[114:117]
	v_perm_b32 v119, v121, v120, s19
	s_waitcnt lgkmcnt(2)
	v_perm_b32 v118, v162, v156, s19
	v_perm_b32 v123, v123, v122, s19
	;; [unrolled: 1-line block ×3, first 2 shown]
	s_nop 2
	v_cvt_f16_f32_e32 v73, v114
	v_cvt_f16_f32_e32 v76, v115
	v_cvt_f16_f32_e32 v91, v116
	v_cvt_f16_f32_e32 v92, v117
	v_cvt_f32_f16_e32 v114, v73
	v_cvt_f32_f16_e32 v115, v76
	;; [unrolled: 1-line block ×5, first 2 shown]
	v_cvt_f32_f16_sdwa v121, v69 dst_sel:DWORD dst_unused:UNUSED_PAD src0_sel:WORD_1
	v_mfma_f32_16x16x16_f16 v[114:117], v[118:119], v[132:133], v[114:117]
	v_cvt_f32_f16_e32 v118, v70
	v_cvt_f32_f16_sdwa v119, v70 dst_sel:DWORD dst_unused:UNUSED_PAD src0_sel:WORD_1
	ds_read_u16 v69, v104 offset:7744
	ds_read_u16 v70, v104 offset:7776
	;; [unrolled: 1-line block ×4, first 2 shown]
	v_mfma_f32_16x16x16_f16 v[118:121], v[122:123], v[130:131], v[118:121]
	v_perm_b32 v123, v149, v145, s19
	s_waitcnt lgkmcnt(3)
	v_perm_b32 v122, v163, v69, s19
	v_pk_mul_f16 v68, v68, v139
	s_nop 3
	v_cvt_f16_f32_e32 v91, v118
	v_cvt_f16_f32_e32 v92, v119
	;; [unrolled: 1-line block ×4, first 2 shown]
	v_cvt_f32_f16_e32 v118, v91
	v_cvt_f32_f16_e32 v119, v92
	;; [unrolled: 1-line block ×4, first 2 shown]
	v_pk_mul_f16 v67, v67, v139
	v_perm_b32 v69, v126, v125, s19
	v_mfma_f32_16x16x16_f16 v[118:121], v[122:123], v[132:133], v[118:121]
	v_cvt_f32_f16_e32 v122, v68
	v_cvt_f32_f16_sdwa v123, v68 dst_sel:DWORD dst_unused:UNUSED_PAD src0_sel:WORD_1
	v_perm_b32 v68, v158, v128, s19
	v_cvt_f32_f16_e32 v124, v67
	v_cvt_f32_f16_sdwa v125, v67 dst_sel:DWORD dst_unused:UNUSED_PAD src0_sel:WORD_1
	ds_read_u16 v67, v104 offset:8016
	ds_read_u16 v91, v104 offset:8048
	;; [unrolled: 1-line block ×3, first 2 shown]
	v_mfma_f32_16x16x16_f16 v[122:125], v[68:69], v[130:131], v[122:125]
	v_pk_mul_f16 v65, v65, v139
	v_perm_b32 v126, v159, v142, s19
	v_pk_mul_f16 v64, v64, v139
	s_nop 4
	v_cvt_f16_f32_e32 v68, v122
	v_cvt_f16_f32_e32 v69, v123
	;; [unrolled: 1-line block ×4, first 2 shown]
	v_cvt_f32_f16_e32 v122, v68
	v_cvt_f32_f16_e32 v123, v69
	v_perm_b32 v69, v150, v146, s19
	s_waitcnt lgkmcnt(2)
	v_perm_b32 v68, v67, v70, s19
	ds_read_u16 v70, v105 offset:128
	ds_read_u16 v145, v105 offset:160
	v_cvt_f32_f16_e32 v124, v124
	v_cvt_f32_f16_e32 v125, v125
	v_pk_mul_f16 v67, v66, v139
	s_waitcnt lgkmcnt(1)
	v_perm_b32 v127, v127, v70, s19
	v_mfma_f32_16x16x16_f16 v[122:125], v[68:69], v[132:133], v[122:125]
	v_cvt_f32_f16_e32 v66, v67
	v_cvt_f32_f16_sdwa v67, v67 dst_sel:DWORD dst_unused:UNUSED_PAD src0_sel:WORD_1
	v_cvt_f32_f16_e32 v68, v65
	v_cvt_f32_f16_sdwa v69, v65 dst_sel:DWORD dst_unused:UNUSED_PAD src0_sel:WORD_1
	v_pk_mul_f16 v63, v63, v139
	v_add_f32_e32 v70, v111, v112
	v_mfma_f32_16x16x16_f16 v[66:69], v[126:127], v[130:131], v[66:69]
	v_perm_b32 v127, v151, v147, s19
	v_perm_b32 v126, v91, v73, s19
	v_cvt_f32_f16_e32 v128, v63
	v_add_f32_e32 v70, v113, v70
	s_nop 3
	v_cvt_f16_f32_e32 v65, v66
	v_cvt_f16_f32_e32 v67, v67
	;; [unrolled: 1-line block ×4, first 2 shown]
	v_cvt_f32_f16_e32 v66, v65
	v_cvt_f32_f16_e32 v67, v67
	;; [unrolled: 1-line block ×4, first 2 shown]
	s_waitcnt lgkmcnt(0)
	v_perm_b32 v65, v129, v145, s19
	v_cvt_f32_f16_sdwa v129, v63 dst_sel:DWORD dst_unused:UNUSED_PAD src0_sel:WORD_1
	v_mfma_f32_16x16x16_f16 v[66:69], v[126:127], v[132:133], v[66:69]
	v_cvt_f32_f16_e32 v126, v64
	v_cvt_f32_f16_sdwa v127, v64 dst_sel:DWORD dst_unused:UNUSED_PAD src0_sel:WORD_1
	v_perm_b32 v64, v160, v143, s19
	ds_read_u16 v63, v105 offset:7840
	v_pk_mul_f16 v60, v60, v139
	v_mfma_f32_16x16x16_f16 v[126:129], v[64:65], v[130:131], v[126:129]
	v_perm_b32 v113, v154, v148, s19
	v_perm_b32 v112, v161, v144, s19
	v_add_f32_e32 v51, v51, v70
	s_nop 4
	v_cvt_f16_f32_e32 v64, v126
	v_cvt_f16_f32_e32 v65, v127
	;; [unrolled: 1-line block ×4, first 2 shown]
	v_cvt_f32_f16_e32 v126, v64
	v_cvt_f32_f16_e32 v127, v65
	s_waitcnt lgkmcnt(0)
	v_perm_b32 v65, v152, v63, s19
	v_perm_b32 v64, v92, v76, s19
	v_cvt_f32_f16_e32 v128, v73
	v_cvt_f32_f16_e32 v129, v91
	v_pk_mul_f16 v63, v62, v139
	v_add_f32_e32 v51, v134, v51
	v_mfma_f32_16x16x16_f16 v[126:129], v[64:65], v[132:133], v[126:129]
	v_cvt_f32_f16_e32 v62, v63
	v_cvt_f32_f16_sdwa v63, v63 dst_sel:DWORD dst_unused:UNUSED_PAD src0_sel:WORD_1
	v_cvt_f32_f16_e32 v64, v60
	v_cvt_f32_f16_sdwa v65, v60 dst_sel:DWORD dst_unused:UNUSED_PAD src0_sel:WORD_1
	v_add_f32_e32 v51, v135, v51
	v_add_f32_e32 v51, v136, v51
	v_mfma_f32_16x16x16_f16 v[62:65], v[112:113], v[130:131], v[62:65]
	v_perm_b32 v113, v153, v141, s19
	v_perm_b32 v112, v140, v164, s19
	v_add_f32_e32 v51, v138, v51
	v_fmac_f32_e32 v51, v110, v137
	s_nop 3
	v_cvt_f16_f32_e32 v60, v62
	v_cvt_f16_f32_e32 v63, v63
	;; [unrolled: 1-line block ×4, first 2 shown]
	v_cvt_f32_f16_e32 v62, v60
	v_cvt_f32_f16_e32 v63, v63
	;; [unrolled: 1-line block ×4, first 2 shown]
	v_cmp_lt_i32_e32 vcc, s60, v90
	v_cvt_pk_f16_f32 v66, v66, v67
	v_mfma_f32_16x16x16_f16 v[110:113], v[112:113], v[132:133], v[62:65]
	v_cvt_pk_f16_f32 v67, v124, v125
	v_cvt_pk_f16_f32 v70, v118, v119
	s_nop 0
	v_cvt_pk_f16_f32 v64, v126, v127
	v_cvt_pk_f16_f32 v63, v128, v129
	v_cvt_pk_f16_f32 v65, v68, v69
	v_cvt_pk_f16_f32 v68, v122, v123
	v_cvt_pk_f16_f32 v69, v120, v121
	v_cvt_pk_f16_f32 v76, v114, v115
	v_cvt_pk_f16_f32 v73, v116, v117
	v_cvt_pk_f16_f32 v92, v12, v13
	v_cvt_pk_f16_f32 v91, v14, v15
	v_cvt_pk_f16_f32 v62, v110, v111
	v_cvt_pk_f16_f32 v60, v112, v113
	s_barrier
	s_cbranch_vccz .LBB19_291
; %bb.289:                              ;   in Loop: Header=BB19_284 Depth=1
	v_mov_b32_e32 v110, v51
	v_mov_b32_e32 v12, v84
	s_branch .LBB19_284
.LBB19_290:
	v_mov_b32_e32 v84, 0xfeffffff
	v_mov_b32_e32 v51, 0
	;; [unrolled: 1-line block ×16, first 2 shown]
	s_branch .LBB19_292
.LBB19_291:
	v_mov_b64_e32 v[12:13], s[22:23]
.LBB19_292:
	s_lshl_b32 s8, s60, 6
	s_ashr_i32 s9, s8, 31
	s_lshl_b64 s[0:1], s[8:9], 1
	s_add_u32 s0, s6, s0
	s_addc_u32 s1, s7, s1
	v_lshl_add_u64 v[14:15], v[30:31], 1, s[0:1]
	v_lshl_add_u64 v[14:15], v[26:27], 1, v[14:15]
	global_load_dword v27, v[14:15], off
	v_lshlrev_b32_e32 v14, 1, v26
	v_add3_u32 v26, 0, v89, v14
	v_mul_hi_u32 v15, v12, s8
	v_mul_lo_u32 v14, v12, s8
	v_mul_lo_u32 v12, v12, s9
	;; [unrolled: 1-line block ×3, first 2 shown]
	v_add_u32_e32 v12, v15, v12
	v_add_u32_e32 v15, v12, v13
	v_cmp_gt_u32_e32 vcc, 64, v79
	v_lshlrev_b64 v[12:13], 2, v[14:15]
	v_cmp_lt_u32_e64 s[0:1], 63, v79
                                        ; implicit-def: $vgpr30
                                        ; implicit-def: $vgpr14
	s_waitcnt vmcnt(0)
	ds_write_b32 v26, v27 offset:15360
	s_and_saveexec_b64 s[6:7], s[0:1]
	s_xor_b64 s[0:1], exec, s[6:7]
; %bb.293:
	v_mul_i32_i24_e32 v30, 0xf0, v79
	v_and_or_b32 v14, v88, 4, 48
	v_mov_b32_e32 v15, 0
                                        ; implicit-def: $vgpr88
; %bb.294:
	s_or_saveexec_b64 s[0:1], s[0:1]
	v_lshl_add_u64 v[26:27], s[4:5], 0, v[12:13]
	s_xor_b64 exec, exec, s[0:1]
	s_cbranch_execz .LBB19_296
; %bb.295:
	v_mul_lo_u32 v12, v79, s22
	v_ashrrev_i32_e32 v13, 31, v12
	v_and_b32_e32 v14, 4, v88
	v_mov_b32_e32 v15, 0
	v_lshl_add_u64 v[12:13], v[12:13], 2, v[26:27]
	v_lshlrev_b32_e32 v42, 2, v14
	v_mov_b32_e32 v43, v15
	v_lshl_add_u64 v[12:13], v[12:13], 0, v[42:43]
	global_load_dwordx4 v[34:37], v[12:13], off offset:192
	v_mul_i32_i24_e32 v30, 0xf0, v79
	v_or_b32_e32 v14, 48, v14
	v_add3_u32 v12, 0, v30, v42
	s_waitcnt vmcnt(0)
	ds_write_b128 v12, v[34:37] offset:192
.LBB19_296:
	s_or_b64 exec, exec, s[0:1]
	v_lshl_add_u64 v[12:13], v[22:23], 2, v[26:27]
	v_lshl_add_u64 v[22:23], v[16:17], 2, v[12:13]
	;; [unrolled: 1-line block ×3, first 2 shown]
	v_lshlrev_b64 v[12:13], 2, v[24:25]
	v_lshl_add_u64 v[26:27], v[32:33], 2, v[26:27]
	v_lshl_add_u64 v[28:29], v[28:29], 0, v[12:13]
	v_lshl_add_u64 v[26:27], v[26:27], 0, v[12:13]
	global_load_dwordx4 v[32:35], v[22:23], off
	global_load_dwordx4 v[42:45], v[28:29], off
	global_load_dwordx4 v[46:49], v[26:27], off
	v_lshlrev_b32_e32 v22, 2, v16
	v_add_u32_e32 v27, 0, v80
	v_mul_u32_u24_e32 v28, 0xf0, v82
	v_lshlrev_b32_e32 v24, 2, v24
	v_add3_u32 v23, 0, v83, v22
	v_add3_u32 v22, v27, v57, v28
	;; [unrolled: 1-line block ×4, first 2 shown]
	v_add_u32_e32 v24, 0x1800, v22
	v_and_b32_e32 v27, 0xfc, v81
	v_lshrrev_b32_e32 v28, 2, v86
	v_mul_u32_u24_e32 v28, 0x90, v28
	v_add_lshl_u32 v27, v27, v82, 1
	v_mbcnt_hi_u32_b32 v31, -1, v95
	v_and_b32_e32 v29, 64, v31
	v_xor_b32_e32 v40, 32, v31
	s_waitcnt vmcnt(2)
	ds_write_b128 v23, v[32:35]
	s_waitcnt vmcnt(1)
	ds_write_b128 v25, v[42:45]
	;; [unrolled: 2-line block ×3, first 2 shown]
	s_waitcnt lgkmcnt(0)
	s_barrier
	ds_read2_b64 v[32:35], v22 offset1:4
	ds_read2_b64 v[46:49], v24 offset0:192 offset1:196
	s_waitcnt lgkmcnt(1)
	v_mfma_f32_16x16x16_f16 v[42:45], v[32:33], v[8:9], 0
	v_mfma_f32_16x16x16_f16 v[32:35], v[34:35], v[10:11], v[42:45]
	s_nop 6
	ds_read2_b64 v[42:45], v22 offset0:8 offset1:12
	ds_read2_b64 v[100:103], v24 offset0:200 offset1:204
	s_waitcnt lgkmcnt(2)
	v_mfma_f32_16x16x16_f16 v[96:99], v[46:47], v[8:9], 0
	s_waitcnt lgkmcnt(1)
	v_mfma_f32_16x16x16_f16 v[32:35], v[42:43], v[4:5], v[32:35]
	v_mfma_f32_16x16x16_f16 v[8:11], v[48:49], v[10:11], v[96:99]
	ds_read2_b64 v[46:49], v22 offset0:16 offset1:20
	v_mfma_f32_16x16x16_f16 v[32:35], v[44:45], v[6:7], v[32:35]
	ds_read2_b64 v[42:45], v24 offset0:208 offset1:212
	s_waitcnt lgkmcnt(2)
	v_mfma_f32_16x16x16_f16 v[8:11], v[100:101], v[4:5], v[8:11]
	v_add3_u32 v4, 0, v28, v27
	v_add_u32_e32 v50, 0x3c00, v4
	v_add_u32_e32 v27, 64, v29
	v_mfma_f32_16x16x16_f16 v[4:7], v[102:103], v[6:7], v[8:11]
	ds_read_b64 v[28:29], v22 offset:192
	ds_read_b64 v[36:37], v22 offset:7872
	s_waitcnt lgkmcnt(0)
	s_barrier
	v_mfma_f32_16x16x16_f16 v[8:11], v[46:47], v[0:1], v[32:35]
	v_cmp_lt_i32_e64 s[0:1], v40, v27
	v_mfma_f32_16x16x16_f16 v[4:7], v[42:43], v[0:1], v[4:7]
	s_nop 0
	ds_read2_b32 v[32:33], v50 offset1:1
	ds_read2_b32 v[34:35], v50 offset0:16 offset1:17
	v_cndmask_b32_e64 v0, v31, v40, s[0:1]
	v_mfma_f32_16x16x16_f16 v[8:11], v[48:49], v[2:3], v[8:11]
	v_lshlrev_b32_e32 v24, 2, v0
	s_waitcnt lgkmcnt(1)
	v_cvt_f32_f16_e32 v22, v32
	v_cvt_f32_f16_sdwa v40, v32 dst_sel:DWORD dst_unused:UNUSED_PAD src0_sel:WORD_1
	v_mfma_f32_16x16x16_f16 v[0:3], v[44:45], v[2:3], v[4:7]
	v_cvt_f32_f16_sdwa v42, v33 dst_sel:DWORD dst_unused:UNUSED_PAD src0_sel:WORD_1
	s_waitcnt lgkmcnt(0)
	v_cvt_f32_f16_e32 v43, v34
	v_cvt_f32_f16_sdwa v44, v35 dst_sel:DWORD dst_unused:UNUSED_PAD src0_sel:WORD_1
	v_mfma_f32_16x16x16_f16 v[8:11], v[28:29], v[20:21], v[8:11]
	v_cvt_f32_f16_e32 v4, v33
	v_cvt_f32_f16_sdwa v28, v34 dst_sel:DWORD dst_unused:UNUSED_PAD src0_sel:WORD_1
	v_cvt_f32_f16_e32 v29, v35
	v_mfma_f32_16x16x16_f16 v[32:35], v[36:37], v[20:21], v[0:3]
	s_nop 3
	v_add_f32_e32 v7, v8, v22
	v_add_f32_e32 v6, v9, v40
	;; [unrolled: 1-line block ×10, first 2 shown]
	v_max3_f32 v8, v84, v8, v9
	v_add_f32_e32 v1, v34, v29
	v_add_f32_e32 v0, v35, v44
	;; [unrolled: 1-line block ×4, first 2 shown]
	v_max3_f32 v8, v8, v10, v11
	v_add_f32_e32 v22, 0x40051340, v1
	v_add_f32_e32 v28, 0x40051340, v0
	v_max3_f32 v8, v8, v20, v21
	v_max3_f32 v8, v8, v22, v28
	ds_bpermute_b32 v9, v24, v8
	v_xor_b32_e32 v10, 16, v31
	v_cmp_lt_i32_e64 s[0:1], v10, v27
	s_waitcnt lgkmcnt(0)
	v_max_f32_e32 v9, v9, v9
	v_cndmask_b32_e64 v10, v31, v10, s[0:1]
	v_lshlrev_b32_e32 v29, 2, v10
	v_max_f32_e32 v8, v8, v9
	ds_bpermute_b32 v9, v29, v8
	s_mul_hi_i32 s1, s8, s18
	s_mul_i32 s0, s8, s18
	s_lshl_b64 s[0:1], s[0:1], 2
	s_add_u32 s0, s2, s0
	s_addc_u32 s1, s3, s1
	s_and_saveexec_b64 s[4:5], vcc
	s_cbranch_execz .LBB19_298
; %bb.297:
	v_mul_lo_u32 v10, v79, s18
	v_ashrrev_i32_e32 v11, 31, v10
	v_lshl_add_u64 v[10:11], v[10:11], 2, s[0:1]
	v_lshl_add_u64 v[10:11], v[14:15], 2, v[10:11]
	global_load_dwordx4 v[32:35], v[10:11], off
	v_lshlrev_b32_e32 v10, 2, v14
	v_add3_u32 v10, 0, v30, v10
	s_waitcnt vmcnt(0)
	ds_write_b128 v10, v[32:35]
.LBB19_298:
	s_or_b64 exec, exec, s[4:5]
	s_waitcnt lgkmcnt(0)
	v_max_f32_e32 v9, v9, v9
	v_max_f32_e32 v8, v8, v8
	;; [unrolled: 1-line block ×3, first 2 shown]
	v_sub_f32_e32 v7, v7, v28
	s_mov_b32 s4, 0x3fb8aa3b
	v_mul_f32_e32 v8, 0x3fb8aa3b, v7
	v_fma_f32 v9, v7, s4, -v8
	v_rndne_f32_e32 v10, v8
	v_fmac_f32_e32 v9, 0x32a5705f, v7
	v_sub_f32_e32 v8, v8, v10
	v_add_f32_e32 v8, v8, v9
	v_exp_f32_e32 v8, v8
	v_cvt_i32_f32_e32 v9, v10
	v_sub_f32_e32 v6, v6, v28
	s_mov_b32 s2, 0xc2ce8ed0
	v_cmp_ngt_f32_e32 vcc, s2, v7
	v_ldexp_f32 v8, v8, v9
	v_mul_f32_e32 v9, 0x3fb8aa3b, v6
	v_fma_f32 v10, v6, s4, -v9
	v_rndne_f32_e32 v11, v9
	v_fmac_f32_e32 v10, 0x32a5705f, v6
	v_sub_f32_e32 v9, v9, v11
	v_add_f32_e32 v9, v9, v10
	v_exp_f32_e32 v9, v9
	v_cvt_i32_f32_e32 v10, v11
	s_mov_b32 s3, 0x42b17218
	v_cndmask_b32_e32 v8, 0, v8, vcc
	v_mov_b32_e32 v27, 0x7f800000
	v_cmp_nlt_f32_e32 vcc, s3, v7
	v_sub_f32_e32 v5, v5, v28
	v_ldexp_f32 v7, v9, v10
	v_cndmask_b32_e32 v20, v27, v8, vcc
	v_mul_f32_e32 v8, 0x3fb8aa3b, v5
	v_fma_f32 v9, v5, s4, -v8
	v_rndne_f32_e32 v10, v8
	v_fmac_f32_e32 v9, 0x32a5705f, v5
	v_sub_f32_e32 v8, v8, v10
	v_add_f32_e32 v8, v8, v9
	v_exp_f32_e32 v8, v8
	v_cvt_i32_f32_e32 v9, v10
	v_cmp_ngt_f32_e32 vcc, s2, v6
	v_sub_f32_e32 v30, v4, v28
	v_mul_f32_e32 v4, 0x3fb8aa3b, v30
	v_cndmask_b32_e32 v7, 0, v7, vcc
	v_cmp_nlt_f32_e32 vcc, s3, v6
	v_ldexp_f32 v6, v8, v9
	v_rndne_f32_e32 v8, v4
	v_cndmask_b32_e32 v21, v27, v7, vcc
	v_fma_f32 v7, v30, s4, -v4
	v_fmac_f32_e32 v7, 0x32a5705f, v30
	v_sub_f32_e32 v4, v4, v8
	v_add_f32_e32 v4, v4, v7
	v_exp_f32_e32 v4, v4
	v_cvt_i32_f32_e32 v7, v8
	v_cmp_ngt_f32_e32 vcc, s2, v5
	v_sub_f32_e32 v3, v3, v28
	v_mul_lo_u32 v14, v78, s18
	v_cndmask_b32_e32 v6, 0, v6, vcc
	v_cmp_nlt_f32_e32 vcc, s3, v5
	v_ldexp_f32 v31, v4, v7
	v_mul_f32_e32 v4, 0x3fb8aa3b, v3
	v_cndmask_b32_e32 v22, v27, v6, vcc
	v_fma_f32 v5, v3, s4, -v4
	v_rndne_f32_e32 v6, v4
	v_fmac_f32_e32 v5, 0x32a5705f, v3
	v_sub_f32_e32 v4, v4, v6
	v_add_f32_e32 v4, v4, v5
	v_exp_f32_e32 v32, v4
	v_mul_lo_u32 v4, v75, s18
	v_ashrrev_i32_e32 v5, 31, v4
	v_lshl_add_u64 v[4:5], v[4:5], 2, s[0:1]
	v_ashrrev_i32_e32 v15, 31, v14
	v_lshl_add_u64 v[16:17], v[16:17], 2, v[4:5]
	v_lshl_add_u64 v[4:5], v[18:19], 2, s[0:1]
	v_cvt_i32_f32_e32 v33, v6
	v_lshl_add_u64 v[18:19], v[4:5], 0, v[12:13]
	global_load_dwordx4 v[4:7], v[16:17], off
	global_load_dwordx4 v[8:11], v[18:19], off
	v_lshl_add_u64 v[14:15], v[14:15], 2, s[0:1]
	v_lshl_add_u64 v[12:13], v[14:15], 0, v[12:13]
	global_load_dwordx4 v[12:15], v[12:13], off
	v_sub_f32_e32 v2, v2, v28
	v_mul_f32_e32 v17, 0x3fb8aa3b, v2
	v_fma_f32 v18, v2, s4, -v17
	v_rndne_f32_e32 v19, v17
	v_fmac_f32_e32 v18, 0x32a5705f, v2
	v_sub_f32_e32 v17, v17, v19
	v_cmp_ngt_f32_e32 vcc, s2, v30
	v_add_f32_e32 v17, v17, v18
	v_exp_f32_e32 v17, v17
	v_cndmask_b32_e32 v16, 0, v31, vcc
	v_cmp_nlt_f32_e32 vcc, s3, v30
	v_cvt_i32_f32_e32 v18, v19
	v_sub_f32_e32 v1, v1, v28
	v_cndmask_b32_e32 v36, v27, v16, vcc
	v_ldexp_f32 v16, v32, v33
	v_cmp_ngt_f32_e32 vcc, s2, v3
	v_sub_f32_e32 v0, v0, v28
	s_mov_b32 s0, 0xc1a00000
	v_cndmask_b32_e32 v16, 0, v16, vcc
	v_cmp_nlt_f32_e32 vcc, s3, v3
	v_ldexp_f32 v3, v17, v18
	s_waitcnt vmcnt(2)
	ds_write_b128 v23, v[4:7]
	s_waitcnt vmcnt(1)
	ds_write_b128 v25, v[8:11]
	;; [unrolled: 2-line block ×3, first 2 shown]
	v_cndmask_b32_e32 v37, v27, v16, vcc
	v_mul_f32_e32 v16, 0x3fb8aa3b, v1
	v_fma_f32 v17, v1, s4, -v16
	v_rndne_f32_e32 v18, v16
	v_fmac_f32_e32 v17, 0x32a5705f, v1
	v_sub_f32_e32 v16, v16, v18
	v_add_f32_e32 v16, v16, v17
	v_exp_f32_e32 v16, v16
	v_cvt_i32_f32_e32 v17, v18
	v_cmp_ngt_f32_e32 vcc, s2, v2
	s_waitcnt lgkmcnt(0)
	s_barrier
	v_cndmask_b32_e32 v3, 0, v3, vcc
	v_cmp_nlt_f32_e32 vcc, s3, v2
	v_ldexp_f32 v2, v16, v17
	s_nop 0
	v_cndmask_b32_e32 v40, v27, v3, vcc
	v_mul_f32_e32 v3, 0x3fb8aa3b, v0
	v_fma_f32 v16, v0, s4, -v3
	v_rndne_f32_e32 v17, v3
	v_fmac_f32_e32 v16, 0x32a5705f, v0
	v_sub_f32_e32 v3, v3, v17
	v_add_f32_e32 v3, v3, v16
	v_cvt_i32_f32_e32 v16, v17
	v_sub_f32_e32 v17, v84, v28
	v_mul_f32_e32 v18, 0x3fb8aa3b, v17
	v_fma_f32 v19, v17, s4, -v18
	v_rndne_f32_e32 v30, v18
	v_fmac_f32_e32 v19, 0x32a5705f, v17
	v_sub_f32_e32 v18, v18, v30
	v_add_f32_e32 v18, v18, v19
	v_exp_f32_e32 v18, v18
	v_cvt_i32_f32_e32 v19, v30
	v_cmp_ngt_f32_e32 vcc, s2, v1
	v_exp_f32_e32 v3, v3
	v_cvt_pk_f16_f32 v26, v20, v21
	v_cndmask_b32_e32 v2, 0, v2, vcc
	v_cmp_nlt_f32_e32 vcc, s3, v1
	v_ldexp_f32 v1, v3, v16
	v_and_b32_e32 v16, 0xfc, v74
	v_cndmask_b32_e32 v42, v27, v2, vcc
	v_ldexp_f32 v2, v18, v19
	v_cmp_ngt_f32_e32 vcc, s2, v17
	v_mul_u32_u24_e32 v16, 0xf0, v16
	s_nop 0
	v_cndmask_b32_e32 v2, 0, v2, vcc
	v_cmp_nlt_f32_e32 vcc, s3, v17
	s_nop 1
	v_cndmask_b32_e32 v2, v27, v2, vcc
	v_cmp_le_f32_e32 vcc, s0, v17
	s_movk_i32 s0, 0x1e0
	v_mad_u32_u24 v4, v72, s0, 0
	v_cndmask_b32_e32 v43, 0, v2, vcc
	v_cvt_f16_f32_e32 v2, v43
	v_cmp_ngt_f32_e32 vcc, s2, v0
	v_add3_u32 v18, v4, v16, v71
	s_mov_b32 s0, 0x5040100
	v_mul_u32_u24_e32 v45, 0x10001, v2
	v_or_b32_e32 v2, 2, v74
	v_cndmask_b32_e32 v1, 0, v1, vcc
	v_cmp_nlt_f32_e32 vcc, s3, v0
	v_or_b32_e32 v0, 3, v74
	v_mul_u32_u24_e32 v2, 0xf0, v2
	v_mul_u32_u24_e32 v0, 0xf0, v0
	v_add3_u32 v23, v4, v2, v71
	v_add3_u32 v6, v4, v0, v71
	ds_read_u16 v4, v23
	ds_read_u16 v7, v23 offset:32
	ds_read_u16 v12, v23 offset:64
	;; [unrolled: 1-line block ×4, first 2 shown]
	ds_read_u16 v5, v6
	ds_read_u16 v8, v6 offset:32
	ds_read_u16 v13, v6 offset:64
	;; [unrolled: 1-line block ×6, first 2 shown]
	s_waitcnt lgkmcnt(6)
	v_perm_b32 v5, v5, v4, s0
	ds_read_u16 v4, v18 offset:240
	ds_read_u16 v9, v18
	ds_read_u16 v10, v18 offset:32
	ds_read_u16 v14, v18 offset:64
	;; [unrolled: 1-line block ×6, first 2 shown]
	v_cndmask_b32_e32 v44, v27, v1, vcc
	v_pk_mul_f16 v1, v92, v45
	v_pk_mul_f16 v3, v91, v45
	s_waitcnt lgkmcnt(6)
	v_perm_b32 v4, v4, v9, s0
	v_cvt_f32_f16_e32 v0, v1
	v_cvt_f32_f16_sdwa v1, v1 dst_sel:DWORD dst_unused:UNUSED_PAD src0_sel:WORD_1
	v_cvt_f32_f16_e32 v2, v3
	v_cvt_f32_f16_sdwa v3, v3 dst_sel:DWORD dst_unused:UNUSED_PAD src0_sel:WORD_1
	v_cvt_pk_f16_f32 v27, v22, v36
	v_pk_mul_f16 v9, v76, v45
	v_cvt_pk_f16_f32 v35, v42, v44
	v_mfma_f32_16x16x16_f16 v[0:3], v[4:5], v[26:27], v[0:3]
	ds_read_u16 v4, v18 offset:7920
	ds_read_u16 v5, v23 offset:7680
	;; [unrolled: 1-line block ×15, first 2 shown]
	s_waitcnt lgkmcnt(7)
	v_perm_b32 v5, v34, v5, s0
	v_cvt_f16_f32_e32 v0, v0
	v_cvt_f16_f32_e32 v1, v1
	;; [unrolled: 1-line block ×4, first 2 shown]
	ds_read_u16 v6, v18 offset:7680
	ds_read_u16 v80, v18 offset:272
	;; [unrolled: 1-line block ×11, first 2 shown]
	s_waitcnt lgkmcnt(10)
	v_perm_b32 v4, v4, v6, s0
	v_cvt_f32_f16_e32 v0, v0
	v_cvt_f32_f16_e32 v1, v1
	;; [unrolled: 1-line block ×4, first 2 shown]
	v_cvt_pk_f16_f32 v34, v37, v40
	v_pk_mul_f16 v73, v73, v45
	v_perm_b32 v13, v13, v12, s0
	v_mfma_f32_16x16x16_f16 v[0:3], v[4:5], v[34:35], v[0:3]
	v_cvt_f32_f16_e32 v4, v9
	v_cvt_f32_f16_sdwa v5, v9 dst_sel:DWORD dst_unused:UNUSED_PAD src0_sel:WORD_1
	v_perm_b32 v9, v8, v7, s0
	s_waitcnt lgkmcnt(9)
	v_perm_b32 v8, v80, v10, s0
	v_cvt_f32_f16_e32 v6, v73
	v_cvt_f32_f16_sdwa v7, v73 dst_sel:DWORD dst_unused:UNUSED_PAD src0_sel:WORD_1
	v_pk_mul_f16 v10, v70, v45
	s_waitcnt lgkmcnt(7)
	v_perm_b32 v12, v82, v14, s0
	v_mfma_f32_16x16x16_f16 v[4:7], v[8:9], v[26:27], v[4:7]
	v_perm_b32 v9, v71, v11, s0
	s_waitcnt lgkmcnt(2)
	v_perm_b32 v8, v87, v81, s0
	v_pk_mul_f16 v11, v69, v45
	ds_read_u16 v14, v18 offset:7744
	ds_read_u16 v69, v18 offset:7776
	ds_read_u16 v70, v18 offset:7808
	ds_read_u16 v71, v18 offset:7840
	v_cvt_f16_f32_e32 v4, v4
	v_cvt_f16_f32_e32 v5, v5
	;; [unrolled: 1-line block ×4, first 2 shown]
	v_cvt_f32_f16_e32 v4, v4
	v_cvt_f32_f16_e32 v5, v5
	;; [unrolled: 1-line block ×4, first 2 shown]
	v_pk_mul_f16 v67, v67, v45
	v_pk_mul_f16 v65, v65, v45
	v_mfma_f32_16x16x16_f16 v[4:7], v[8:9], v[34:35], v[4:7]
	v_cvt_f32_f16_e32 v8, v10
	v_cvt_f32_f16_sdwa v9, v10 dst_sel:DWORD dst_unused:UNUSED_PAD src0_sel:WORD_1
	v_cvt_f32_f16_e32 v10, v11
	v_cvt_f32_f16_sdwa v11, v11 dst_sel:DWORD dst_unused:UNUSED_PAD src0_sel:WORD_1
	s_nop 1
	v_mfma_f32_16x16x16_f16 v[8:11], v[12:13], v[26:27], v[8:11]
	v_perm_b32 v13, v72, v17, s0
	s_waitcnt lgkmcnt(3)
	v_perm_b32 v12, v88, v14, s0
	v_pk_mul_f16 v14, v68, v45
	v_perm_b32 v17, v16, v15, s0
	s_nop 2
	v_cvt_f16_f32_e32 v8, v8
	v_cvt_f16_f32_e32 v9, v9
	;; [unrolled: 1-line block ×4, first 2 shown]
	v_cvt_f32_f16_e32 v8, v8
	v_cvt_f32_f16_e32 v9, v9
	v_cvt_f32_f16_e32 v10, v10
	v_cvt_f32_f16_e32 v11, v11
	v_perm_b32 v16, v83, v30, s0
	v_cvt_f32_f16_sdwa v15, v67 dst_sel:DWORD dst_unused:UNUSED_PAD src0_sel:WORD_1
	v_mfma_f32_16x16x16_f16 v[8:11], v[12:13], v[34:35], v[8:11]
	v_cvt_f32_f16_e32 v12, v14
	v_cvt_f32_f16_sdwa v13, v14 dst_sel:DWORD dst_unused:UNUSED_PAD src0_sel:WORD_1
	v_cvt_f32_f16_e32 v14, v67
	ds_read_u16 v30, v18 offset:8016
	ds_read_u16 v67, v18 offset:8048
	;; [unrolled: 1-line block ×3, first 2 shown]
	v_mfma_f32_16x16x16_f16 v[12:15], v[16:17], v[26:27], v[12:15]
	v_perm_b32 v17, v74, v31, s0
	s_waitcnt lgkmcnt(2)
	v_perm_b32 v16, v30, v69, s0
	ds_read_u16 v30, v23 offset:128
	ds_read_u16 v69, v23 offset:160
	s_nop 2
	v_cvt_f16_f32_e32 v12, v12
	v_cvt_f16_f32_e32 v13, v13
	;; [unrolled: 1-line block ×4, first 2 shown]
	v_cvt_f32_f16_e32 v12, v12
	v_cvt_f32_f16_e32 v13, v13
	;; [unrolled: 1-line block ×4, first 2 shown]
	v_pk_mul_f16 v18, v66, v45
	s_waitcnt lgkmcnt(1)
	v_perm_b32 v31, v19, v30, s0
	v_perm_b32 v30, v84, v32, s0
	v_mfma_f32_16x16x16_f16 v[12:15], v[16:17], v[34:35], v[12:15]
	v_cvt_f32_f16_e32 v16, v18
	v_cvt_f32_f16_sdwa v17, v18 dst_sel:DWORD dst_unused:UNUSED_PAD src0_sel:WORD_1
	v_cvt_f32_f16_e32 v18, v65
	v_cvt_f32_f16_sdwa v19, v65 dst_sel:DWORD dst_unused:UNUSED_PAD src0_sel:WORD_1
	ds_read_u16 v65, v23 offset:7840
	v_add_f32_e32 v23, v20, v21
	v_mfma_f32_16x16x16_f16 v[16:19], v[30:31], v[26:27], v[16:19]
	v_perm_b32 v31, v75, v49, s0
	v_perm_b32 v30, v67, v70, s0
	v_pk_mul_f16 v20, v64, v45
	v_pk_mul_f16 v49, v63, v45
	s_nop 3
	v_cvt_f16_f32_e32 v16, v16
	v_cvt_f16_f32_e32 v17, v17
	;; [unrolled: 1-line block ×4, first 2 shown]
	v_cvt_f32_f16_e32 v16, v16
	v_cvt_f32_f16_e32 v17, v17
	;; [unrolled: 1-line block ×4, first 2 shown]
	s_waitcnt lgkmcnt(1)
	v_perm_b32 v21, v33, v69, s0
	v_cvt_f32_f16_e32 v32, v49
	v_mfma_f32_16x16x16_f16 v[16:19], v[30:31], v[34:35], v[16:19]
	v_cvt_f32_f16_e32 v30, v20
	v_cvt_f32_f16_sdwa v31, v20 dst_sel:DWORD dst_unused:UNUSED_PAD src0_sel:WORD_1
	v_perm_b32 v20, v85, v47, s0
	v_cvt_f32_f16_sdwa v33, v49 dst_sel:DWORD dst_unused:UNUSED_PAD src0_sel:WORD_1
	v_add_f32_e32 v22, v22, v23
	v_add_f32_e32 v22, v36, v22
	;; [unrolled: 1-line block ×3, first 2 shown]
	v_mfma_f32_16x16x16_f16 v[20:23], v[20:21], v[26:27], v[30:33]
	v_add_f32_e32 v40, v40, v36
	v_perm_b32 v37, v79, v50, s0
	v_perm_b32 v36, v86, v48, s0
	s_waitcnt lgkmcnt(0)
	v_perm_b32 v31, v76, v65, s0
	v_perm_b32 v30, v68, v71, s0
	s_nop 1
	v_cvt_f16_f32_e32 v20, v20
	v_cvt_f16_f32_e32 v21, v21
	;; [unrolled: 1-line block ×4, first 2 shown]
	v_cvt_f32_f16_e32 v20, v20
	v_cvt_f32_f16_e32 v21, v21
	;; [unrolled: 1-line block ×4, first 2 shown]
	v_pk_mul_f16 v32, v62, v45
	v_pk_mul_f16 v33, v60, v45
	v_mfma_f32_16x16x16_f16 v[20:23], v[30:31], v[34:35], v[20:23]
	v_cvt_f32_f16_e32 v30, v32
	v_cvt_f32_f16_sdwa v31, v32 dst_sel:DWORD dst_unused:UNUSED_PAD src0_sel:WORD_1
	v_cvt_f32_f16_e32 v32, v33
	v_cvt_f32_f16_sdwa v33, v33 dst_sel:DWORD dst_unused:UNUSED_PAD src0_sel:WORD_1
	v_add_f32_e32 v40, v42, v40
	v_add_f32_e32 v40, v44, v40
	v_mfma_f32_16x16x16_f16 v[30:33], v[36:37], v[26:27], v[30:33]
	v_fmac_f32_e32 v40, v51, v43
	ds_bpermute_b32 v36, v24, v40
	s_waitcnt lgkmcnt(0)
	s_barrier
	s_nop 3
	v_cvt_f16_f32_e32 v26, v30
	v_cvt_f16_f32_e32 v27, v31
	;; [unrolled: 1-line block ×4, first 2 shown]
	v_cvt_f32_f16_e32 v30, v26
	v_cvt_f32_f16_e32 v31, v27
	v_perm_b32 v27, v78, v46, s0
	v_perm_b32 v26, v25, v89, s0
	v_cvt_f32_f16_e32 v32, v32
	v_cvt_f32_f16_e32 v33, v33
	v_cmp_gt_u32_e64 s[0:1], 16, v52
	s_nop 0
	v_mfma_f32_16x16x16_f16 v[24:27], v[26:27], v[34:35], v[30:33]
	s_nop 2
	v_add_f32_e32 v30, v40, v36
	ds_bpermute_b32 v31, v29, v30
	s_and_saveexec_b64 s[4:5], s[0:1]
	s_cbranch_execz .LBB19_300
; %bb.299:
	s_waitcnt lgkmcnt(0)
	v_add_f32_e32 v30, v30, v31
	v_or_b32_e32 v31, v58, v52
	s_movk_i32 s2, 0xf0
	v_mad_i32_i24 v31, v31, s2, 0
	ds_write2_b32 v31, v28, v30 offset0:56 offset1:57
.LBB19_300:
	s_or_b64 exec, exec, s[4:5]
	v_and_b32_e32 v28, 1, v61
	v_cmp_eq_u32_e32 vcc, 0, v28
	v_cmp_eq_u32_e64 s[4:5], 1, v28
	s_waitcnt lgkmcnt(0)
	s_barrier
	s_and_saveexec_b64 s[2:3], s[4:5]
	s_xor_b64 s[4:5], exec, s[2:3]
	s_cbranch_execz .LBB19_302
; %bb.301:
	s_barrier
                                        ; implicit-def: $vgpr93
                                        ; implicit-def: $vgpr29
.LBB19_302:
	s_andn2_saveexec_b64 s[6:7], s[4:5]
	s_cbranch_execz .LBB19_308
; %bb.303:
	v_add_u32_e32 v32, v58, v38
	s_movk_i32 s2, 0xf0
	v_mad_i32_i24 v28, v32, s2, 0
	ds_read_b64 v[34:35], v28 offset:224
	s_mov_b32 s2, 0x3fb8aa3b
	s_mov_b32 s3, 0x42b17218
	s_waitcnt lgkmcnt(0)
	s_barrier
	ds_bpermute_b32 v28, v29, v34
	v_max_f32_e32 v30, v34, v34
	s_waitcnt lgkmcnt(0)
	v_max_f32_e32 v28, v28, v28
	v_max_f32_e32 v28, v30, v28
	v_sub_f32_e32 v30, v34, v28
	v_mul_f32_e32 v31, 0x3fb8aa3b, v30
	v_fma_f32 v33, v30, s2, -v31
	v_rndne_f32_e32 v34, v31
	v_fmamk_f32 v33, v30, 0x32a5705f, v33
	v_sub_f32_e32 v31, v31, v34
	v_add_f32_e32 v31, v31, v33
	v_cvt_i32_f32_e32 v34, v34
	v_exp_f32_e32 v31, v31
	s_mov_b32 s2, 0xc2ce8ed0
	v_cmp_ngt_f32_e64 s[4:5], s2, v30
	v_mov_b32_e32 v33, 0x7f800000
	v_ldexp_f32 v31, v31, v34
	v_cndmask_b32_e64 v31, 0, v31, s[4:5]
	v_cmp_nlt_f32_e64 s[4:5], s3, v30
	s_nop 1
	v_cndmask_b32_e64 v30, v33, v31, s[4:5]
	v_mul_f32_e32 v31, v35, v30
	ds_bpermute_b32 v31, v29, v31
	v_cmp_gt_u32_e64 s[4:5], 32, v52
	s_waitcnt lgkmcnt(0)
	v_fmac_f32_e32 v31, v35, v30
	s_and_saveexec_b64 s[8:9], s[4:5]
; %bb.304:
	v_mul_i32_i24_e32 v29, 0xf0, v32
	v_add_u32_e32 v29, 0, v29
	ds_write_b64 v29, v[30:31] offset:224
; %bb.305:
	s_or_b64 exec, exec, s[8:9]
	s_and_saveexec_b64 s[4:5], s[0:1]
	s_cbranch_execz .LBB19_307
; %bb.306:
	s_add_i32 s0, s29, s28
	s_lshl_b32 s0, s0, 5
	s_mov_b32 s1, 0
	s_lshl_b64 s[0:1], s[0:1], 3
	s_add_u32 s0, s50, s0
	v_or_b32_e32 v29, v93, v52
	s_addc_u32 s1, s51, s1
	v_lshlrev_b32_e32 v30, 3, v29
	v_mov_b32_e32 v29, v31
	global_store_dwordx2 v30, v[28:29], s[0:1]
.LBB19_307:
	s_or_b64 exec, exec, s[4:5]
.LBB19_308:
	s_or_b64 exec, exec, s[6:7]
	v_cvt_pk_f16_f32 v0, v0, v1
	v_cvt_pk_f16_f32 v1, v6, v7
	v_cvt_pk_f16_f32 v6, v14, v15
	v_or_b32_e32 v14, v58, v55
	v_mul_i32_i24_e32 v14, 0xf0, v14
	v_cvt_pk_f16_f32 v2, v2, v3
	s_movk_i32 s4, 0xf0
	s_mov_b32 s3, 0
	v_add3_u32 v14, 0, v14, v57
	v_cvt_pk_f16_f32 v3, v4, v5
	v_cvt_pk_f16_f32 v4, v10, v11
	;; [unrolled: 1-line block ×10, first 2 shown]
	ds_write2_b32 v14, v0, v2 offset1:1
	ds_write2_b32 v14, v3, v1 offset0:8 offset1:9
	ds_write2_b32 v14, v5, v4 offset0:16 offset1:17
	;; [unrolled: 1-line block ×6, first 2 shown]
	s_waitcnt lgkmcnt(0)
	s_barrier
	s_and_saveexec_b64 s[0:1], vcc
	s_cbranch_execz .LBB19_310
; %bb.309:
	s_mul_i32 s2, s28, 0x700
	s_lshl_b64 s[6:7], s[2:3], 3
	s_add_u32 s5, s50, s6
	s_addc_u32 s6, s51, s7
	s_lshl_b32 s2, s29, 6
	s_lshl_b64 s[2:3], s[2:3], 3
	v_add_u32_e32 v8, v77, v61
	s_add_u32 s2, s5, s2
	v_lshlrev_b32_e32 v9, 1, v8
	v_and_b32_e32 v10, 15, v8
	s_movk_i32 s5, 0xfe0
	v_and_or_b32 v2, v9, s5, v10
	v_mad_u32_u24 v0, v2, s4, v41
	ds_read2st64_b32 v[0:1], v0 offset1:15
	v_mad_u32_u24 v2, v2, s4, 0
	v_add_u32_e32 v2, 0xe0, v2
	ds_read2st64_b32 v[2:3], v2 offset1:15
	s_movk_i32 s5, 0x1fe0
	s_waitcnt lgkmcnt(1)
	v_cvt_f32_f16_e32 v4, v0
	v_cvt_f32_f16_sdwa v5, v0 dst_sel:DWORD dst_unused:UNUSED_PAD src0_sel:WORD_1
	v_cvt_f32_f16_e32 v0, v1
	v_cvt_f32_f16_sdwa v1, v1 dst_sel:DWORD dst_unused:UNUSED_PAD src0_sel:WORD_1
	v_mul_u32_u24_e32 v6, 56, v8
	s_waitcnt lgkmcnt(0)
	v_pk_fma_f32 v[4:5], v[2:3], v[4:5], 0 op_sel_hi:[0,1,0]
	v_mov_b32_e32 v2, v3
	v_pk_fma_f32 v[0:1], v[2:3], v[0:1], v[4:5] op_sel_hi:[0,1,1]
	v_add_u32_e32 v2, 4, v8
	v_lshlrev_b32_e32 v3, 1, v2
	v_and_b32_e32 v2, 15, v2
	v_and_or_b32 v4, v3, s5, v2
	v_mad_u32_u24 v2, v4, s4, v41
	ds_read2st64_b32 v[2:3], v2 offset1:15
	v_mad_u32_u24 v4, v4, s4, 0
	v_add_u32_e32 v4, 0xe0, v4
	ds_read2st64_b32 v[4:5], v4 offset1:15
	v_add_lshl_u32 v11, v6, v38, 3
	s_waitcnt lgkmcnt(1)
	v_cvt_f32_f16_e32 v6, v2
	v_cvt_f32_f16_sdwa v7, v2 dst_sel:DWORD dst_unused:UNUSED_PAD src0_sel:WORD_1
	v_cvt_f32_f16_e32 v2, v3
	v_cvt_f32_f16_sdwa v3, v3 dst_sel:DWORD dst_unused:UNUSED_PAD src0_sel:WORD_1
	s_addc_u32 s3, s6, s3
	global_store_dwordx2 v11, v[0:1], s[2:3]
	s_waitcnt lgkmcnt(0)
	v_pk_fma_f32 v[0:1], v[4:5], v[6:7], 0 op_sel_hi:[0,1,0]
	v_mov_b32_e32 v4, v5
	v_pk_fma_f32 v[0:1], v[4:5], v[2:3], v[0:1] op_sel_hi:[0,1,1]
	v_add_u32_e32 v2, 8, v8
	v_lshlrev_b32_e32 v3, 1, v2
	v_and_b32_e32 v2, 15, v2
	v_and_or_b32 v4, v3, s5, v2
	v_mad_u32_u24 v2, v4, s4, v41
	ds_read2st64_b32 v[2:3], v2 offset1:15
	global_store_dwordx2 v11, v[0:1], s[2:3] offset:1792
	v_mad_u32_u24 v0, v4, s4, 0
	v_add_u32_e32 v0, 0xe0, v0
	ds_read2st64_b32 v[0:1], v0 offset1:15
	s_waitcnt lgkmcnt(1)
	v_cvt_f32_f16_e32 v4, v2
	v_cvt_f32_f16_sdwa v5, v2 dst_sel:DWORD dst_unused:UNUSED_PAD src0_sel:WORD_1
	v_cvt_f32_f16_e32 v2, v3
	v_cvt_f32_f16_sdwa v3, v3 dst_sel:DWORD dst_unused:UNUSED_PAD src0_sel:WORD_1
	v_add_u32_e32 v6, 0xe00, v11
	s_waitcnt lgkmcnt(0)
	v_pk_fma_f32 v[4:5], v[0:1], v[4:5], 0 op_sel_hi:[0,1,0]
	v_mov_b32_e32 v0, v1
	v_pk_fma_f32 v[0:1], v[0:1], v[2:3], v[4:5] op_sel_hi:[0,1,1]
	v_add_u32_e32 v2, 12, v8
	v_lshlrev_b32_e32 v3, 1, v2
	v_and_b32_e32 v2, 15, v2
	v_and_or_b32 v4, v3, s5, v2
	v_mad_u32_u24 v2, v4, s4, v41
	ds_read2st64_b32 v[2:3], v2 offset1:15
	global_store_dwordx2 v6, v[0:1], s[2:3]
	v_mad_u32_u24 v0, v4, s4, 0
	v_add_u32_e32 v0, 0xe0, v0
	ds_read2st64_b32 v[0:1], v0 offset1:15
	s_waitcnt lgkmcnt(1)
	v_cvt_f32_f16_e32 v4, v2
	v_cvt_f32_f16_sdwa v5, v2 dst_sel:DWORD dst_unused:UNUSED_PAD src0_sel:WORD_1
	v_cvt_f32_f16_e32 v2, v3
	v_cvt_f32_f16_sdwa v3, v3 dst_sel:DWORD dst_unused:UNUSED_PAD src0_sel:WORD_1
	v_add_u32_e32 v6, 0x1500, v11
	s_waitcnt lgkmcnt(0)
	v_pk_fma_f32 v[4:5], v[0:1], v[4:5], 0 op_sel_hi:[0,1,0]
	v_mov_b32_e32 v0, v1
	v_pk_fma_f32 v[0:1], v[0:1], v[2:3], v[4:5] op_sel_hi:[0,1,1]
	v_add_u32_e32 v2, 32, v9
	v_and_or_b32 v4, v2, s5, v10
	v_mad_u32_u24 v2, v4, s4, v41
	ds_read2st64_b32 v[2:3], v2 offset1:15
	global_store_dwordx2 v6, v[0:1], s[2:3]
	v_mad_u32_u24 v0, v4, s4, 0
	v_add_u32_e32 v0, 0xe0, v0
	ds_read2st64_b32 v[0:1], v0 offset1:15
	s_waitcnt lgkmcnt(1)
	v_cvt_f32_f16_e32 v4, v2
	v_cvt_f32_f16_sdwa v5, v2 dst_sel:DWORD dst_unused:UNUSED_PAD src0_sel:WORD_1
	v_cvt_f32_f16_e32 v2, v3
	v_cvt_f32_f16_sdwa v3, v3 dst_sel:DWORD dst_unused:UNUSED_PAD src0_sel:WORD_1
	v_add_u32_e32 v6, 0x1c00, v11
	s_waitcnt lgkmcnt(0)
	v_pk_fma_f32 v[4:5], v[0:1], v[4:5], 0 op_sel_hi:[0,1,0]
	v_mov_b32_e32 v0, v1
	v_pk_fma_f32 v[0:1], v[0:1], v[2:3], v[4:5] op_sel_hi:[0,1,1]
	v_add_u32_e32 v2, 20, v8
	v_lshlrev_b32_e32 v3, 1, v2
	v_and_b32_e32 v2, 15, v2
	v_and_or_b32 v4, v3, s5, v2
	v_mad_u32_u24 v2, v4, s4, v41
	ds_read2st64_b32 v[2:3], v2 offset1:15
	global_store_dwordx2 v6, v[0:1], s[2:3]
	v_mad_u32_u24 v0, v4, s4, 0
	v_add_u32_e32 v0, 0xe0, v0
	ds_read2st64_b32 v[0:1], v0 offset1:15
	s_waitcnt lgkmcnt(1)
	v_cvt_f32_f16_e32 v4, v2
	v_cvt_f32_f16_sdwa v5, v2 dst_sel:DWORD dst_unused:UNUSED_PAD src0_sel:WORD_1
	v_cvt_f32_f16_e32 v2, v3
	v_cvt_f32_f16_sdwa v3, v3 dst_sel:DWORD dst_unused:UNUSED_PAD src0_sel:WORD_1
	v_add_u32_e32 v6, 0x2300, v11
	s_waitcnt lgkmcnt(0)
	v_pk_fma_f32 v[4:5], v[0:1], v[4:5], 0 op_sel_hi:[0,1,0]
	v_mov_b32_e32 v0, v1
	v_pk_fma_f32 v[0:1], v[0:1], v[2:3], v[4:5] op_sel_hi:[0,1,1]
	v_add_u32_e32 v2, 24, v8
	v_lshlrev_b32_e32 v3, 1, v2
	v_and_b32_e32 v2, 15, v2
	v_and_or_b32 v4, v3, s5, v2
	v_mad_u32_u24 v2, v4, s4, v41
	ds_read2st64_b32 v[2:3], v2 offset1:15
	global_store_dwordx2 v6, v[0:1], s[2:3]
	v_mad_u32_u24 v0, v4, s4, 0
	v_add_u32_e32 v0, 0xe0, v0
	ds_read2st64_b32 v[0:1], v0 offset1:15
	s_waitcnt lgkmcnt(1)
	v_cvt_f32_f16_e32 v4, v2
	v_cvt_f32_f16_sdwa v5, v2 dst_sel:DWORD dst_unused:UNUSED_PAD src0_sel:WORD_1
	v_cvt_f32_f16_e32 v2, v3
	v_cvt_f32_f16_sdwa v3, v3 dst_sel:DWORD dst_unused:UNUSED_PAD src0_sel:WORD_1
	v_add_u32_e32 v6, 0x2a00, v11
	s_waitcnt lgkmcnt(0)
	v_pk_fma_f32 v[4:5], v[0:1], v[4:5], 0 op_sel_hi:[0,1,0]
	v_mov_b32_e32 v0, v1
	v_pk_fma_f32 v[0:1], v[0:1], v[2:3], v[4:5] op_sel_hi:[0,1,1]
	v_add_u32_e32 v2, 28, v8
	v_lshlrev_b32_e32 v3, 1, v2
	v_and_b32_e32 v2, 15, v2
	v_and_or_b32 v4, v3, s5, v2
	v_mad_u32_u24 v2, v4, s4, v41
	ds_read2st64_b32 v[2:3], v2 offset1:15
	global_store_dwordx2 v6, v[0:1], s[2:3]
	v_mad_u32_u24 v0, v4, s4, 0
	v_add_u32_e32 v0, 0xe0, v0
	ds_read2st64_b32 v[0:1], v0 offset1:15
	s_waitcnt lgkmcnt(1)
	v_cvt_f32_f16_e32 v4, v2
	v_cvt_f32_f16_sdwa v5, v2 dst_sel:DWORD dst_unused:UNUSED_PAD src0_sel:WORD_1
	v_cvt_f32_f16_e32 v2, v3
	v_cvt_f32_f16_sdwa v3, v3 dst_sel:DWORD dst_unused:UNUSED_PAD src0_sel:WORD_1
	v_add_u32_e32 v10, v59, v56
	s_waitcnt lgkmcnt(0)
	v_pk_fma_f32 v[4:5], v[0:1], v[4:5], 0 op_sel_hi:[0,1,0]
	v_mov_b32_e32 v0, v1
	v_add_u32_e32 v6, 0x3100, v11
	v_pk_fma_f32 v[0:1], v[0:1], v[2:3], v[4:5] op_sel_hi:[0,1,1]
	v_lshlrev_b32_e32 v11, 1, v10
	v_and_b32_e32 v12, 15, v10
	global_store_dwordx2 v6, v[0:1], s[2:3]
	v_and_or_b32 v0, v11, s5, v12
	v_mad_u32_u24 v2, v0, s4, 0
	v_mad_u32_u24 v0, v0, s4, v53
	v_add_u32_e32 v0, 0x80, v0
	ds_read2st64_b32 v[0:1], v0 offset1:15
	v_add_u32_e32 v2, 0xe0, v2
	ds_read2st64_b32 v[2:3], v2 offset1:15
	v_mad_u32_u24 v4, v10, 56, v55
	v_mov_b32_e32 v5, 0
	s_waitcnt lgkmcnt(1)
	v_cvt_f32_f16_e32 v6, v0
	v_cvt_f32_f16_sdwa v7, v0 dst_sel:DWORD dst_unused:UNUSED_PAD src0_sel:WORD_1
	v_cvt_f32_f16_e32 v0, v1
	v_cvt_f32_f16_sdwa v1, v1 dst_sel:DWORD dst_unused:UNUSED_PAD src0_sel:WORD_1
	v_lshl_add_u64 v[8:9], v[4:5], 3, s[2:3]
	s_waitcnt lgkmcnt(0)
	v_pk_fma_f32 v[6:7], v[2:3], v[6:7], 0 op_sel_hi:[0,1,0]
	v_mov_b32_e32 v2, v3
	v_pk_fma_f32 v[0:1], v[2:3], v[0:1], v[6:7] op_sel_hi:[0,1,1]
	global_store_dwordx2 v[8:9], v[0:1], off offset:256
	v_add_u32_e32 v0, 8, v10
	v_lshlrev_b32_e32 v1, 1, v0
	v_and_b32_e32 v0, 15, v0
	s_movk_i32 s5, 0x3fe0
	v_and_or_b32 v0, v1, s5, v0
	v_mad_u32_u24 v2, v0, s4, 0
	v_mad_u32_u24 v0, v0, s4, v53
	v_add_u32_e32 v0, 0x80, v0
	ds_read2st64_b32 v[0:1], v0 offset1:15
	v_add_u32_e32 v2, 0xe0, v2
	ds_read2st64_b32 v[2:3], v2 offset1:15
	v_add_u32_e32 v6, 0x1c0, v4
	v_mov_b32_e32 v7, v5
	s_waitcnt lgkmcnt(1)
	v_cvt_f32_f16_e32 v8, v0
	v_cvt_f32_f16_sdwa v9, v0 dst_sel:DWORD dst_unused:UNUSED_PAD src0_sel:WORD_1
	v_cvt_f32_f16_e32 v0, v1
	v_cvt_f32_f16_sdwa v1, v1 dst_sel:DWORD dst_unused:UNUSED_PAD src0_sel:WORD_1
	v_lshl_add_u64 v[6:7], v[6:7], 3, s[2:3]
	s_waitcnt lgkmcnt(0)
	v_pk_fma_f32 v[8:9], v[2:3], v[8:9], 0 op_sel_hi:[0,1,0]
	v_mov_b32_e32 v2, v3
	v_pk_fma_f32 v[0:1], v[2:3], v[0:1], v[8:9] op_sel_hi:[0,1,1]
	global_store_dwordx2 v[6:7], v[0:1], off offset:256
	v_add_u32_e32 v0, 32, v11
	v_and_or_b32 v0, v0, s5, v12
	v_mad_u32_u24 v2, v0, s4, 0
	v_mad_u32_u24 v0, v0, s4, v53
	v_add_u32_e32 v0, 0x80, v0
	ds_read2st64_b32 v[0:1], v0 offset1:15
	v_add_u32_e32 v2, 0xe0, v2
	ds_read2st64_b32 v[2:3], v2 offset1:15
	v_add_u32_e32 v6, 0x380, v4
	v_mov_b32_e32 v7, v5
	s_waitcnt lgkmcnt(1)
	v_cvt_f32_f16_e32 v8, v0
	v_cvt_f32_f16_sdwa v9, v0 dst_sel:DWORD dst_unused:UNUSED_PAD src0_sel:WORD_1
	v_cvt_f32_f16_e32 v0, v1
	v_cvt_f32_f16_sdwa v1, v1 dst_sel:DWORD dst_unused:UNUSED_PAD src0_sel:WORD_1
	v_lshl_add_u64 v[6:7], v[6:7], 3, s[2:3]
	s_waitcnt lgkmcnt(0)
	v_pk_fma_f32 v[8:9], v[2:3], v[8:9], 0 op_sel_hi:[0,1,0]
	v_mov_b32_e32 v2, v3
	v_pk_fma_f32 v[0:1], v[2:3], v[0:1], v[8:9] op_sel_hi:[0,1,1]
	global_store_dwordx2 v[6:7], v[0:1], off offset:256
	v_add_u32_e32 v0, 24, v10
	v_lshlrev_b32_e32 v1, 1, v0
	v_and_b32_e32 v0, 15, v0
	v_and_or_b32 v2, v1, s5, v0
	v_mad_u32_u24 v0, v2, s4, v53
	v_add_u32_e32 v0, 0x80, v0
	ds_read2st64_b32 v[0:1], v0 offset1:15
	v_mad_u32_u24 v2, v2, s4, 0
	v_add_u32_e32 v2, 0xe0, v2
	ds_read2st64_b32 v[2:3], v2 offset1:15
	v_add_u32_e32 v4, 0x540, v4
	s_waitcnt lgkmcnt(1)
	v_cvt_f32_f16_e32 v6, v0
	v_cvt_f32_f16_sdwa v7, v0 dst_sel:DWORD dst_unused:UNUSED_PAD src0_sel:WORD_1
	v_cvt_f32_f16_e32 v0, v1
	v_cvt_f32_f16_sdwa v1, v1 dst_sel:DWORD dst_unused:UNUSED_PAD src0_sel:WORD_1
	v_lshl_add_u64 v[8:9], v[4:5], 3, s[2:3]
	s_waitcnt lgkmcnt(0)
	v_pk_fma_f32 v[6:7], v[2:3], v[6:7], 0 op_sel_hi:[0,1,0]
	v_mov_b32_e32 v2, v3
	v_pk_fma_f32 v[0:1], v[2:3], v[0:1], v[6:7] op_sel_hi:[0,1,1]
	v_add_u32_e32 v2, v39, v54
	v_and_b32_e32 v4, 7, v52
	v_and_b32_e32 v11, 15, v2
	v_lshlrev_b32_e32 v12, 1, v2
	global_store_dwordx2 v[8:9], v[0:1], off offset:256
	v_lshl_add_u32 v10, v4, 2, 0
	v_and_or_b32 v0, v12, s5, v11
	v_mad_u32_u24 v3, v0, s4, 0
	v_mad_u32_u24 v0, v0, s4, v10
	v_add_u32_e32 v0, 0xc0, v0
	ds_read2st64_b32 v[0:1], v0 offset1:15
	v_mul_u32_u24_e32 v6, 56, v2
	v_add_u32_e32 v2, 0xe0, v3
	ds_read2st64_b32 v[2:3], v2 offset1:15
	v_or_b32_e32 v4, v6, v4
	s_waitcnt lgkmcnt(1)
	v_cvt_f32_f16_e32 v6, v0
	v_cvt_f32_f16_sdwa v7, v0 dst_sel:DWORD dst_unused:UNUSED_PAD src0_sel:WORD_1
	v_cvt_f32_f16_e32 v0, v1
	v_cvt_f32_f16_sdwa v1, v1 dst_sel:DWORD dst_unused:UNUSED_PAD src0_sel:WORD_1
	v_lshl_add_u64 v[8:9], v[4:5], 3, s[2:3]
	s_waitcnt lgkmcnt(0)
	v_pk_fma_f32 v[6:7], v[2:3], v[6:7], 0 op_sel_hi:[0,1,0]
	v_mov_b32_e32 v2, v3
	v_pk_fma_f32 v[0:1], v[2:3], v[0:1], v[6:7] op_sel_hi:[0,1,1]
	global_store_dwordx2 v[8:9], v[0:1], off offset:384
	v_add_u32_e32 v0, 32, v12
	s_movk_i32 s5, 0x7fe0
	v_and_or_b32 v2, v0, s5, v11
	v_mad_u32_u24 v0, v2, s4, v10
	v_add_u32_e32 v0, 0xc0, v0
	ds_read2st64_b32 v[0:1], v0 offset1:15
	v_mad_u32_u24 v2, v2, s4, 0
	v_add_u32_e32 v2, 0xe0, v2
	ds_read2st64_b32 v[2:3], v2 offset1:15
	v_add_u32_e32 v4, 0x380, v4
	s_waitcnt lgkmcnt(1)
	v_cvt_f32_f16_e32 v6, v0
	v_cvt_f32_f16_sdwa v7, v0 dst_sel:DWORD dst_unused:UNUSED_PAD src0_sel:WORD_1
	v_cvt_f32_f16_e32 v0, v1
	v_cvt_f32_f16_sdwa v1, v1 dst_sel:DWORD dst_unused:UNUSED_PAD src0_sel:WORD_1
	v_lshl_add_u64 v[4:5], v[4:5], 3, s[2:3]
	s_waitcnt lgkmcnt(0)
	v_pk_fma_f32 v[6:7], v[2:3], v[6:7], 0 op_sel_hi:[0,1,0]
	v_mov_b32_e32 v2, v3
	v_pk_fma_f32 v[0:1], v[2:3], v[0:1], v[6:7] op_sel_hi:[0,1,1]
	global_store_dwordx2 v[4:5], v[0:1], off offset:384
.LBB19_310:
	s_or_b64 exec, exec, s[0:1]
	s_barrier
	s_endpgm
	.section	.rodata,"a",@progbits
	.p2align	6, 0x0
	.amdhsa_kernel _ZL18flash_attn_ext_f16ILi112ELi112ELi8ELi4ELb0ELb0EEvPKcS1_S1_S1_S1_PKiPfP15HIP_vector_typeIfLj2EEffffjfiS5_IjLj3EEiiiiiiiiiiiliiliiiiil
		.amdhsa_group_segment_fixed_size 0
		.amdhsa_private_segment_fixed_size 0
		.amdhsa_kernarg_size 464
		.amdhsa_user_sgpr_count 2
		.amdhsa_user_sgpr_dispatch_ptr 0
		.amdhsa_user_sgpr_queue_ptr 0
		.amdhsa_user_sgpr_kernarg_segment_ptr 1
		.amdhsa_user_sgpr_dispatch_id 0
		.amdhsa_user_sgpr_kernarg_preload_length 0
		.amdhsa_user_sgpr_kernarg_preload_offset 0
		.amdhsa_user_sgpr_private_segment_size 0
		.amdhsa_uses_dynamic_stack 0
		.amdhsa_enable_private_segment 0
		.amdhsa_system_sgpr_workgroup_id_x 1
		.amdhsa_system_sgpr_workgroup_id_y 0
		.amdhsa_system_sgpr_workgroup_id_z 0
		.amdhsa_system_sgpr_workgroup_info 0
		.amdhsa_system_vgpr_workitem_id 1
		.amdhsa_next_free_vgpr 202
		.amdhsa_next_free_sgpr 100
		.amdhsa_accum_offset 204
		.amdhsa_reserve_vcc 1
		.amdhsa_float_round_mode_32 0
		.amdhsa_float_round_mode_16_64 0
		.amdhsa_float_denorm_mode_32 3
		.amdhsa_float_denorm_mode_16_64 3
		.amdhsa_dx10_clamp 1
		.amdhsa_ieee_mode 1
		.amdhsa_fp16_overflow 0
		.amdhsa_tg_split 0
		.amdhsa_exception_fp_ieee_invalid_op 0
		.amdhsa_exception_fp_denorm_src 0
		.amdhsa_exception_fp_ieee_div_zero 0
		.amdhsa_exception_fp_ieee_overflow 0
		.amdhsa_exception_fp_ieee_underflow 0
		.amdhsa_exception_fp_ieee_inexact 0
		.amdhsa_exception_int_div_zero 0
	.end_amdhsa_kernel
	.section	.text._ZL18flash_attn_ext_f16ILi112ELi112ELi8ELi4ELb0ELb0EEvPKcS1_S1_S1_S1_PKiPfP15HIP_vector_typeIfLj2EEffffjfiS5_IjLj3EEiiiiiiiiiiiliiliiiiil,"axG",@progbits,_ZL18flash_attn_ext_f16ILi112ELi112ELi8ELi4ELb0ELb0EEvPKcS1_S1_S1_S1_PKiPfP15HIP_vector_typeIfLj2EEffffjfiS5_IjLj3EEiiiiiiiiiiiliiliiiiil,comdat
.Lfunc_end19:
	.size	_ZL18flash_attn_ext_f16ILi112ELi112ELi8ELi4ELb0ELb0EEvPKcS1_S1_S1_S1_PKiPfP15HIP_vector_typeIfLj2EEffffjfiS5_IjLj3EEiiiiiiiiiiiliiliiiiil, .Lfunc_end19-_ZL18flash_attn_ext_f16ILi112ELi112ELi8ELi4ELb0ELb0EEvPKcS1_S1_S1_S1_PKiPfP15HIP_vector_typeIfLj2EEffffjfiS5_IjLj3EEiiiiiiiiiiiliiliiiiil
                                        ; -- End function
	.set _ZL18flash_attn_ext_f16ILi112ELi112ELi8ELi4ELb0ELb0EEvPKcS1_S1_S1_S1_PKiPfP15HIP_vector_typeIfLj2EEffffjfiS5_IjLj3EEiiiiiiiiiiiliiliiiiil.num_vgpr, 202
	.set _ZL18flash_attn_ext_f16ILi112ELi112ELi8ELi4ELb0ELb0EEvPKcS1_S1_S1_S1_PKiPfP15HIP_vector_typeIfLj2EEffffjfiS5_IjLj3EEiiiiiiiiiiiliiliiiiil.num_agpr, 0
	.set _ZL18flash_attn_ext_f16ILi112ELi112ELi8ELi4ELb0ELb0EEvPKcS1_S1_S1_S1_PKiPfP15HIP_vector_typeIfLj2EEffffjfiS5_IjLj3EEiiiiiiiiiiiliiliiiiil.numbered_sgpr, 100
	.set _ZL18flash_attn_ext_f16ILi112ELi112ELi8ELi4ELb0ELb0EEvPKcS1_S1_S1_S1_PKiPfP15HIP_vector_typeIfLj2EEffffjfiS5_IjLj3EEiiiiiiiiiiiliiliiiiil.num_named_barrier, 0
	.set _ZL18flash_attn_ext_f16ILi112ELi112ELi8ELi4ELb0ELb0EEvPKcS1_S1_S1_S1_PKiPfP15HIP_vector_typeIfLj2EEffffjfiS5_IjLj3EEiiiiiiiiiiiliiliiiiil.private_seg_size, 0
	.set _ZL18flash_attn_ext_f16ILi112ELi112ELi8ELi4ELb0ELb0EEvPKcS1_S1_S1_S1_PKiPfP15HIP_vector_typeIfLj2EEffffjfiS5_IjLj3EEiiiiiiiiiiiliiliiiiil.uses_vcc, 1
	.set _ZL18flash_attn_ext_f16ILi112ELi112ELi8ELi4ELb0ELb0EEvPKcS1_S1_S1_S1_PKiPfP15HIP_vector_typeIfLj2EEffffjfiS5_IjLj3EEiiiiiiiiiiiliiliiiiil.uses_flat_scratch, 0
	.set _ZL18flash_attn_ext_f16ILi112ELi112ELi8ELi4ELb0ELb0EEvPKcS1_S1_S1_S1_PKiPfP15HIP_vector_typeIfLj2EEffffjfiS5_IjLj3EEiiiiiiiiiiiliiliiiiil.has_dyn_sized_stack, 0
	.set _ZL18flash_attn_ext_f16ILi112ELi112ELi8ELi4ELb0ELb0EEvPKcS1_S1_S1_S1_PKiPfP15HIP_vector_typeIfLj2EEffffjfiS5_IjLj3EEiiiiiiiiiiiliiliiiiil.has_recursion, 0
	.set _ZL18flash_attn_ext_f16ILi112ELi112ELi8ELi4ELb0ELb0EEvPKcS1_S1_S1_S1_PKiPfP15HIP_vector_typeIfLj2EEffffjfiS5_IjLj3EEiiiiiiiiiiiliiliiiiil.has_indirect_call, 0
	.section	.AMDGPU.csdata,"",@progbits
; Kernel info:
; codeLenInByte = 42304
; TotalNumSgprs: 106
; NumVgprs: 202
; NumAgprs: 0
; TotalNumVgprs: 202
; ScratchSize: 0
; MemoryBound: 0
; FloatMode: 240
; IeeeMode: 1
; LDSByteSize: 0 bytes/workgroup (compile time only)
; SGPRBlocks: 13
; VGPRBlocks: 25
; NumSGPRsForWavesPerEU: 106
; NumVGPRsForWavesPerEU: 202
; AccumOffset: 204
; Occupancy: 2
; WaveLimiterHint : 1
; COMPUTE_PGM_RSRC2:SCRATCH_EN: 0
; COMPUTE_PGM_RSRC2:USER_SGPR: 2
; COMPUTE_PGM_RSRC2:TRAP_HANDLER: 0
; COMPUTE_PGM_RSRC2:TGID_X_EN: 1
; COMPUTE_PGM_RSRC2:TGID_Y_EN: 0
; COMPUTE_PGM_RSRC2:TGID_Z_EN: 0
; COMPUTE_PGM_RSRC2:TIDIG_COMP_CNT: 1
; COMPUTE_PGM_RSRC3_GFX90A:ACCUM_OFFSET: 50
; COMPUTE_PGM_RSRC3_GFX90A:TG_SPLIT: 0
	.section	.text._ZL18flash_attn_ext_f16ILi112ELi112ELi8ELi4ELb1ELb0EEvPKcS1_S1_S1_S1_PKiPfP15HIP_vector_typeIfLj2EEffffjfiS5_IjLj3EEiiiiiiiiiiiliiliiiiil,"axG",@progbits,_ZL18flash_attn_ext_f16ILi112ELi112ELi8ELi4ELb1ELb0EEvPKcS1_S1_S1_S1_PKiPfP15HIP_vector_typeIfLj2EEffffjfiS5_IjLj3EEiiiiiiiiiiiliiliiiiil,comdat
	.globl	_ZL18flash_attn_ext_f16ILi112ELi112ELi8ELi4ELb1ELb0EEvPKcS1_S1_S1_S1_PKiPfP15HIP_vector_typeIfLj2EEffffjfiS5_IjLj3EEiiiiiiiiiiiliiliiiiil ; -- Begin function _ZL18flash_attn_ext_f16ILi112ELi112ELi8ELi4ELb1ELb0EEvPKcS1_S1_S1_S1_PKiPfP15HIP_vector_typeIfLj2EEffffjfiS5_IjLj3EEiiiiiiiiiiiliiliiiiil
	.p2align	8
	.type	_ZL18flash_attn_ext_f16ILi112ELi112ELi8ELi4ELb1ELb0EEvPKcS1_S1_S1_S1_PKiPfP15HIP_vector_typeIfLj2EEffffjfiS5_IjLj3EEiiiiiiiiiiiliiliiiiil,@function
_ZL18flash_attn_ext_f16ILi112ELi112ELi8ELi4ELb1ELb0EEvPKcS1_S1_S1_S1_PKiPfP15HIP_vector_typeIfLj2EEffffjfiS5_IjLj3EEiiiiiiiiiiiliiliiiiil: ; @_ZL18flash_attn_ext_f16ILi112ELi112ELi8ELi4ELb1ELb0EEvPKcS1_S1_S1_S1_PKiPfP15HIP_vector_typeIfLj2EEffffjfiS5_IjLj3EEiiiiiiiiiiiliiliiiiil
; %bb.0:
	s_add_u32 s8, s0, 0xd0
	s_addc_u32 s9, s1, 0
	s_getpc_b64 s[0:1]
	s_add_u32 s0, s0, _ZL14no_device_codePKciS0_iS0_@rel32@lo+4
	s_addc_u32 s1, s1, _ZL14no_device_codePKciS0_iS0_@rel32@hi+12
	v_mov_b32_e32 v0, 0x6cc
	s_mov_b32 s32, 0
	s_swappc_b64 s[30:31], s[0:1]
	.section	.rodata,"a",@progbits
	.p2align	6, 0x0
	.amdhsa_kernel _ZL18flash_attn_ext_f16ILi112ELi112ELi8ELi4ELb1ELb0EEvPKcS1_S1_S1_S1_PKiPfP15HIP_vector_typeIfLj2EEffffjfiS5_IjLj3EEiiiiiiiiiiiliiliiiiil
		.amdhsa_group_segment_fixed_size 0
		.amdhsa_private_segment_fixed_size 16
		.amdhsa_kernarg_size 464
		.amdhsa_user_sgpr_count 2
		.amdhsa_user_sgpr_dispatch_ptr 0
		.amdhsa_user_sgpr_queue_ptr 0
		.amdhsa_user_sgpr_kernarg_segment_ptr 1
		.amdhsa_user_sgpr_dispatch_id 0
		.amdhsa_user_sgpr_kernarg_preload_length 0
		.amdhsa_user_sgpr_kernarg_preload_offset 0
		.amdhsa_user_sgpr_private_segment_size 0
		.amdhsa_uses_dynamic_stack 0
		.amdhsa_enable_private_segment 1
		.amdhsa_system_sgpr_workgroup_id_x 1
		.amdhsa_system_sgpr_workgroup_id_y 0
		.amdhsa_system_sgpr_workgroup_id_z 0
		.amdhsa_system_sgpr_workgroup_info 0
		.amdhsa_system_vgpr_workitem_id 0
		.amdhsa_next_free_vgpr 52
		.amdhsa_next_free_sgpr 34
		.amdhsa_accum_offset 52
		.amdhsa_reserve_vcc 1
		.amdhsa_float_round_mode_32 0
		.amdhsa_float_round_mode_16_64 0
		.amdhsa_float_denorm_mode_32 3
		.amdhsa_float_denorm_mode_16_64 3
		.amdhsa_dx10_clamp 1
		.amdhsa_ieee_mode 1
		.amdhsa_fp16_overflow 0
		.amdhsa_tg_split 0
		.amdhsa_exception_fp_ieee_invalid_op 0
		.amdhsa_exception_fp_denorm_src 0
		.amdhsa_exception_fp_ieee_div_zero 0
		.amdhsa_exception_fp_ieee_overflow 0
		.amdhsa_exception_fp_ieee_underflow 0
		.amdhsa_exception_fp_ieee_inexact 0
		.amdhsa_exception_int_div_zero 0
	.end_amdhsa_kernel
	.section	.text._ZL18flash_attn_ext_f16ILi112ELi112ELi8ELi4ELb1ELb0EEvPKcS1_S1_S1_S1_PKiPfP15HIP_vector_typeIfLj2EEffffjfiS5_IjLj3EEiiiiiiiiiiiliiliiiiil,"axG",@progbits,_ZL18flash_attn_ext_f16ILi112ELi112ELi8ELi4ELb1ELb0EEvPKcS1_S1_S1_S1_PKiPfP15HIP_vector_typeIfLj2EEffffjfiS5_IjLj3EEiiiiiiiiiiiliiliiiiil,comdat
.Lfunc_end20:
	.size	_ZL18flash_attn_ext_f16ILi112ELi112ELi8ELi4ELb1ELb0EEvPKcS1_S1_S1_S1_PKiPfP15HIP_vector_typeIfLj2EEffffjfiS5_IjLj3EEiiiiiiiiiiiliiliiiiil, .Lfunc_end20-_ZL18flash_attn_ext_f16ILi112ELi112ELi8ELi4ELb1ELb0EEvPKcS1_S1_S1_S1_PKiPfP15HIP_vector_typeIfLj2EEffffjfiS5_IjLj3EEiiiiiiiiiiiliiliiiiil
                                        ; -- End function
	.set _ZL18flash_attn_ext_f16ILi112ELi112ELi8ELi4ELb1ELb0EEvPKcS1_S1_S1_S1_PKiPfP15HIP_vector_typeIfLj2EEffffjfiS5_IjLj3EEiiiiiiiiiiiliiliiiiil.num_vgpr, max(1, .L_ZL14no_device_codePKciS0_iS0_.num_vgpr)
	.set _ZL18flash_attn_ext_f16ILi112ELi112ELi8ELi4ELb1ELb0EEvPKcS1_S1_S1_S1_PKiPfP15HIP_vector_typeIfLj2EEffffjfiS5_IjLj3EEiiiiiiiiiiiliiliiiiil.num_agpr, max(0, .L_ZL14no_device_codePKciS0_iS0_.num_agpr)
	.set _ZL18flash_attn_ext_f16ILi112ELi112ELi8ELi4ELb1ELb0EEvPKcS1_S1_S1_S1_PKiPfP15HIP_vector_typeIfLj2EEffffjfiS5_IjLj3EEiiiiiiiiiiiliiliiiiil.numbered_sgpr, max(33, .L_ZL14no_device_codePKciS0_iS0_.numbered_sgpr)
	.set _ZL18flash_attn_ext_f16ILi112ELi112ELi8ELi4ELb1ELb0EEvPKcS1_S1_S1_S1_PKiPfP15HIP_vector_typeIfLj2EEffffjfiS5_IjLj3EEiiiiiiiiiiiliiliiiiil.num_named_barrier, max(0, .L_ZL14no_device_codePKciS0_iS0_.num_named_barrier)
	.set _ZL18flash_attn_ext_f16ILi112ELi112ELi8ELi4ELb1ELb0EEvPKcS1_S1_S1_S1_PKiPfP15HIP_vector_typeIfLj2EEffffjfiS5_IjLj3EEiiiiiiiiiiiliiliiiiil.private_seg_size, 0+max(.L_ZL14no_device_codePKciS0_iS0_.private_seg_size)
	.set _ZL18flash_attn_ext_f16ILi112ELi112ELi8ELi4ELb1ELb0EEvPKcS1_S1_S1_S1_PKiPfP15HIP_vector_typeIfLj2EEffffjfiS5_IjLj3EEiiiiiiiiiiiliiliiiiil.uses_vcc, or(1, .L_ZL14no_device_codePKciS0_iS0_.uses_vcc)
	.set _ZL18flash_attn_ext_f16ILi112ELi112ELi8ELi4ELb1ELb0EEvPKcS1_S1_S1_S1_PKiPfP15HIP_vector_typeIfLj2EEffffjfiS5_IjLj3EEiiiiiiiiiiiliiliiiiil.uses_flat_scratch, or(0, .L_ZL14no_device_codePKciS0_iS0_.uses_flat_scratch)
	.set _ZL18flash_attn_ext_f16ILi112ELi112ELi8ELi4ELb1ELb0EEvPKcS1_S1_S1_S1_PKiPfP15HIP_vector_typeIfLj2EEffffjfiS5_IjLj3EEiiiiiiiiiiiliiliiiiil.has_dyn_sized_stack, or(0, .L_ZL14no_device_codePKciS0_iS0_.has_dyn_sized_stack)
	.set _ZL18flash_attn_ext_f16ILi112ELi112ELi8ELi4ELb1ELb0EEvPKcS1_S1_S1_S1_PKiPfP15HIP_vector_typeIfLj2EEffffjfiS5_IjLj3EEiiiiiiiiiiiliiliiiiil.has_recursion, or(0, .L_ZL14no_device_codePKciS0_iS0_.has_recursion)
	.set _ZL18flash_attn_ext_f16ILi112ELi112ELi8ELi4ELb1ELb0EEvPKcS1_S1_S1_S1_PKiPfP15HIP_vector_typeIfLj2EEffffjfiS5_IjLj3EEiiiiiiiiiiiliiliiiiil.has_indirect_call, or(0, .L_ZL14no_device_codePKciS0_iS0_.has_indirect_call)
	.section	.AMDGPU.csdata,"",@progbits
; Kernel info:
; codeLenInByte = 48
; TotalNumSgprs: 40
; NumVgprs: 52
; NumAgprs: 0
; TotalNumVgprs: 52
; ScratchSize: 16
; MemoryBound: 0
; FloatMode: 240
; IeeeMode: 1
; LDSByteSize: 0 bytes/workgroup (compile time only)
; SGPRBlocks: 4
; VGPRBlocks: 6
; NumSGPRsForWavesPerEU: 40
; NumVGPRsForWavesPerEU: 52
; AccumOffset: 52
; Occupancy: 8
; WaveLimiterHint : 1
; COMPUTE_PGM_RSRC2:SCRATCH_EN: 1
; COMPUTE_PGM_RSRC2:USER_SGPR: 2
; COMPUTE_PGM_RSRC2:TRAP_HANDLER: 0
; COMPUTE_PGM_RSRC2:TGID_X_EN: 1
; COMPUTE_PGM_RSRC2:TGID_Y_EN: 0
; COMPUTE_PGM_RSRC2:TGID_Z_EN: 0
; COMPUTE_PGM_RSRC2:TIDIG_COMP_CNT: 0
; COMPUTE_PGM_RSRC3_GFX90A:ACCUM_OFFSET: 12
; COMPUTE_PGM_RSRC3_GFX90A:TG_SPLIT: 0
	.section	.text._ZL33flash_attn_stream_k_fixup_uniformILi112ELi8ELi4EEvPfPK15HIP_vector_typeIfLj2EEiiiiiiS1_IjLj3EES5_S5_,"axG",@progbits,_ZL33flash_attn_stream_k_fixup_uniformILi112ELi8ELi4EEvPfPK15HIP_vector_typeIfLj2EEiiiiiiS1_IjLj3EES5_S5_,comdat
	.globl	_ZL33flash_attn_stream_k_fixup_uniformILi112ELi8ELi4EEvPfPK15HIP_vector_typeIfLj2EEiiiiiiS1_IjLj3EES5_S5_ ; -- Begin function _ZL33flash_attn_stream_k_fixup_uniformILi112ELi8ELi4EEvPfPK15HIP_vector_typeIfLj2EEiiiiiiS1_IjLj3EES5_S5_
	.p2align	8
	.type	_ZL33flash_attn_stream_k_fixup_uniformILi112ELi8ELi4EEvPfPK15HIP_vector_typeIfLj2EEiiiiiiS1_IjLj3EES5_S5_,@function
_ZL33flash_attn_stream_k_fixup_uniformILi112ELi8ELi4EEvPfPK15HIP_vector_typeIfLj2EEiiiiiiS1_IjLj3EES5_S5_: ; @_ZL33flash_attn_stream_k_fixup_uniformILi112ELi8ELi4EEvPfPK15HIP_vector_typeIfLj2EEiiiiiiS1_IjLj3EES5_S5_
; %bb.0:
	s_load_dwordx8 s[8:15], s[0:1], 0x1c
	s_load_dwordx2 s[6:7], s[0:1], 0x10
	s_load_dwordx4 s[16:19], s[0:1], 0x3c
	s_waitcnt lgkmcnt(0)
	s_mul_hi_u32 s5, s11, s2
	s_add_i32 s5, s2, s5
	s_lshr_b32 s5, s5, s12
	s_mul_i32 s11, s5, s13
	s_sub_i32 s12, s2, s11
	s_mul_hi_u32 s11, s12, s14
	s_add_i32 s11, s12, s11
	s_lshr_b32 s11, s11, s15
	s_mul_i32 s13, s11, s16
	s_sub_i32 s12, s12, s13
	;; [unrolled: 5-line block ×3, first 2 shown]
	s_lshl_b32 s12, s16, 3
	s_lshl_b32 s17, s13, 2
	s_add_i32 s12, s12, s3
	s_cmp_lt_i32 s12, s6
	s_cselect_b64 s[12:13], -1, 0
	s_add_i32 s17, s17, s4
	s_cmp_lt_i32 s17, s9
	s_cselect_b64 s[14:15], -1, 0
	s_and_b64 s[12:13], s[12:13], s[14:15]
	s_andn2_b64 vcc, exec, s[12:13]
	s_cbranch_vccnz .LBB21_6
; %bb.1:
	s_load_dwordx4 s[12:15], s[0:1], 0x0
	s_mul_i32 s0, s5, s6
	s_mul_i32 s11, s11, s9
	s_add_i32 s0, s0, s3
	s_mul_i32 s0, s0, s7
	s_add_i32 s5, s17, s11
	s_mul_i32 s1, s7, s16
	s_add_i32 s0, s5, s0
	s_mulk_i32 s1, 0x380
	s_mulk_i32 s0, 0x70
	s_add_i32 s0, s0, s1
	v_add_u32_e32 v4, s0, v0
	s_waitcnt lgkmcnt(0)
	v_mov_b32_e32 v2, s12
	v_mov_b32_e32 v3, s13
	v_ashrrev_i32_e32 v5, 31, v4
	v_lshl_add_u64 v[2:3], v[4:5], 2, v[2:3]
	global_load_dword v5, v[2:3], off
	s_mul_i32 s5, s10, s2
	s_lshl_b32 s11, s3, 2
	s_add_i32 s9, s5, s10
	s_add_i32 s0, s11, s4
	s_lshl_b32 s1, s9, 5
	s_add_i32 s0, s0, s1
	s_sub_i32 s0, s0, 32
	s_ashr_i32 s1, s0, 31
	s_lshl_b64 s[0:1], s[0:1], 3
	s_add_u32 s0, s14, s0
	s_addc_u32 s1, s15, s1
	s_load_dword s12, s[0:1], 0x4
	s_add_i32 s6, s9, -2
	s_cmp_lt_i32 s6, s5
	s_cbranch_scc1 .LBB21_4
; %bb.2:
	s_lshl_b32 s6, s8, 7
	s_ashr_i32 s7, s6, 31
	s_lshl_b64 s[6:7], s[6:7], 2
	s_add_u32 s6, s14, s6
	s_addc_u32 s7, s15, s7
	s_add_i32 s2, s2, 1
	s_load_dword s0, s[0:1], 0x0
	s_mul_i32 s1, s10, s2
	s_lshl_b32 s2, s1, 5
	s_add_i32 s2, s4, s2
	s_mulk_i32 s3, 0x1c0
	s_mulk_i32 s4, 0x70
	s_lshl_b32 s8, s8, 5
	s_mulk_i32 s1, 0xe00
	s_add_i32 s3, s4, s3
	s_add_i32 s2, s2, s8
	;; [unrolled: 1-line block ×4, first 2 shown]
	v_add_u32_e32 v0, s3, v0
	s_add_i32 s9, s9, -1
	s_sub_i32 s2, s2, 64
	v_add_u32_e32 v0, 0xffffe400, v0
	s_waitcnt lgkmcnt(0)
	v_mov_b32_e32 v7, s0
	v_mov_b32_e32 v4, s12
	s_mov_b32 s4, 0x3fb8aa3b
	s_mov_b32 s8, 0xc2ce8ed0
	;; [unrolled: 1-line block ×3, first 2 shown]
	v_mov_b32_e32 v6, 0x7f800000
	s_mov_b32 s11, 0xc1a00000
.LBB21_3:                               ; =>This Inner Loop Header: Depth=1
	v_ashrrev_i32_e32 v1, 31, v0
	v_lshl_add_u64 v[8:9], v[0:1], 2, s[6:7]
	global_load_dword v9, v[8:9], off
	s_ashr_i32 s3, s2, 31
	s_lshl_b64 s[0:1], s[2:3], 3
	s_add_u32 s0, s14, s0
	s_addc_u32 s1, s15, s1
	s_load_dwordx2 s[0:1], s[0:1], 0x0
	v_max_f32_e32 v1, v7, v7
	s_add_i32 s9, s9, -1
	s_sub_i32 s2, s2, 32
	v_add_u32_e32 v0, 0xfffff200, v0
	s_waitcnt lgkmcnt(0)
	v_max_f32_e64 v10, s0, s0
	v_max_f32_e32 v1, v1, v10
	v_sub_f32_e32 v11, s0, v1
	v_sub_f32_e32 v10, v7, v1
	v_mul_f32_e32 v12, 0x3fb8aa3b, v11
	v_mov_b32_e32 v7, v1
	v_mul_f32_e32 v1, 0x3fb8aa3b, v10
	v_fma_f32 v15, v11, s4, -v12
	v_rndne_f32_e32 v16, v12
	v_fma_f32 v13, v10, s4, -v1
	v_rndne_f32_e32 v14, v1
	v_fmac_f32_e32 v15, 0x32a5705f, v11
	v_sub_f32_e32 v12, v12, v16
	v_fmac_f32_e32 v13, 0x32a5705f, v10
	v_sub_f32_e32 v1, v1, v14
	v_add_f32_e32 v12, v12, v15
	v_cvt_i32_f32_e32 v16, v16
	v_add_f32_e32 v1, v1, v13
	v_exp_f32_e32 v12, v12
	v_cvt_i32_f32_e32 v14, v14
	v_exp_f32_e32 v1, v1
	v_cmp_ngt_f32_e32 vcc, s8, v11
	v_ldexp_f32 v12, v12, v16
	v_mov_b32_e32 v8, s1
	v_ldexp_f32 v1, v1, v14
	v_cmp_ngt_f32_e64 s[0:1], s8, v10
	v_cndmask_b32_e32 v12, 0, v12, vcc
	v_cmp_nlt_f32_e32 vcc, s10, v11
	v_cndmask_b32_e64 v1, 0, v1, s[0:1]
	v_cmp_nlt_f32_e64 s[0:1], s10, v10
	v_cndmask_b32_e32 v12, v6, v12, vcc
	v_cmp_le_f32_e32 vcc, s11, v11
	v_cndmask_b32_e64 v1, v6, v1, s[0:1]
	v_cmp_le_f32_e64 s[0:1], s11, v10
	v_cndmask_b32_e32 v12, 0, v12, vcc
	s_cmp_le_i32 s9, s5
	v_cndmask_b32_e64 v10, 0, v1, s[0:1]
	s_waitcnt vmcnt(0)
	v_pk_mul_f32 v[8:9], v[8:9], v[12:13] op_sel_hi:[1,0]
	s_nop 0
	v_pk_fma_f32 v[4:5], v[4:5], v[10:11], v[8:9] op_sel_hi:[1,0,1]
	s_cbranch_scc0 .LBB21_3
	s_branch .LBB21_5
.LBB21_4:
	s_waitcnt lgkmcnt(0)
	v_mov_b32_e32 v4, s12
.LBB21_5:
	s_waitcnt vmcnt(0)
	v_div_scale_f32 v0, s[0:1], v4, v4, v5
	v_rcp_f32_e32 v1, v0
	v_div_scale_f32 v6, vcc, v5, v4, v5
	v_fma_f32 v7, -v0, v1, 1.0
	v_fmac_f32_e32 v1, v7, v1
	v_mul_f32_e32 v7, v6, v1
	v_fma_f32 v8, -v0, v7, v6
	v_fmac_f32_e32 v7, v8, v1
	v_fma_f32 v0, -v0, v7, v6
	v_div_fmas_f32 v0, v0, v1, v7
	v_div_fixup_f32 v0, v0, v4, v5
	global_store_dword v[2:3], v0, off
.LBB21_6:
	s_endpgm
	.section	.rodata,"a",@progbits
	.p2align	6, 0x0
	.amdhsa_kernel _ZL33flash_attn_stream_k_fixup_uniformILi112ELi8ELi4EEvPfPK15HIP_vector_typeIfLj2EEiiiiiiS1_IjLj3EES5_S5_
		.amdhsa_group_segment_fixed_size 0
		.amdhsa_private_segment_fixed_size 0
		.amdhsa_kernarg_size 76
		.amdhsa_user_sgpr_count 2
		.amdhsa_user_sgpr_dispatch_ptr 0
		.amdhsa_user_sgpr_queue_ptr 0
		.amdhsa_user_sgpr_kernarg_segment_ptr 1
		.amdhsa_user_sgpr_dispatch_id 0
		.amdhsa_user_sgpr_kernarg_preload_length 0
		.amdhsa_user_sgpr_kernarg_preload_offset 0
		.amdhsa_user_sgpr_private_segment_size 0
		.amdhsa_uses_dynamic_stack 0
		.amdhsa_enable_private_segment 0
		.amdhsa_system_sgpr_workgroup_id_x 1
		.amdhsa_system_sgpr_workgroup_id_y 1
		.amdhsa_system_sgpr_workgroup_id_z 1
		.amdhsa_system_sgpr_workgroup_info 0
		.amdhsa_system_vgpr_workitem_id 0
		.amdhsa_next_free_vgpr 17
		.amdhsa_next_free_sgpr 20
		.amdhsa_accum_offset 20
		.amdhsa_reserve_vcc 1
		.amdhsa_float_round_mode_32 0
		.amdhsa_float_round_mode_16_64 0
		.amdhsa_float_denorm_mode_32 3
		.amdhsa_float_denorm_mode_16_64 3
		.amdhsa_dx10_clamp 1
		.amdhsa_ieee_mode 1
		.amdhsa_fp16_overflow 0
		.amdhsa_tg_split 0
		.amdhsa_exception_fp_ieee_invalid_op 0
		.amdhsa_exception_fp_denorm_src 0
		.amdhsa_exception_fp_ieee_div_zero 0
		.amdhsa_exception_fp_ieee_overflow 0
		.amdhsa_exception_fp_ieee_underflow 0
		.amdhsa_exception_fp_ieee_inexact 0
		.amdhsa_exception_int_div_zero 0
	.end_amdhsa_kernel
	.section	.text._ZL33flash_attn_stream_k_fixup_uniformILi112ELi8ELi4EEvPfPK15HIP_vector_typeIfLj2EEiiiiiiS1_IjLj3EES5_S5_,"axG",@progbits,_ZL33flash_attn_stream_k_fixup_uniformILi112ELi8ELi4EEvPfPK15HIP_vector_typeIfLj2EEiiiiiiS1_IjLj3EES5_S5_,comdat
.Lfunc_end21:
	.size	_ZL33flash_attn_stream_k_fixup_uniformILi112ELi8ELi4EEvPfPK15HIP_vector_typeIfLj2EEiiiiiiS1_IjLj3EES5_S5_, .Lfunc_end21-_ZL33flash_attn_stream_k_fixup_uniformILi112ELi8ELi4EEvPfPK15HIP_vector_typeIfLj2EEiiiiiiS1_IjLj3EES5_S5_
                                        ; -- End function
	.set _ZL33flash_attn_stream_k_fixup_uniformILi112ELi8ELi4EEvPfPK15HIP_vector_typeIfLj2EEiiiiiiS1_IjLj3EES5_S5_.num_vgpr, 17
	.set _ZL33flash_attn_stream_k_fixup_uniformILi112ELi8ELi4EEvPfPK15HIP_vector_typeIfLj2EEiiiiiiS1_IjLj3EES5_S5_.num_agpr, 0
	.set _ZL33flash_attn_stream_k_fixup_uniformILi112ELi8ELi4EEvPfPK15HIP_vector_typeIfLj2EEiiiiiiS1_IjLj3EES5_S5_.numbered_sgpr, 20
	.set _ZL33flash_attn_stream_k_fixup_uniformILi112ELi8ELi4EEvPfPK15HIP_vector_typeIfLj2EEiiiiiiS1_IjLj3EES5_S5_.num_named_barrier, 0
	.set _ZL33flash_attn_stream_k_fixup_uniformILi112ELi8ELi4EEvPfPK15HIP_vector_typeIfLj2EEiiiiiiS1_IjLj3EES5_S5_.private_seg_size, 0
	.set _ZL33flash_attn_stream_k_fixup_uniformILi112ELi8ELi4EEvPfPK15HIP_vector_typeIfLj2EEiiiiiiS1_IjLj3EES5_S5_.uses_vcc, 1
	.set _ZL33flash_attn_stream_k_fixup_uniformILi112ELi8ELi4EEvPfPK15HIP_vector_typeIfLj2EEiiiiiiS1_IjLj3EES5_S5_.uses_flat_scratch, 0
	.set _ZL33flash_attn_stream_k_fixup_uniformILi112ELi8ELi4EEvPfPK15HIP_vector_typeIfLj2EEiiiiiiS1_IjLj3EES5_S5_.has_dyn_sized_stack, 0
	.set _ZL33flash_attn_stream_k_fixup_uniformILi112ELi8ELi4EEvPfPK15HIP_vector_typeIfLj2EEiiiiiiS1_IjLj3EES5_S5_.has_recursion, 0
	.set _ZL33flash_attn_stream_k_fixup_uniformILi112ELi8ELi4EEvPfPK15HIP_vector_typeIfLj2EEiiiiiiS1_IjLj3EES5_S5_.has_indirect_call, 0
	.section	.AMDGPU.csdata,"",@progbits
; Kernel info:
; codeLenInByte = 832
; TotalNumSgprs: 26
; NumVgprs: 17
; NumAgprs: 0
; TotalNumVgprs: 17
; ScratchSize: 0
; MemoryBound: 0
; FloatMode: 240
; IeeeMode: 1
; LDSByteSize: 0 bytes/workgroup (compile time only)
; SGPRBlocks: 3
; VGPRBlocks: 2
; NumSGPRsForWavesPerEU: 26
; NumVGPRsForWavesPerEU: 17
; AccumOffset: 20
; Occupancy: 8
; WaveLimiterHint : 0
; COMPUTE_PGM_RSRC2:SCRATCH_EN: 0
; COMPUTE_PGM_RSRC2:USER_SGPR: 2
; COMPUTE_PGM_RSRC2:TRAP_HANDLER: 0
; COMPUTE_PGM_RSRC2:TGID_X_EN: 1
; COMPUTE_PGM_RSRC2:TGID_Y_EN: 1
; COMPUTE_PGM_RSRC2:TGID_Z_EN: 1
; COMPUTE_PGM_RSRC2:TIDIG_COMP_CNT: 0
; COMPUTE_PGM_RSRC3_GFX90A:ACCUM_OFFSET: 4
; COMPUTE_PGM_RSRC3_GFX90A:TG_SPLIT: 0
	.section	.text._ZL33flash_attn_stream_k_fixup_generalILi112ELi8ELi4EEvPfPK15HIP_vector_typeIfLj2EEiiiiS1_IjLj3EES5_S5_S5_,"axG",@progbits,_ZL33flash_attn_stream_k_fixup_generalILi112ELi8ELi4EEvPfPK15HIP_vector_typeIfLj2EEiiiiS1_IjLj3EES5_S5_S5_,comdat
	.globl	_ZL33flash_attn_stream_k_fixup_generalILi112ELi8ELi4EEvPfPK15HIP_vector_typeIfLj2EEiiiiS1_IjLj3EES5_S5_S5_ ; -- Begin function _ZL33flash_attn_stream_k_fixup_generalILi112ELi8ELi4EEvPfPK15HIP_vector_typeIfLj2EEiiiiS1_IjLj3EES5_S5_S5_
	.p2align	8
	.type	_ZL33flash_attn_stream_k_fixup_generalILi112ELi8ELi4EEvPfPK15HIP_vector_typeIfLj2EEiiiiS1_IjLj3EES5_S5_S5_,@function
_ZL33flash_attn_stream_k_fixup_generalILi112ELi8ELi4EEvPfPK15HIP_vector_typeIfLj2EEiiiiS1_IjLj3EES5_S5_S5_: ; @_ZL33flash_attn_stream_k_fixup_generalILi112ELi8ELi4EEvPfPK15HIP_vector_typeIfLj2EEiiiiS1_IjLj3EES5_S5_S5_
; %bb.0:
	s_load_dwordx4 s[8:11], s[0:1], 0x10
	s_load_dword s22, s[0:1], 0x50
	s_mov_b32 s12, 0
	s_waitcnt lgkmcnt(0)
	s_mul_hi_i32 s13, s11, s2
	s_cmp_lg_u64 s[12:13], 0
	s_mul_i32 s5, s11, s2
	s_cbranch_scc0 .LBB22_20
; %bb.1:
	s_add_u32 s6, s22, 0
	s_addc_u32 s7, 0, 0
	s_xor_b64 s[6:7], s[6:7], 0
	v_cvt_f32_u32_e32 v1, s6
	v_cvt_f32_u32_e32 v2, s7
	s_sub_u32 s12, 0, s6
	s_subb_u32 s18, 0, s7
	v_fmamk_f32 v1, v2, 0x4f800000, v1
	v_rcp_f32_e32 v1, v1
	s_nop 0
	v_mul_f32_e32 v1, 0x5f7ffffc, v1
	v_mul_f32_e32 v2, 0x2f800000, v1
	v_trunc_f32_e32 v2, v2
	v_fmamk_f32 v1, v2, 0xcf800000, v1
	v_cvt_u32_f32_e32 v2, v2
	v_cvt_u32_f32_e32 v1, v1
	v_readfirstlane_b32 s19, v2
	v_readfirstlane_b32 s14, v1
	s_mul_i32 s15, s12, s19
	s_mul_hi_u32 s21, s12, s14
	s_mul_i32 s20, s18, s14
	s_add_i32 s15, s21, s15
	s_add_i32 s15, s15, s20
	s_mul_i32 s23, s12, s14
	s_mul_i32 s21, s14, s15
	s_mul_hi_u32 s24, s14, s23
	s_mul_hi_u32 s20, s14, s15
	s_add_u32 s21, s24, s21
	s_addc_u32 s20, 0, s20
	s_mul_hi_u32 s25, s19, s23
	s_mul_i32 s23, s19, s23
	s_add_u32 s21, s21, s23
	s_mul_hi_u32 s24, s19, s15
	s_addc_u32 s20, s20, s25
	s_addc_u32 s21, s24, 0
	s_mul_i32 s15, s19, s15
	s_add_u32 s15, s20, s15
	s_addc_u32 s20, 0, s21
	s_add_u32 s21, s14, s15
	s_cselect_b64 s[14:15], -1, 0
	s_cmp_lg_u64 s[14:15], 0
	s_addc_u32 s19, s19, s20
	s_mul_i32 s14, s12, s19
	s_mul_hi_u32 s15, s12, s21
	s_add_i32 s14, s15, s14
	s_mul_i32 s18, s18, s21
	s_add_i32 s14, s14, s18
	s_mul_i32 s12, s12, s21
	s_mul_hi_u32 s18, s19, s12
	s_mul_i32 s20, s19, s12
	s_mul_i32 s24, s21, s14
	s_mul_hi_u32 s12, s21, s12
	s_mul_hi_u32 s23, s21, s14
	s_add_u32 s12, s12, s24
	s_addc_u32 s23, 0, s23
	s_add_u32 s12, s12, s20
	s_mul_hi_u32 s15, s19, s14
	s_addc_u32 s12, s23, s18
	s_addc_u32 s15, s15, 0
	s_mul_i32 s14, s19, s14
	s_add_u32 s12, s12, s14
	s_addc_u32 s18, 0, s15
	s_add_u32 s20, s21, s12
	s_cselect_b64 s[14:15], -1, 0
	s_cmp_lg_u64 s[14:15], 0
	s_addc_u32 s18, s19, s18
	s_ashr_i32 s14, s13, 31
	s_add_u32 s12, s5, s14
	s_mov_b32 s15, s14
	s_addc_u32 s13, s13, s14
	s_xor_b64 s[12:13], s[12:13], s[14:15]
	s_mul_i32 s21, s12, s18
	s_mul_hi_u32 s23, s12, s20
	s_mul_hi_u32 s19, s12, s18
	s_add_u32 s21, s23, s21
	s_addc_u32 s19, 0, s19
	s_mul_hi_u32 s24, s13, s20
	s_mul_i32 s20, s13, s20
	s_add_u32 s20, s21, s20
	s_mul_hi_u32 s23, s13, s18
	s_addc_u32 s19, s19, s24
	s_addc_u32 s20, s23, 0
	s_mul_i32 s18, s13, s18
	s_add_u32 s23, s19, s18
	s_addc_u32 s24, 0, s20
	s_mul_i32 s18, s6, s24
	s_mul_hi_u32 s19, s6, s23
	s_add_i32 s18, s19, s18
	s_mul_i32 s19, s7, s23
	s_add_i32 s25, s18, s19
	s_sub_i32 s20, s13, s25
	s_mul_i32 s18, s6, s23
	s_sub_u32 s12, s12, s18
	s_cselect_b64 s[18:19], -1, 0
	s_cmp_lg_u64 s[18:19], 0
	s_subb_u32 s26, s20, s7
	s_sub_u32 s27, s12, s6
	s_cselect_b64 s[20:21], -1, 0
	s_cmp_lg_u64 s[20:21], 0
	s_subb_u32 s20, s26, 0
	s_cmp_ge_u32 s20, s7
	s_cselect_b32 s21, -1, 0
	s_cmp_ge_u32 s27, s6
	s_cselect_b32 s26, -1, 0
	s_cmp_eq_u32 s20, s7
	s_cselect_b32 s20, s26, s21
	s_add_u32 s21, s23, 1
	s_addc_u32 s26, s24, 0
	s_add_u32 s27, s23, 2
	s_addc_u32 s28, s24, 0
	s_cmp_lg_u32 s20, 0
	s_cselect_b32 s20, s27, s21
	s_cselect_b32 s21, s28, s26
	s_cmp_lg_u64 s[18:19], 0
	s_subb_u32 s13, s13, s25
	s_cmp_ge_u32 s13, s7
	s_cselect_b32 s18, -1, 0
	s_cmp_ge_u32 s12, s6
	s_cselect_b32 s6, -1, 0
	s_cmp_eq_u32 s13, s7
	s_cselect_b32 s6, s6, s18
	s_cmp_lg_u32 s6, 0
	s_cselect_b32 s7, s21, s24
	s_cselect_b32 s6, s20, s23
	s_xor_b64 s[12:13], s[14:15], 0
	s_xor_b64 s[6:7], s[6:7], s[12:13]
	s_sub_u32 s6, s6, s12
	s_load_dwordx4 s[12:15], s[0:1], 0x44
	s_cbranch_execnz .LBB22_3
.LBB22_2:
	v_cvt_f32_u32_e32 v1, s22
	s_sub_i32 s6, 0, s22
	v_rcp_iflag_f32_e32 v1, v1
	s_nop 0
	v_mul_f32_e32 v1, 0x4f7ffffe, v1
	v_cvt_u32_f32_e32 v1, v1
	s_nop 0
	v_readfirstlane_b32 s7, v1
	s_mul_i32 s6, s6, s7
	s_mul_hi_u32 s6, s7, s6
	s_add_i32 s7, s7, s6
	s_mul_hi_u32 s6, s5, s7
	s_waitcnt lgkmcnt(0)
	s_mul_i32 s15, s6, s22
	s_sub_i32 s5, s5, s15
	s_add_i32 s7, s6, 1
	s_sub_i32 s15, s5, s22
	s_cmp_ge_u32 s5, s22
	s_cselect_b32 s6, s7, s6
	s_cselect_b32 s5, s15, s5
	s_add_i32 s7, s6, 1
	s_cmp_ge_u32 s5, s22
	s_cselect_b32 s6, s7, s6
.LBB22_3:
	s_add_i32 s5, s2, 1
	s_mul_hi_i32 s21, s11, s5
	s_mov_b32 s20, 0
	s_cmp_lg_u64 s[20:21], 0
	s_mul_i32 s5, s11, s5
	s_cbranch_scc0 .LBB22_21
; %bb.4:
	s_add_u32 s16, s22, 0
	s_addc_u32 s17, 0, 0
	s_xor_b64 s[18:19], s[16:17], 0
	v_cvt_f32_u32_e32 v1, s18
	v_cvt_f32_u32_e32 v2, s19
	s_sub_u32 s7, 0, s18
	s_waitcnt lgkmcnt(0)
	s_subb_u32 s15, 0, s19
	v_fmamk_f32 v1, v2, 0x4f800000, v1
	v_rcp_f32_e32 v1, v1
	s_nop 0
	v_mul_f32_e32 v1, 0x5f7ffffc, v1
	v_mul_f32_e32 v2, 0x2f800000, v1
	v_trunc_f32_e32 v2, v2
	v_fmamk_f32 v1, v2, 0xcf800000, v1
	v_cvt_u32_f32_e32 v2, v2
	v_cvt_u32_f32_e32 v1, v1
	v_readfirstlane_b32 s20, v2
	v_readfirstlane_b32 s23, v1
	s_mul_i32 s24, s7, s20
	s_mul_hi_u32 s26, s7, s23
	s_mul_i32 s25, s15, s23
	s_add_i32 s24, s26, s24
	s_add_i32 s24, s24, s25
	s_mul_i32 s27, s7, s23
	s_mul_i32 s26, s23, s24
	s_mul_hi_u32 s28, s23, s27
	s_mul_hi_u32 s25, s23, s24
	s_add_u32 s26, s28, s26
	s_addc_u32 s25, 0, s25
	s_mul_hi_u32 s29, s20, s27
	s_mul_i32 s27, s20, s27
	s_add_u32 s26, s26, s27
	s_mul_hi_u32 s28, s20, s24
	s_addc_u32 s25, s25, s29
	s_addc_u32 s26, s28, 0
	s_mul_i32 s24, s20, s24
	s_add_u32 s24, s25, s24
	s_addc_u32 s26, 0, s26
	s_add_u32 s23, s23, s24
	s_cselect_b64 s[24:25], -1, 0
	s_cmp_lg_u64 s[24:25], 0
	s_addc_u32 s20, s20, s26
	s_mul_i32 s24, s7, s20
	s_mul_hi_u32 s25, s7, s23
	s_add_i32 s24, s25, s24
	s_mul_i32 s15, s15, s23
	s_add_i32 s24, s24, s15
	s_mul_i32 s7, s7, s23
	s_mul_hi_u32 s25, s20, s7
	s_mul_i32 s26, s20, s7
	s_mul_i32 s28, s23, s24
	s_mul_hi_u32 s7, s23, s7
	s_mul_hi_u32 s27, s23, s24
	s_add_u32 s7, s7, s28
	s_addc_u32 s27, 0, s27
	s_add_u32 s7, s7, s26
	s_mul_hi_u32 s15, s20, s24
	s_addc_u32 s7, s27, s25
	s_addc_u32 s15, s15, 0
	s_mul_i32 s24, s20, s24
	s_add_u32 s7, s7, s24
	s_addc_u32 s15, 0, s15
	s_add_u32 s7, s23, s7
	s_cselect_b64 s[24:25], -1, 0
	s_cmp_lg_u64 s[24:25], 0
	s_addc_u32 s15, s20, s15
	s_ashr_i32 s24, s21, 31
	s_add_u32 s20, s5, s24
	s_mov_b32 s25, s24
	s_addc_u32 s21, s21, s24
	s_xor_b64 s[20:21], s[20:21], s[24:25]
	s_mul_i32 s26, s20, s15
	s_mul_hi_u32 s27, s20, s7
	s_mul_hi_u32 s23, s20, s15
	s_add_u32 s26, s27, s26
	s_addc_u32 s23, 0, s23
	s_mul_hi_u32 s28, s21, s7
	s_mul_i32 s7, s21, s7
	s_add_u32 s7, s26, s7
	s_mul_hi_u32 s27, s21, s15
	s_addc_u32 s7, s23, s28
	s_addc_u32 s23, s27, 0
	s_mul_i32 s15, s21, s15
	s_add_u32 s7, s7, s15
	s_addc_u32 s15, 0, s23
	s_mul_i32 s23, s18, s15
	s_mul_hi_u32 s26, s18, s7
	s_add_i32 s23, s26, s23
	s_mul_i32 s26, s19, s7
	s_add_i32 s23, s23, s26
	s_sub_i32 s28, s21, s23
	s_mul_i32 s26, s18, s7
	s_sub_u32 s20, s20, s26
	s_cselect_b64 s[26:27], -1, 0
	s_cmp_lg_u64 s[26:27], 0
	s_subb_u32 s30, s28, s19
	s_sub_u32 s31, s20, s18
	s_cselect_b64 s[28:29], -1, 0
	s_cmp_lg_u64 s[28:29], 0
	s_subb_u32 s28, s30, 0
	s_cmp_ge_u32 s28, s19
	s_cselect_b32 s29, -1, 0
	s_cmp_ge_u32 s31, s18
	s_cselect_b32 s30, -1, 0
	s_cmp_eq_u32 s28, s19
	s_cselect_b32 s28, s30, s29
	s_add_u32 s29, s7, 1
	s_addc_u32 s30, s15, 0
	s_add_u32 s31, s7, 2
	s_addc_u32 s33, s15, 0
	s_cmp_lg_u32 s28, 0
	s_cselect_b32 s28, s31, s29
	s_cselect_b32 s29, s33, s30
	s_cmp_lg_u64 s[26:27], 0
	s_subb_u32 s21, s21, s23
	s_cmp_ge_u32 s21, s19
	s_cselect_b32 s23, -1, 0
	s_cmp_ge_u32 s20, s18
	s_cselect_b32 s18, -1, 0
	s_cmp_eq_u32 s21, s19
	s_cselect_b32 s18, s18, s23
	s_cmp_lg_u32 s18, 0
	s_cselect_b32 s19, s29, s15
	s_cselect_b32 s18, s28, s7
	s_xor_b64 s[20:21], s[24:25], 0
	s_xor_b64 s[18:19], s[18:19], s[20:21]
	s_sub_u32 s18, s18, s20
	s_cbranch_execnz .LBB22_6
.LBB22_5:
	v_cvt_f32_u32_e32 v1, s22
	s_sub_i32 s7, 0, s22
	v_rcp_iflag_f32_e32 v1, v1
	s_nop 0
	v_mul_f32_e32 v1, 0x4f7ffffe, v1
	v_cvt_u32_f32_e32 v1, v1
	s_waitcnt lgkmcnt(0)
	v_readfirstlane_b32 s15, v1
	s_mul_i32 s7, s7, s15
	s_mul_hi_u32 s7, s15, s7
	s_add_i32 s15, s15, s7
	s_mul_hi_u32 s7, s5, s15
	s_mul_i32 s16, s7, s22
	s_sub_i32 s5, s5, s16
	s_add_i32 s15, s7, 1
	s_sub_i32 s16, s5, s22
	s_cmp_ge_u32 s5, s22
	s_cselect_b32 s7, s15, s7
	s_cselect_b32 s5, s16, s5
	s_add_i32 s15, s7, 1
	s_cmp_ge_u32 s5, s22
	s_cselect_b32 s18, s15, s7
.LBB22_6:
	s_cmp_eq_u32 s6, s18
	s_waitcnt lgkmcnt(0)
	s_mul_hi_u32 s5, s6, s12
	s_cselect_b64 s[16:17], -1, 0
	s_add_i32 s5, s5, s6
	s_lshr_b32 s7, s5, s13
	s_mul_i32 s5, s7, s14
	s_cmp_eq_u32 s5, s6
	s_mul_hi_u32 s5, s18, s12
	s_cselect_b64 s[20:21], -1, 0
	s_add_i32 s5, s5, s18
	s_lshr_b32 s5, s5, s13
	s_cmp_eq_u32 s7, s5
	s_mul_i32 s5, s5, s14
	s_cselect_b64 s[24:25], -1, 0
	s_cmp_lg_u32 s5, s18
	s_cselect_b64 s[18:19], -1, 0
	s_and_b64 s[18:19], s[24:25], s[18:19]
	s_or_b64 s[16:17], s[16:17], s[20:21]
	s_or_b64 s[16:17], s[16:17], s[18:19]
	s_and_b64 vcc, exec, s[16:17]
	s_cbranch_vccnz .LBB22_23
; %bb.7:
	s_load_dwordx8 s[24:31], s[0:1], 0x20
	s_load_dword s5, s[0:1], 0x40
	s_waitcnt lgkmcnt(0)
	s_mul_hi_u32 s15, s6, s24
	s_add_i32 s15, s15, s6
	s_lshr_b32 s20, s15, s25
	s_mul_i32 s15, s20, s26
	s_sub_i32 s15, s6, s15
	s_mul_hi_u32 s16, s15, s27
	s_add_i32 s16, s15, s16
	s_lshr_b32 s21, s16, s28
	s_mul_i32 s16, s21, s29
	s_sub_i32 s15, s15, s16
	;; [unrolled: 5-line block ×3, first 2 shown]
	s_mul_hi_u32 s15, s5, s12
	s_add_i32 s5, s5, s15
	s_lshr_b32 s23, s5, s13
	s_lshl_b32 s5, s23, 3
	s_lshl_b32 s24, s16, 2
	s_add_i32 s5, s5, s3
	s_cmp_lt_i32 s5, s8
	s_cselect_b64 s[16:17], -1, 0
	s_add_i32 s24, s24, s4
	s_cmp_lt_i32 s24, s10
	s_cselect_b64 s[18:19], -1, 0
	s_and_b64 s[16:17], s[16:17], s[18:19]
	s_andn2_b64 vcc, exec, s[16:17]
	s_cbranch_vccnz .LBB22_23
; %bb.8:
	s_load_dwordx4 s[16:19], s[0:1], 0x0
	s_mov_b32 s0, 0
	s_lshl_b32 s15, s3, 2
	s_lshl_b32 s26, s22, 7
	s_mov_b32 s27, s0
	s_add_i32 s15, s15, s4
	s_lshl_b64 s[4:5], s[26:27], 2
	s_waitcnt lgkmcnt(0)
	s_add_u32 s4, s18, s4
	s_mul_i32 s1, s20, s8
	s_addc_u32 s5, s19, s5
	s_mul_i32 s21, s21, s10
	s_add_i32 s1, s1, s3
	s_mul_i32 s1, s1, s9
	s_add_i32 s3, s24, s21
	;; [unrolled: 2-line block ×3, first 2 shown]
	s_mulk_i32 s8, 0x380
	s_mulk_i32 s1, 0x70
	s_add_i32 s8, s8, s1
	v_add_u32_e32 v4, s8, v0
	v_mov_b32_e32 v2, s16
	v_mov_b32_e32 v3, s17
	v_ashrrev_i32_e32 v5, 31, v4
	v_lshl_add_u64 v[2:3], v[4:5], 2, v[2:3]
	global_load_dword v1, v[2:3], off
	v_cvt_f32_u32_e32 v4, s22
	s_lshl_b32 s1, s2, 5
	s_add_i32 s8, s15, s1
	s_ashr_i32 s9, s8, 31
	s_lshl_b64 s[8:9], s[8:9], 3
	v_rcp_iflag_f32_e32 v4, v4
	s_add_u32 s8, s18, s8
	s_addc_u32 s9, s19, s9
	s_load_dwordx2 s[8:9], s[8:9], 0x0
	v_mul_f32_e32 v4, 0x4f7ffffe, v4
	v_cvt_u32_f32_e32 v7, v4
	s_mul_i32 s1, s15, 0x70
	s_add_i32 s21, s2, -1
	v_add_u32_e32 v6, s1, v0
	s_waitcnt lgkmcnt(0)
	v_mov_b32_e32 v0, s9
	v_mov_b32_e32 v9, s8
	s_mov_b32 s10, 0x3fb8aa3b
	s_mov_b32 s20, 0xc2ce8ed0
	;; [unrolled: 1-line block ×4, first 2 shown]
	v_mov_b32_e32 v8, 0x7f800000
	s_mul_hi_i32 s1, s21, s11
	s_cmp_lg_u64 s[0:1], 0
	s_mul_i32 s16, s21, s11
	s_cbranch_scc0 .LBB22_19
.LBB22_9:
	s_add_u32 s2, s22, 0
	s_addc_u32 s3, 0, 0
	s_xor_b64 s[2:3], s[2:3], 0
	v_cvt_f32_u32_e32 v4, s2
	v_cvt_f32_u32_e32 v5, s3
	s_sub_u32 s17, 0, s2
	s_subb_u32 s25, 0, s3
	v_fmac_f32_e32 v4, 0x4f800000, v5
	v_rcp_f32_e32 v4, v4
	s_nop 0
	v_mul_f32_e32 v4, 0x5f7ffffc, v4
	v_mul_f32_e32 v5, 0x2f800000, v4
	v_trunc_f32_e32 v5, v5
	v_fmac_f32_e32 v4, 0xcf800000, v5
	v_cvt_u32_f32_e32 v5, v5
	v_cvt_u32_f32_e32 v4, v4
	v_readfirstlane_b32 s26, v5
	v_readfirstlane_b32 s8, v4
	s_mul_i32 s9, s17, s26
	s_mul_hi_u32 s28, s17, s8
	s_mul_i32 s27, s25, s8
	s_add_i32 s9, s28, s9
	s_mul_i32 s29, s17, s8
	s_add_i32 s9, s9, s27
	s_mul_i32 s28, s8, s9
	s_mul_hi_u32 s30, s8, s29
	s_mul_hi_u32 s27, s8, s9
	s_add_u32 s28, s30, s28
	s_addc_u32 s27, 0, s27
	s_mul_hi_u32 s31, s26, s29
	s_mul_i32 s29, s26, s29
	s_add_u32 s28, s28, s29
	s_mul_hi_u32 s30, s26, s9
	s_addc_u32 s27, s27, s31
	s_addc_u32 s28, s30, 0
	s_mul_i32 s9, s26, s9
	s_add_u32 s9, s27, s9
	s_addc_u32 s27, 0, s28
	s_add_u32 s28, s8, s9
	s_cselect_b64 s[8:9], -1, 0
	s_cmp_lg_u64 s[8:9], 0
	s_addc_u32 s26, s26, s27
	s_mul_i32 s8, s17, s26
	s_mul_hi_u32 s9, s17, s28
	s_add_i32 s8, s9, s8
	s_mul_i32 s25, s25, s28
	s_add_i32 s8, s8, s25
	s_mul_i32 s17, s17, s28
	s_mul_hi_u32 s25, s26, s17
	s_mul_i32 s27, s26, s17
	s_mul_i32 s30, s28, s8
	s_mul_hi_u32 s17, s28, s17
	s_mul_hi_u32 s29, s28, s8
	s_add_u32 s17, s17, s30
	s_addc_u32 s29, 0, s29
	s_add_u32 s17, s17, s27
	s_mul_hi_u32 s9, s26, s8
	s_addc_u32 s17, s29, s25
	s_addc_u32 s9, s9, 0
	s_mul_i32 s8, s26, s8
	s_add_u32 s8, s17, s8
	s_addc_u32 s17, 0, s9
	s_add_u32 s25, s28, s8
	s_cselect_b64 s[8:9], -1, 0
	s_cmp_lg_u64 s[8:9], 0
	s_addc_u32 s17, s26, s17
	s_ashr_i32 s8, s1, 31
	s_add_u32 s26, s16, s8
	s_mov_b32 s9, s8
	s_addc_u32 s27, s1, s8
	s_xor_b64 s[26:27], s[26:27], s[8:9]
	s_mul_i32 s28, s26, s17
	s_mul_hi_u32 s29, s26, s25
	s_mul_hi_u32 s1, s26, s17
	s_add_u32 s28, s29, s28
	s_addc_u32 s1, 0, s1
	s_mul_hi_u32 s30, s27, s25
	s_mul_i32 s25, s27, s25
	s_add_u32 s25, s28, s25
	s_mul_hi_u32 s29, s27, s17
	s_addc_u32 s1, s1, s30
	s_addc_u32 s25, s29, 0
	s_mul_i32 s17, s27, s17
	s_add_u32 s1, s1, s17
	s_addc_u32 s17, 0, s25
	s_mul_i32 s25, s2, s17
	s_mul_hi_u32 s28, s2, s1
	s_add_i32 s25, s28, s25
	s_mul_i32 s28, s3, s1
	s_add_i32 s25, s25, s28
	s_sub_i32 s30, s27, s25
	s_mul_i32 s28, s2, s1
	s_sub_u32 s26, s26, s28
	s_cselect_b64 s[28:29], -1, 0
	s_cmp_lg_u64 s[28:29], 0
	s_subb_u32 s33, s30, s3
	s_sub_u32 s34, s26, s2
	s_cselect_b64 s[30:31], -1, 0
	s_cmp_lg_u64 s[30:31], 0
	s_subb_u32 s30, s33, 0
	s_cmp_ge_u32 s30, s3
	s_cselect_b32 s31, -1, 0
	s_cmp_ge_u32 s34, s2
	s_cselect_b32 s33, -1, 0
	s_cmp_eq_u32 s30, s3
	s_cselect_b32 s30, s33, s31
	s_add_u32 s31, s1, 1
	s_addc_u32 s33, s17, 0
	s_add_u32 s34, s1, 2
	s_addc_u32 s35, s17, 0
	s_cmp_lg_u32 s30, 0
	s_cselect_b32 s30, s34, s31
	s_cselect_b32 s31, s35, s33
	s_cmp_lg_u64 s[28:29], 0
	s_subb_u32 s25, s27, s25
	s_cmp_ge_u32 s25, s3
	s_cselect_b32 s27, -1, 0
	s_cmp_ge_u32 s26, s2
	s_cselect_b32 s2, -1, 0
	s_cmp_eq_u32 s25, s3
	s_cselect_b32 s2, s2, s27
	s_cmp_lg_u32 s2, 0
	s_cselect_b32 s3, s31, s17
	s_cselect_b32 s2, s30, s1
	s_xor_b64 s[8:9], s[8:9], 0
	s_xor_b64 s[2:3], s[2:3], s[8:9]
	s_sub_u32 s8, s2, s8
	s_cbranch_execnz .LBB22_11
.LBB22_10:
	s_sub_i32 s1, 0, s22
	v_readfirstlane_b32 s2, v7
	s_mul_i32 s1, s1, s2
	s_mul_hi_u32 s1, s2, s1
	s_add_i32 s2, s2, s1
	s_mul_hi_u32 s1, s16, s2
	s_mul_i32 s3, s1, s22
	s_sub_i32 s3, s16, s3
	s_add_i32 s2, s1, 1
	s_sub_i32 s8, s3, s22
	s_cmp_ge_u32 s3, s22
	s_cselect_b32 s1, s2, s1
	s_cselect_b32 s3, s8, s3
	s_add_i32 s2, s1, 1
	s_cmp_ge_u32 s3, s22
	s_cselect_b32 s8, s2, s1
.LBB22_11:
	s_cmp_lg_u32 s6, s8
	s_cbranch_scc0 .LBB22_15
; %bb.12:
	s_add_i32 s1, s21, s22
	s_lshl_b32 s1, s1, 5
	s_add_i32 s2, s1, s15
	s_mov_b32 s3, s0
	s_lshl_b64 s[2:3], s[2:3], 3
	s_add_u32 s16, s18, s2
	s_mul_hi_u32 s1, s8, s12
	s_addc_u32 s17, s19, s3
	s_add_i32 s1, s1, s8
	s_lshr_b32 s1, s1, s13
	s_mul_i32 s2, s1, s14
	s_cmp_eq_u32 s2, s8
	s_cselect_b64 s[2:3], -1, 0
	s_cmp_lt_u32 s1, s7
	s_cselect_b64 s[26:27], -1, 0
	s_or_b64 s[26:27], s[26:27], s[2:3]
	s_mov_b64 s[2:3], -1
	s_and_b64 vcc, exec, s[26:27]
	s_mov_b32 s1, s21
	s_mov_b32 s25, s6
	s_cbranch_vccnz .LBB22_14
; %bb.13:
	s_add_i32 s1, s21, -1
	s_mov_b64 s[2:3], 0
	s_mov_b32 s25, s8
.LBB22_14:
	s_mul_i32 s8, s21, 0xe00
	v_add_u32_e32 v4, s8, v6
	v_ashrrev_i32_e32 v5, 31, v4
	v_lshl_add_u64 v[4:5], v[4:5], 2, s[4:5]
	global_load_dword v5, v[4:5], off
	s_load_dwordx2 s[8:9], s[16:17], 0x0
	v_max_f32_e32 v4, v9, v9
	s_waitcnt lgkmcnt(0)
	v_max_f32_e64 v10, s8, s8
	v_max_f32_e32 v10, v4, v10
	v_sub_f32_e32 v11, v9, v10
	v_sub_f32_e32 v13, s8, v10
	v_mul_f32_e32 v4, 0x3fb8aa3b, v11
	v_mul_f32_e32 v12, 0x3fb8aa3b, v13
	v_fma_f32 v14, v11, s10, -v4
	v_rndne_f32_e32 v15, v4
	v_fma_f32 v16, v13, s10, -v12
	v_rndne_f32_e32 v17, v12
	v_fmac_f32_e32 v14, 0x32a5705f, v11
	v_sub_f32_e32 v4, v4, v15
	v_fmac_f32_e32 v16, 0x32a5705f, v13
	v_sub_f32_e32 v12, v12, v17
	v_add_f32_e32 v4, v4, v14
	v_cvt_i32_f32_e32 v15, v15
	v_add_f32_e32 v12, v12, v16
	v_exp_f32_e32 v14, v4
	v_cvt_i32_f32_e32 v17, v17
	v_exp_f32_e32 v12, v12
	v_cmp_ngt_f32_e32 vcc, s20, v11
	v_ldexp_f32 v14, v14, v15
	v_mov_b32_e32 v4, s9
	v_ldexp_f32 v12, v12, v17
	v_cndmask_b32_e32 v14, 0, v14, vcc
	v_cmp_ngt_f32_e32 vcc, s20, v13
	s_nop 1
	v_cndmask_b32_e32 v12, 0, v12, vcc
	v_cmp_nlt_f32_e32 vcc, s23, v11
	s_nop 1
	v_cndmask_b32_e32 v14, v8, v14, vcc
	v_cmp_nlt_f32_e32 vcc, s23, v13
	s_nop 1
	v_cndmask_b32_e32 v15, v8, v12, vcc
	v_cmp_le_f32_e32 vcc, s24, v11
	s_nop 1
	v_cndmask_b32_e32 v12, 0, v14, vcc
	v_cmp_le_f32_e32 vcc, s24, v13
	s_nop 1
	v_cndmask_b32_e32 v14, 0, v15, vcc
	s_waitcnt vmcnt(0)
	v_pk_mul_f32 v[4:5], v[4:5], v[14:15] op_sel_hi:[1,0]
	s_nop 0
	v_pk_fma_f32 v[4:5], v[0:1], v[12:13], v[4:5] op_sel_hi:[1,0,1]
	s_cbranch_execz .LBB22_16
	s_branch .LBB22_17
.LBB22_15:
                                        ; implicit-def: $vgpr4_vgpr5
                                        ; implicit-def: $sgpr2_sgpr3
                                        ; implicit-def: $vgpr10
                                        ; implicit-def: $sgpr1
                                        ; implicit-def: $sgpr25
.LBB22_16:
	s_add_i32 s1, s21, -1
	s_mov_b64 s[2:3], 0
	s_mov_b32 s25, s6
	v_mov_b32_e32 v10, v9
	s_waitcnt vmcnt(0)
	v_mov_b64_e32 v[4:5], v[0:1]
.LBB22_17:
	s_andn2_b64 vcc, exec, s[2:3]
	s_cbranch_vccz .LBB22_22
; %bb.18:
	s_mov_b32 s6, s25
	s_mov_b32 s21, s1
	v_mov_b32_e32 v9, v10
	s_waitcnt vmcnt(0)
	v_mov_b64_e32 v[0:1], v[4:5]
	s_mul_hi_i32 s1, s21, s11
	s_cmp_lg_u64 s[0:1], 0
	s_mul_i32 s16, s21, s11
	s_cbranch_scc1 .LBB22_9
.LBB22_19:
                                        ; implicit-def: $sgpr8_sgpr9
	s_branch .LBB22_10
.LBB22_20:
                                        ; implicit-def: $sgpr6_sgpr7
	s_load_dwordx4 s[12:15], s[0:1], 0x44
	s_branch .LBB22_2
.LBB22_21:
                                        ; implicit-def: $sgpr18_sgpr19
	s_branch .LBB22_5
.LBB22_22:
	v_div_scale_f32 v0, s[0:1], v4, v4, v5
	s_waitcnt vmcnt(0)
	v_rcp_f32_e32 v1, v0
	v_div_scale_f32 v6, vcc, v5, v4, v5
	v_fma_f32 v7, -v0, v1, 1.0
	v_fmac_f32_e32 v1, v7, v1
	v_mul_f32_e32 v7, v6, v1
	v_fma_f32 v8, -v0, v7, v6
	v_fmac_f32_e32 v7, v8, v1
	v_fma_f32 v0, -v0, v7, v6
	v_div_fmas_f32 v0, v0, v1, v7
	v_div_fixup_f32 v0, v0, v4, v5
	global_store_dword v[2:3], v0, off
.LBB22_23:
	s_endpgm
	.section	.rodata,"a",@progbits
	.p2align	6, 0x0
	.amdhsa_kernel _ZL33flash_attn_stream_k_fixup_generalILi112ELi8ELi4EEvPfPK15HIP_vector_typeIfLj2EEiiiiS1_IjLj3EES5_S5_S5_
		.amdhsa_group_segment_fixed_size 0
		.amdhsa_private_segment_fixed_size 0
		.amdhsa_kernarg_size 336
		.amdhsa_user_sgpr_count 2
		.amdhsa_user_sgpr_dispatch_ptr 0
		.amdhsa_user_sgpr_queue_ptr 0
		.amdhsa_user_sgpr_kernarg_segment_ptr 1
		.amdhsa_user_sgpr_dispatch_id 0
		.amdhsa_user_sgpr_kernarg_preload_length 0
		.amdhsa_user_sgpr_kernarg_preload_offset 0
		.amdhsa_user_sgpr_private_segment_size 0
		.amdhsa_uses_dynamic_stack 0
		.amdhsa_enable_private_segment 0
		.amdhsa_system_sgpr_workgroup_id_x 1
		.amdhsa_system_sgpr_workgroup_id_y 1
		.amdhsa_system_sgpr_workgroup_id_z 1
		.amdhsa_system_sgpr_workgroup_info 0
		.amdhsa_system_vgpr_workitem_id 0
		.amdhsa_next_free_vgpr 18
		.amdhsa_next_free_sgpr 36
		.amdhsa_accum_offset 20
		.amdhsa_reserve_vcc 1
		.amdhsa_float_round_mode_32 0
		.amdhsa_float_round_mode_16_64 0
		.amdhsa_float_denorm_mode_32 3
		.amdhsa_float_denorm_mode_16_64 3
		.amdhsa_dx10_clamp 1
		.amdhsa_ieee_mode 1
		.amdhsa_fp16_overflow 0
		.amdhsa_tg_split 0
		.amdhsa_exception_fp_ieee_invalid_op 0
		.amdhsa_exception_fp_denorm_src 0
		.amdhsa_exception_fp_ieee_div_zero 0
		.amdhsa_exception_fp_ieee_overflow 0
		.amdhsa_exception_fp_ieee_underflow 0
		.amdhsa_exception_fp_ieee_inexact 0
		.amdhsa_exception_int_div_zero 0
	.end_amdhsa_kernel
	.section	.text._ZL33flash_attn_stream_k_fixup_generalILi112ELi8ELi4EEvPfPK15HIP_vector_typeIfLj2EEiiiiS1_IjLj3EES5_S5_S5_,"axG",@progbits,_ZL33flash_attn_stream_k_fixup_generalILi112ELi8ELi4EEvPfPK15HIP_vector_typeIfLj2EEiiiiS1_IjLj3EES5_S5_S5_,comdat
.Lfunc_end22:
	.size	_ZL33flash_attn_stream_k_fixup_generalILi112ELi8ELi4EEvPfPK15HIP_vector_typeIfLj2EEiiiiS1_IjLj3EES5_S5_S5_, .Lfunc_end22-_ZL33flash_attn_stream_k_fixup_generalILi112ELi8ELi4EEvPfPK15HIP_vector_typeIfLj2EEiiiiS1_IjLj3EES5_S5_S5_
                                        ; -- End function
	.set _ZL33flash_attn_stream_k_fixup_generalILi112ELi8ELi4EEvPfPK15HIP_vector_typeIfLj2EEiiiiS1_IjLj3EES5_S5_S5_.num_vgpr, 18
	.set _ZL33flash_attn_stream_k_fixup_generalILi112ELi8ELi4EEvPfPK15HIP_vector_typeIfLj2EEiiiiS1_IjLj3EES5_S5_S5_.num_agpr, 0
	.set _ZL33flash_attn_stream_k_fixup_generalILi112ELi8ELi4EEvPfPK15HIP_vector_typeIfLj2EEiiiiS1_IjLj3EES5_S5_S5_.numbered_sgpr, 36
	.set _ZL33flash_attn_stream_k_fixup_generalILi112ELi8ELi4EEvPfPK15HIP_vector_typeIfLj2EEiiiiS1_IjLj3EES5_S5_S5_.num_named_barrier, 0
	.set _ZL33flash_attn_stream_k_fixup_generalILi112ELi8ELi4EEvPfPK15HIP_vector_typeIfLj2EEiiiiS1_IjLj3EES5_S5_S5_.private_seg_size, 0
	.set _ZL33flash_attn_stream_k_fixup_generalILi112ELi8ELi4EEvPfPK15HIP_vector_typeIfLj2EEiiiiS1_IjLj3EES5_S5_S5_.uses_vcc, 1
	.set _ZL33flash_attn_stream_k_fixup_generalILi112ELi8ELi4EEvPfPK15HIP_vector_typeIfLj2EEiiiiS1_IjLj3EES5_S5_S5_.uses_flat_scratch, 0
	.set _ZL33flash_attn_stream_k_fixup_generalILi112ELi8ELi4EEvPfPK15HIP_vector_typeIfLj2EEiiiiS1_IjLj3EES5_S5_S5_.has_dyn_sized_stack, 0
	.set _ZL33flash_attn_stream_k_fixup_generalILi112ELi8ELi4EEvPfPK15HIP_vector_typeIfLj2EEiiiiS1_IjLj3EES5_S5_S5_.has_recursion, 0
	.set _ZL33flash_attn_stream_k_fixup_generalILi112ELi8ELi4EEvPfPK15HIP_vector_typeIfLj2EEiiiiS1_IjLj3EES5_S5_S5_.has_indirect_call, 0
	.section	.AMDGPU.csdata,"",@progbits
; Kernel info:
; codeLenInByte = 2944
; TotalNumSgprs: 42
; NumVgprs: 18
; NumAgprs: 0
; TotalNumVgprs: 18
; ScratchSize: 0
; MemoryBound: 0
; FloatMode: 240
; IeeeMode: 1
; LDSByteSize: 0 bytes/workgroup (compile time only)
; SGPRBlocks: 5
; VGPRBlocks: 2
; NumSGPRsForWavesPerEU: 42
; NumVGPRsForWavesPerEU: 18
; AccumOffset: 20
; Occupancy: 8
; WaveLimiterHint : 0
; COMPUTE_PGM_RSRC2:SCRATCH_EN: 0
; COMPUTE_PGM_RSRC2:USER_SGPR: 2
; COMPUTE_PGM_RSRC2:TRAP_HANDLER: 0
; COMPUTE_PGM_RSRC2:TGID_X_EN: 1
; COMPUTE_PGM_RSRC2:TGID_Y_EN: 1
; COMPUTE_PGM_RSRC2:TGID_Z_EN: 1
; COMPUTE_PGM_RSRC2:TIDIG_COMP_CNT: 0
; COMPUTE_PGM_RSRC3_GFX90A:ACCUM_OFFSET: 4
; COMPUTE_PGM_RSRC3_GFX90A:TG_SPLIT: 0
	.section	.text._ZL26flash_attn_combine_resultsILi112EEvPKfPK15HIP_vector_typeIfLj2EEPfi,"axG",@progbits,_ZL26flash_attn_combine_resultsILi112EEvPKfPK15HIP_vector_typeIfLj2EEPfi,comdat
	.globl	_ZL26flash_attn_combine_resultsILi112EEvPKfPK15HIP_vector_typeIfLj2EEPfi ; -- Begin function _ZL26flash_attn_combine_resultsILi112EEvPKfPK15HIP_vector_typeIfLj2EEPfi
	.p2align	8
	.type	_ZL26flash_attn_combine_resultsILi112EEvPKfPK15HIP_vector_typeIfLj2EEPfi,@function
_ZL26flash_attn_combine_resultsILi112EEvPKfPK15HIP_vector_typeIfLj2EEPfi: ; @_ZL26flash_attn_combine_resultsILi112EEvPKfPK15HIP_vector_typeIfLj2EEPfi
; %bb.0:
	s_load_dwordx2 s[6:7], s[0:1], 0x20
	s_load_dword s23, s[0:1], 0x18
	s_load_dwordx4 s[16:19], s[0:1], 0x0
	s_load_dwordx2 s[14:15], s[0:1], 0x10
	s_waitcnt lgkmcnt(0)
	s_mul_i32 s0, s6, s4
	s_add_i32 s0, s0, s2
	s_mul_i32 s22, s0, s7
	s_add_i32 s22, s22, s3
	s_lshl_b32 s12, s23, 1
	s_mul_i32 s2, s22, s23
	v_cmp_gt_i32_e32 vcc, s12, v0
	s_and_saveexec_b64 s[0:1], vcc
	s_cbranch_execz .LBB23_13
; %bb.1:
	v_xad_u32 v1, v0, -1, s12
	s_movk_i32 s4, 0x6f
	s_ashr_i32 s3, s2, 31
	v_cmp_lt_u32_e32 vcc, s4, v1
	s_mov_b64 s[6:7], -1
	v_mov_b32_e32 v2, v0
	s_and_saveexec_b64 s[4:5], vcc
	s_cbranch_execz .LBB23_10
; %bb.2:
	v_lshrrev_b32_e32 v1, 4, v1
	s_mov_b32 s6, 0x24924925
	v_mul_hi_u32 v6, v1, s6
	s_lshl_b64 s[6:7], s[2:3], 3
	v_add_u32_e32 v2, -1, v6
	s_add_u32 s6, s18, s6
	v_add_u32_e32 v1, 0x70, v0
	v_lshrrev_b32_e32 v3, 1, v2
	s_addc_u32 s7, s19, s7
	v_add_u32_e32 v7, 1, v3
	v_cmp_lt_u32_e32 vcc, 13, v2
	v_mov_b32_e32 v4, 0
	v_mov_b64_e32 v[2:3], v[0:1]
	s_and_saveexec_b64 s[8:9], vcc
	s_cbranch_execz .LBB23_6
; %bb.3:
	v_and_b32_e32 v8, -8, v7
	s_mov_b32 s13, 0
	v_lshl_add_u32 v9, v0, 2, 0
	s_mov_b64 s[10:11], 0
	v_mov_b32_e32 v5, 0
	v_mov_b64_e32 v[2:3], v[0:1]
.LBB23_4:                               ; =>This Inner Loop Header: Depth=1
	v_mov_b32_e32 v4, v2
	v_lshl_add_u64 v[24:25], v[4:5], 2, s[6:7]
	v_mov_b32_e32 v4, v3
	v_add_u32_e32 v10, 0xe0, v3
	v_mov_b32_e32 v11, v5
	v_lshl_add_u64 v[26:27], v[4:5], 2, s[6:7]
	v_add_u32_e32 v4, 0xe0, v2
	v_lshl_add_u64 v[10:11], v[10:11], 2, s[6:7]
	global_load_dword v1, v[24:25], off
	v_lshl_add_u64 v[24:25], v[4:5], 2, s[6:7]
	v_add_u32_e32 v4, 0x1c0, v2
	global_load_dword v28, v[26:27], off
	global_load_dword v29, v[24:25], off
	;; [unrolled: 1-line block ×3, first 2 shown]
	v_lshl_add_u64 v[10:11], v[4:5], 2, s[6:7]
	v_add_u32_e32 v4, 0x2a0, v2
	v_add_u32_e32 v12, 0x1c0, v3
	v_mov_b32_e32 v13, v5
	v_add_u32_e32 v14, 0x2a0, v3
	v_mov_b32_e32 v15, v5
	v_lshl_add_u64 v[24:25], v[4:5], 2, s[6:7]
	v_add_u32_e32 v4, 0x380, v2
	v_lshl_add_u64 v[12:13], v[12:13], 2, s[6:7]
	v_lshl_add_u64 v[14:15], v[14:15], 2, s[6:7]
	global_load_dword v26, v[10:11], off
	global_load_dword v27, v[12:13], off
	;; [unrolled: 1-line block ×4, first 2 shown]
	v_lshl_add_u64 v[10:11], v[4:5], 2, s[6:7]
	v_add_u32_e32 v4, 0x460, v2
	v_add_u32_e32 v16, 0x380, v3
	v_mov_b32_e32 v17, v5
	v_add_u32_e32 v18, 0x460, v3
	v_mov_b32_e32 v19, v5
	v_lshl_add_u64 v[12:13], v[4:5], 2, s[6:7]
	v_add_u32_e32 v4, 0x540, v2
	v_add_u32_e32 v20, 0x540, v3
	v_mov_b32_e32 v21, v5
	v_add_u32_e32 v22, 0x620, v3
	v_mov_b32_e32 v23, v5
	v_lshl_add_u64 v[16:17], v[16:17], 2, s[6:7]
	v_lshl_add_u64 v[18:19], v[18:19], 2, s[6:7]
	global_load_dword v14, v[10:11], off
	global_load_dword v15, v[16:17], off
	;; [unrolled: 1-line block ×4, first 2 shown]
	v_lshl_add_u64 v[10:11], v[4:5], 2, s[6:7]
	v_add_u32_e32 v4, 0x620, v2
	v_lshl_add_u64 v[20:21], v[20:21], 2, s[6:7]
	v_lshl_add_u64 v[22:23], v[22:23], 2, s[6:7]
	;; [unrolled: 1-line block ×3, first 2 shown]
	global_load_dword v16, v[10:11], off
	global_load_dword v17, v[20:21], off
	;; [unrolled: 1-line block ×4, first 2 shown]
	v_add_u32_e32 v8, -8, v8
	s_add_i32 s13, s13, 16
	v_cmp_eq_u32_e32 vcc, 0, v8
	v_add_u32_e32 v10, 0x200, v9
	v_add_u32_e32 v11, 0x600, v9
	;; [unrolled: 1-line block ×8, first 2 shown]
	v_mov_b32_e32 v4, s13
	s_or_b64 s[10:11], vcc, s[10:11]
	v_add_u32_e32 v2, 0x700, v2
	s_waitcnt vmcnt(14)
	ds_write2_b32 v9, v1, v28 offset1:112
	v_add_u32_e32 v9, 0x1c00, v9
	s_waitcnt vmcnt(12)
	ds_write2_b32 v10, v29, v30 offset0:96 offset1:208
	s_waitcnt vmcnt(10)
	ds_write2_b32 v11, v26, v27 offset0:64 offset1:176
	;; [unrolled: 2-line block ×7, first 2 shown]
	s_andn2_b64 exec, exec, s[10:11]
	s_cbranch_execnz .LBB23_4
; %bb.5:
	s_or_b64 exec, exec, s[10:11]
.LBB23_6:
	s_or_b64 exec, exec, s[8:9]
	v_and_b32_e32 v1, 7, v7
	v_cmp_ne_u32_e32 vcc, 0, v1
	s_and_saveexec_b64 s[8:9], vcc
	s_cbranch_execz .LBB23_9
; %bb.7:
	s_movk_i32 s10, 0x1c0
	v_mul_lo_u32 v4, v4, s10
	v_lshlrev_b32_e32 v5, 2, v0
	v_add3_u32 v7, v4, v5, 0
	s_mov_b64 s[10:11], 0
	v_mov_b32_e32 v5, 0
.LBB23_8:                               ; =>This Inner Loop Header: Depth=1
	v_mov_b32_e32 v4, v2
	v_lshl_add_u64 v[8:9], v[4:5], 2, s[6:7]
	v_mov_b32_e32 v4, v3
	v_lshl_add_u64 v[10:11], v[4:5], 2, s[6:7]
	global_load_dword v4, v[8:9], off
	global_load_dword v12, v[10:11], off
	v_add_u32_e32 v1, -1, v1
	v_cmp_eq_u32_e32 vcc, 0, v1
	v_add_u32_e32 v2, 0xe0, v2
	v_add_u32_e32 v3, 0xe0, v3
	s_or_b64 s[10:11], vcc, s[10:11]
	s_waitcnt vmcnt(0)
	ds_write2_b32 v7, v4, v12 offset1:112
	v_add_u32_e32 v7, 0x380, v7
	s_andn2_b64 exec, exec, s[10:11]
	s_cbranch_execnz .LBB23_8
.LBB23_9:
	s_or_b64 exec, exec, s[8:9]
	v_add_u32_e32 v1, 1, v6
	v_and_b32_e32 v4, 0x7fffffe, v1
	s_movk_i32 s6, 0x70
	v_mad_u64_u32 v[2:3], s[6:7], v4, s6, v[0:1]
	v_cmp_ne_u32_e32 vcc, v1, v4
	s_orn2_b64 s[6:7], vcc, exec
.LBB23_10:
	s_or_b64 exec, exec, s[4:5]
	s_and_b64 exec, exec, s[6:7]
	s_cbranch_execz .LBB23_13
; %bb.11:
	s_lshl_b64 s[4:5], s[2:3], 3
	s_add_u32 s4, s18, s4
	v_mov_b32_e32 v3, 0
	s_addc_u32 s5, s19, s5
	v_lshl_add_u64 v[4:5], v[2:3], 2, s[4:5]
	v_lshl_add_u32 v1, v2, 2, 0
	s_mov_b64 s[4:5], 0
	s_mov_b64 s[6:7], 0x1c0
.LBB23_12:                              ; =>This Inner Loop Header: Depth=1
	global_load_dword v3, v[4:5], off
	v_add_u32_e32 v2, 0x70, v2
	v_cmp_le_i32_e32 vcc, s12, v2
	v_lshl_add_u64 v[4:5], v[4:5], 0, s[6:7]
	s_or_b64 s[4:5], vcc, s[4:5]
	s_waitcnt vmcnt(0)
	ds_write_b32 v1, v3
	v_add_u32_e32 v1, 0x1c0, v1
	s_andn2_b64 exec, exec, s[4:5]
	s_cbranch_execnz .LBB23_12
.LBB23_13:
	s_or_b64 exec, exec, s[0:1]
	v_mov_b32_e32 v1, 0
	s_waitcnt lgkmcnt(0)
	s_barrier
	ds_read_b32 v1, v1
	s_cmp_lt_i32 s23, 2
	s_cbranch_scc1 .LBB23_21
; %bb.14:
	s_cmp_eq_u32 s23, 2
	s_cbranch_scc1 .LBB23_18
; %bb.15:
	s_add_i32 s3, s23, -1
	s_and_b32 s4, s3, -2
	s_add_i32 s6, 0, 8
	s_mov_b32 s5, 2
	s_waitcnt lgkmcnt(0)
	v_mov_b32_e32 v4, v1
.LBB23_16:                              ; =>This Inner Loop Header: Depth=1
	v_mov_b32_e32 v2, v1
	v_mov_b32_e32 v1, s6
	;; [unrolled: 1-line block ×3, first 2 shown]
	ds_read2_b32 v[4:5], v1 offset1:2
	s_cmp_lg_u32 s4, s5
	s_cselect_b64 s[8:9], -1, 0
	v_max_f32_e32 v1, v3, v3
	v_max_f32_e32 v6, v2, v2
	s_waitcnt lgkmcnt(0)
	v_cmp_u_f32_e32 vcc, v5, v5
	v_max_f32_e32 v7, v5, v5
	v_max_f32_e32 v8, v4, v4
	v_cndmask_b32_e64 v5, 0, 1, vcc
	v_cmp_u_f32_e32 vcc, v4, v4
	v_readfirstlane_b32 s0, v5
	s_lshl_b32 s0, s0, 1
	v_cndmask_b32_e64 v9, 0, 1, vcc
	v_max_f32_e32 v4, v1, v7
	v_readfirstlane_b32 s1, v9
	s_or_b32 s0, s1, s0
	s_and_b32 s7, s0, 3
	s_cmp_lg_u32 s7, 0
	s_cselect_b64 s[0:1], -1, 0
	s_cmp_eq_u32 s7, 0
	s_cselect_b64 s[10:11], -1, 0
	s_and_b64 s[8:9], s[10:11], s[8:9]
	v_max_f32_e32 v1, v6, v8
	s_add_i32 s5, s5, 2
	s_add_i32 s6, s6, 16
	s_and_b64 vcc, exec, s[8:9]
	s_cbranch_vccnz .LBB23_16
; %bb.17:
	s_add_i32 s5, s5, -4
	s_and_b64 s[6:7], s[0:1], exec
	s_cselect_b32 s5, s5, s3
	s_or_b32 s5, s5, 1
	v_cndmask_b32_e64 v1, v1, v2, s[0:1]
	v_cndmask_b32_e64 v2, v4, v3, s[0:1]
	s_cmp_lg_u32 s3, s4
	v_max_f32_e32 v2, v2, v2
	v_max_f32_e32 v1, v1, v1
	s_cselect_b64 s[6:7], -1, 0
	v_max_f32_e32 v1, v1, v2
	s_or_b64 s[0:1], s[6:7], s[0:1]
	s_and_b64 vcc, exec, s[0:1]
	s_cbranch_vccnz .LBB23_19
	s_branch .LBB23_21
.LBB23_18:
	s_mov_b32 s5, 1
	s_cbranch_execz .LBB23_21
.LBB23_19:
	s_lshl_b32 s1, s5, 3
	s_sub_i32 s0, s23, s5
	s_add_i32 s1, s1, 0
.LBB23_20:                              ; =>This Inner Loop Header: Depth=1
	v_mov_b32_e32 v2, s1
	ds_read_b32 v2, v2
	s_waitcnt lgkmcnt(1)
	v_max_f32_e32 v1, v1, v1
	s_add_i32 s0, s0, -1
	s_add_i32 s1, s1, 8
	s_cmp_eq_u32 s0, 0
	s_waitcnt lgkmcnt(0)
	v_max_f32_e32 v2, v2, v2
	v_max_f32_e32 v1, v1, v2
	s_cbranch_scc0 .LBB23_20
.LBB23_21:
	s_cmp_lt_i32 s23, 1
	s_cbranch_scc1 .LBB23_26
; %bb.22:
	s_mul_i32 s18, s2, 0x70
	s_ashr_i32 s19, s18, 31
	s_cmp_lt_u32 s23, 8
	s_cbranch_scc1 .LBB23_27
; %bb.23:
	s_lshl_b64 s[0:1], s[18:19], 2
	s_add_u32 s20, s16, s0
	v_mov_b32_e32 v7, 0
	s_addc_u32 s21, s17, s1
	s_and_b32 s24, s23, 0x7ffffff8
	v_add_u32_e32 v4, 0x1c0, v0
	s_mov_b32 s25, 0
	s_mov_b32 s26, 0x3fb8aa3b
	;; [unrolled: 1-line block ×4, first 2 shown]
	v_mov_b32_e32 v8, 0x7f800000
	s_mov_b32 s29, 0
	v_mov_b32_e32 v2, v7
	v_mov_b32_e32 v3, v7
.LBB23_24:                              ; =>This Inner Loop Header: Depth=1
	v_add_u32_e32 v6, 0xfffffe40, v4
	v_mov_b32_e32 v9, s25
	v_lshl_add_u64 v[26:27], v[6:7], 2, s[20:21]
	v_add_u32_e32 v6, 0xfffffeb0, v4
	ds_read2_b64 v[10:13], v9 offset1:1
	ds_read2_b64 v[14:17], v9 offset0:2 offset1:3
	ds_read2_b64 v[18:21], v9 offset0:4 offset1:5
	;; [unrolled: 1-line block ×3, first 2 shown]
	v_lshl_add_u64 v[30:31], v[6:7], 2, s[20:21]
	v_add_u32_e32 v6, 0xffffff20, v4
	global_load_dword v33, v[26:27], off
	global_load_dword v35, v[30:31], off
	v_lshl_add_u64 v[26:27], v[6:7], 2, s[20:21]
	v_add_u32_e32 v6, 0xffffff90, v4
	v_mov_b32_e32 v5, v7
	v_lshl_add_u64 v[30:31], v[6:7], 2, s[20:21]
	v_add_u32_e32 v6, 0x70, v4
	v_lshl_add_u64 v[28:29], v[4:5], 2, s[20:21]
	global_load_dword v37, v[26:27], off
	global_load_dword v39, v[30:31], off
	;; [unrolled: 1-line block ×3, first 2 shown]
	v_lshl_add_u64 v[26:27], v[6:7], 2, s[20:21]
	v_add_u32_e32 v6, 0xe0, v4
	s_waitcnt lgkmcnt(3)
	v_mov_b32_e32 v32, v11
	v_sub_f32_e32 v9, v12, v1
	v_mov_b32_e32 v34, v13
	global_load_dword v11, v[26:27], off
	v_lshl_add_u64 v[12:13], v[6:7], 2, s[20:21]
	v_add_u32_e32 v6, 0x150, v4
	s_waitcnt lgkmcnt(2)
	v_mov_b32_e32 v36, v15
	global_load_dword v15, v[12:13], off
	v_lshl_add_u64 v[12:13], v[6:7], 2, s[20:21]
	v_mov_b32_e32 v38, v17
	global_load_dword v17, v[12:13], off
	v_sub_f32_e32 v5, v10, v1
	s_waitcnt lgkmcnt(1)
	v_mov_b32_e32 v40, v19
	v_sub_f32_e32 v19, v20, v1
	s_waitcnt lgkmcnt(0)
	v_sub_f32_e32 v20, v22, v1
	v_mul_f32_e32 v22, 0x3fb8aa3b, v5
	v_sub_f32_e32 v28, v14, v1
	v_sub_f32_e32 v29, v16, v1
	v_mov_b32_e32 v14, v23
	v_mul_f32_e32 v23, 0x3fb8aa3b, v9
	v_fma_f32 v6, v5, s26, -v22
	v_rndne_f32_e32 v42, v22
	v_sub_f32_e32 v18, v18, v1
	v_mov_b32_e32 v10, v21
	v_sub_f32_e32 v21, v24, v1
	v_mov_b32_e32 v16, v25
	v_mul_f32_e32 v24, 0x3fb8aa3b, v28
	v_mul_f32_e32 v25, 0x3fb8aa3b, v29
	v_fma_f32 v43, v9, s26, -v23
	v_rndne_f32_e32 v44, v23
	v_fmac_f32_e32 v6, 0x32a5705f, v5
	v_sub_f32_e32 v12, v22, v42
	v_mul_f32_e32 v26, 0x3fb8aa3b, v18
	v_mul_f32_e32 v27, 0x3fb8aa3b, v19
	;; [unrolled: 1-line block ×3, first 2 shown]
	v_fma_f32 v45, v28, s26, -v24
	v_rndne_f32_e32 v46, v24
	v_fma_f32 v47, v29, s26, -v25
	v_rndne_f32_e32 v48, v25
	v_fmac_f32_e32 v43, 0x32a5705f, v9
	v_sub_f32_e32 v22, v23, v44
	v_add_f32_e32 v6, v12, v6
	v_fma_f32 v49, v18, s26, -v26
	v_rndne_f32_e32 v50, v26
	v_fma_f32 v51, v19, s26, -v27
	v_rndne_f32_e32 v52, v27
	;; [unrolled: 2-line block ×3, first 2 shown]
	v_cvt_i32_f32_e32 v13, v42
	v_fmac_f32_e32 v45, 0x32a5705f, v28
	v_sub_f32_e32 v24, v24, v46
	v_fmac_f32_e32 v47, 0x32a5705f, v29
	v_sub_f32_e32 v25, v25, v48
	v_add_f32_e32 v12, v22, v43
	v_exp_f32_e32 v6, v6
	v_cvt_i32_f32_e32 v23, v44
	v_fmac_f32_e32 v49, 0x32a5705f, v18
	v_sub_f32_e32 v26, v26, v50
	v_fmac_f32_e32 v51, 0x32a5705f, v19
	v_sub_f32_e32 v27, v27, v52
	;; [unrolled: 2-line block ×3, first 2 shown]
	v_add_f32_e32 v22, v24, v45
	v_add_f32_e32 v24, v25, v47
	v_exp_f32_e32 v12, v12
	v_mul_f32_e32 v31, 0x3fb8aa3b, v21
	v_cvt_i32_f32_e32 v42, v46
	v_cvt_i32_f32_e32 v44, v48
	v_add_f32_e32 v25, v26, v49
	v_add_f32_e32 v26, v27, v51
	;; [unrolled: 1-line block ×3, first 2 shown]
	v_exp_f32_e32 v22, v22
	v_exp_f32_e32 v24, v24
	v_fma_f32 v55, v21, s26, -v31
	v_rndne_f32_e32 v56, v31
	v_cvt_i32_f32_e32 v46, v50
	v_cvt_i32_f32_e32 v48, v52
	;; [unrolled: 1-line block ×3, first 2 shown]
	v_exp_f32_e32 v25, v25
	v_exp_f32_e32 v26, v26
	;; [unrolled: 1-line block ×3, first 2 shown]
	v_fmac_f32_e32 v55, 0x32a5705f, v21
	v_sub_f32_e32 v31, v31, v56
	v_ldexp_f32 v6, v6, v13
	v_cmp_ngt_f32_e64 s[12:13], s27, v5
	v_add_f32_e32 v30, v31, v55
	v_ldexp_f32 v12, v12, v23
	v_cmp_ngt_f32_e32 vcc, s27, v9
	v_cndmask_b32_e64 v6, 0, v6, s[12:13]
	v_cmp_nlt_f32_e64 s[12:13], s28, v5
	v_cvt_i32_f32_e32 v52, v56
	v_exp_f32_e32 v30, v30
	v_ldexp_f32 v13, v22, v42
	v_cmp_ngt_f32_e64 s[0:1], s27, v28
	v_ldexp_f32 v22, v24, v44
	v_cmp_ngt_f32_e64 s[2:3], s27, v29
	v_cndmask_b32_e32 v12, 0, v12, vcc
	v_cmp_nlt_f32_e32 vcc, s28, v9
	v_cndmask_b32_e64 v6, v8, v6, s[12:13]
	v_ldexp_f32 v23, v25, v46
	v_cmp_ngt_f32_e64 s[4:5], s27, v18
	v_ldexp_f32 v24, v26, v48
	v_cmp_ngt_f32_e64 s[6:7], s27, v19
	;; [unrolled: 2-line block ×3, first 2 shown]
	v_cndmask_b32_e64 v9, 0, v13, s[0:1]
	v_cmp_nlt_f32_e64 s[0:1], s28, v28
	v_cndmask_b32_e64 v13, 0, v22, s[2:3]
	v_cndmask_b32_e32 v12, v8, v12, vcc
	s_waitcnt vmcnt(7)
	v_pk_fma_f32 v[2:3], v[6:7], v[32:33], v[2:3] op_sel_hi:[0,1,1]
	v_cmp_nlt_f32_e64 s[2:3], s28, v29
	v_cndmask_b32_e64 v22, 0, v23, s[4:5]
	v_cmp_nlt_f32_e64 s[4:5], s28, v18
	v_cndmask_b32_e64 v23, 0, v24, s[6:7]
	;; [unrolled: 2-line block ×3, first 2 shown]
	v_cndmask_b32_e64 v18, v8, v9, s[0:1]
	s_waitcnt vmcnt(6)
	v_pk_fma_f32 v[2:3], v[12:13], v[34:35], v[2:3] op_sel_hi:[0,1,1]
	v_cmp_nlt_f32_e64 s[8:9], s28, v20
	v_cndmask_b32_e64 v20, v8, v13, s[2:3]
	s_waitcnt vmcnt(5)
	v_pk_fma_f32 v[2:3], v[18:19], v[36:37], v[2:3] op_sel_hi:[0,1,1]
	v_ldexp_f32 v26, v30, v52
	v_cmp_ngt_f32_e64 s[10:11], s27, v21
	v_cndmask_b32_e64 v22, v8, v22, s[4:5]
	s_waitcnt vmcnt(4)
	v_pk_fma_f32 v[2:3], v[20:21], v[38:39], v[2:3] op_sel_hi:[0,1,1]
	v_cndmask_b32_e64 v25, 0, v26, s[10:11]
	v_cndmask_b32_e64 v24, v8, v23, s[6:7]
	s_waitcnt vmcnt(3)
	v_pk_fma_f32 v[2:3], v[22:23], v[40:41], v[2:3] op_sel_hi:[0,1,1]
	v_cmp_nlt_f32_e64 s[10:11], s28, v21
	v_cndmask_b32_e64 v26, v8, v19, s[8:9]
	s_waitcnt vmcnt(2)
	v_pk_fma_f32 v[2:3], v[24:25], v[10:11], v[2:3] op_sel_hi:[0,1,1]
	s_add_i32 s29, s29, 8
	s_add_i32 s25, s25, 64
	v_cndmask_b32_e64 v28, v8, v25, s[10:11]
	s_waitcnt vmcnt(1)
	v_pk_fma_f32 v[2:3], v[26:27], v[14:15], v[2:3] op_sel_hi:[0,1,1]
	s_cmp_eq_u32 s24, s29
	v_add_u32_e32 v4, 0x380, v4
	s_waitcnt vmcnt(0)
	v_pk_fma_f32 v[2:3], v[28:29], v[16:17], v[2:3] op_sel_hi:[0,1,1]
	s_cbranch_scc0 .LBB23_24
; %bb.25:
	s_and_b32 s2, s23, 7
	s_cmp_eq_u32 s2, 0
	s_cbranch_scc0 .LBB23_28
	s_branch .LBB23_30
.LBB23_26:
	s_waitcnt lgkmcnt(0)
	v_mov_b32_e32 v1, 0x7fc00000
	s_branch .LBB23_31
.LBB23_27:
	v_mov_b32_e32 v2, 0
	s_mov_b32 s24, 0
	v_mov_b32_e32 v3, v2
	s_and_b32 s2, s23, 7
	s_cmp_eq_u32 s2, 0
	s_cbranch_scc1 .LBB23_30
.LBB23_28:
	s_lshl_b64 s[0:1], s[18:19], 2
	s_mul_i32 s3, s24, 0x70
	s_add_u32 s0, s16, s0
	v_add_u32_e32 v4, s3, v0
	v_mov_b32_e32 v5, 0
	s_addc_u32 s1, s17, s1
	v_lshl_add_u64 v[4:5], v[4:5], 2, s[0:1]
	s_lshl_b32 s0, s24, 3
	s_add_i32 s3, s0, 0
	s_mov_b32 s4, 0x3fb8aa3b
	s_mov_b32 s5, 0xc2ce8ed0
	;; [unrolled: 1-line block ×3, first 2 shown]
	v_mov_b32_e32 v6, 0x7f800000
	s_mov_b64 s[0:1], 0x1c0
.LBB23_29:                              ; =>This Inner Loop Header: Depth=1
	global_load_dword v9, v[4:5], off
	v_mov_b32_e32 v7, s3
	ds_read_b64 v[10:11], v7
	s_add_i32 s3, s3, 8
	s_add_i32 s2, s2, -1
	v_lshl_add_u64 v[4:5], v[4:5], 0, s[0:1]
	s_cmp_lg_u32 s2, 0
	s_waitcnt lgkmcnt(0)
	v_sub_f32_e32 v7, v10, v1
	v_mul_f32_e32 v8, 0x3fb8aa3b, v7
	v_fma_f32 v10, v7, s4, -v8
	v_rndne_f32_e32 v12, v8
	v_fmac_f32_e32 v10, 0x32a5705f, v7
	v_sub_f32_e32 v8, v8, v12
	v_add_f32_e32 v8, v8, v10
	v_cvt_i32_f32_e32 v12, v12
	v_exp_f32_e32 v10, v8
	v_cmp_ngt_f32_e32 vcc, s5, v7
	v_mov_b32_e32 v8, v11
	v_ldexp_f32 v10, v10, v12
	v_cndmask_b32_e32 v10, 0, v10, vcc
	v_cmp_nlt_f32_e32 vcc, s6, v7
	s_nop 1
	v_cndmask_b32_e32 v10, v6, v10, vcc
	s_waitcnt vmcnt(0)
	v_pk_fma_f32 v[2:3], v[10:11], v[8:9], v[2:3] op_sel_hi:[0,1,1]
	s_cbranch_scc1 .LBB23_29
.LBB23_30:
	s_waitcnt lgkmcnt(0)
	v_div_scale_f32 v1, s[0:1], v2, v2, v3
	v_rcp_f32_e32 v4, v1
	v_div_scale_f32 v5, vcc, v3, v2, v3
	v_fma_f32 v6, -v1, v4, 1.0
	v_fmac_f32_e32 v4, v6, v4
	v_mul_f32_e32 v6, v5, v4
	v_fma_f32 v7, -v1, v6, v5
	v_fmac_f32_e32 v6, v7, v4
	v_fma_f32 v1, -v1, v6, v5
	v_div_fmas_f32 v1, v1, v4, v6
	v_div_fixup_f32 v1, v1, v2, v3
.LBB23_31:
	s_mul_i32 s0, s22, 0x70
	s_ashr_i32 s1, s0, 31
	s_lshl_b64 s[0:1], s[0:1], 2
	s_add_u32 s0, s14, s0
	s_addc_u32 s1, s15, s1
	v_lshlrev_b32_e32 v0, 2, v0
	global_store_dword v0, v1, s[0:1]
	s_endpgm
	.section	.rodata,"a",@progbits
	.p2align	6, 0x0
	.amdhsa_kernel _ZL26flash_attn_combine_resultsILi112EEvPKfPK15HIP_vector_typeIfLj2EEPfi
		.amdhsa_group_segment_fixed_size 0
		.amdhsa_private_segment_fixed_size 0
		.amdhsa_kernarg_size 288
		.amdhsa_user_sgpr_count 2
		.amdhsa_user_sgpr_dispatch_ptr 0
		.amdhsa_user_sgpr_queue_ptr 0
		.amdhsa_user_sgpr_kernarg_segment_ptr 1
		.amdhsa_user_sgpr_dispatch_id 0
		.amdhsa_user_sgpr_kernarg_preload_length 0
		.amdhsa_user_sgpr_kernarg_preload_offset 0
		.amdhsa_user_sgpr_private_segment_size 0
		.amdhsa_uses_dynamic_stack 0
		.amdhsa_enable_private_segment 0
		.amdhsa_system_sgpr_workgroup_id_x 1
		.amdhsa_system_sgpr_workgroup_id_y 1
		.amdhsa_system_sgpr_workgroup_id_z 1
		.amdhsa_system_sgpr_workgroup_info 0
		.amdhsa_system_vgpr_workitem_id 0
		.amdhsa_next_free_vgpr 57
		.amdhsa_next_free_sgpr 30
		.amdhsa_accum_offset 60
		.amdhsa_reserve_vcc 1
		.amdhsa_float_round_mode_32 0
		.amdhsa_float_round_mode_16_64 0
		.amdhsa_float_denorm_mode_32 3
		.amdhsa_float_denorm_mode_16_64 3
		.amdhsa_dx10_clamp 1
		.amdhsa_ieee_mode 1
		.amdhsa_fp16_overflow 0
		.amdhsa_tg_split 0
		.amdhsa_exception_fp_ieee_invalid_op 0
		.amdhsa_exception_fp_denorm_src 0
		.amdhsa_exception_fp_ieee_div_zero 0
		.amdhsa_exception_fp_ieee_overflow 0
		.amdhsa_exception_fp_ieee_underflow 0
		.amdhsa_exception_fp_ieee_inexact 0
		.amdhsa_exception_int_div_zero 0
	.end_amdhsa_kernel
	.section	.text._ZL26flash_attn_combine_resultsILi112EEvPKfPK15HIP_vector_typeIfLj2EEPfi,"axG",@progbits,_ZL26flash_attn_combine_resultsILi112EEvPKfPK15HIP_vector_typeIfLj2EEPfi,comdat
.Lfunc_end23:
	.size	_ZL26flash_attn_combine_resultsILi112EEvPKfPK15HIP_vector_typeIfLj2EEPfi, .Lfunc_end23-_ZL26flash_attn_combine_resultsILi112EEvPKfPK15HIP_vector_typeIfLj2EEPfi
                                        ; -- End function
	.set _ZL26flash_attn_combine_resultsILi112EEvPKfPK15HIP_vector_typeIfLj2EEPfi.num_vgpr, 57
	.set _ZL26flash_attn_combine_resultsILi112EEvPKfPK15HIP_vector_typeIfLj2EEPfi.num_agpr, 0
	.set _ZL26flash_attn_combine_resultsILi112EEvPKfPK15HIP_vector_typeIfLj2EEPfi.numbered_sgpr, 30
	.set _ZL26flash_attn_combine_resultsILi112EEvPKfPK15HIP_vector_typeIfLj2EEPfi.num_named_barrier, 0
	.set _ZL26flash_attn_combine_resultsILi112EEvPKfPK15HIP_vector_typeIfLj2EEPfi.private_seg_size, 0
	.set _ZL26flash_attn_combine_resultsILi112EEvPKfPK15HIP_vector_typeIfLj2EEPfi.uses_vcc, 1
	.set _ZL26flash_attn_combine_resultsILi112EEvPKfPK15HIP_vector_typeIfLj2EEPfi.uses_flat_scratch, 0
	.set _ZL26flash_attn_combine_resultsILi112EEvPKfPK15HIP_vector_typeIfLj2EEPfi.has_dyn_sized_stack, 0
	.set _ZL26flash_attn_combine_resultsILi112EEvPKfPK15HIP_vector_typeIfLj2EEPfi.has_recursion, 0
	.set _ZL26flash_attn_combine_resultsILi112EEvPKfPK15HIP_vector_typeIfLj2EEPfi.has_indirect_call, 0
	.section	.AMDGPU.csdata,"",@progbits
; Kernel info:
; codeLenInByte = 3040
; TotalNumSgprs: 36
; NumVgprs: 57
; NumAgprs: 0
; TotalNumVgprs: 57
; ScratchSize: 0
; MemoryBound: 0
; FloatMode: 240
; IeeeMode: 1
; LDSByteSize: 0 bytes/workgroup (compile time only)
; SGPRBlocks: 4
; VGPRBlocks: 7
; NumSGPRsForWavesPerEU: 36
; NumVGPRsForWavesPerEU: 57
; AccumOffset: 60
; Occupancy: 8
; WaveLimiterHint : 0
; COMPUTE_PGM_RSRC2:SCRATCH_EN: 0
; COMPUTE_PGM_RSRC2:USER_SGPR: 2
; COMPUTE_PGM_RSRC2:TRAP_HANDLER: 0
; COMPUTE_PGM_RSRC2:TGID_X_EN: 1
; COMPUTE_PGM_RSRC2:TGID_Y_EN: 1
; COMPUTE_PGM_RSRC2:TGID_Z_EN: 1
; COMPUTE_PGM_RSRC2:TIDIG_COMP_CNT: 0
; COMPUTE_PGM_RSRC3_GFX90A:ACCUM_OFFSET: 14
; COMPUTE_PGM_RSRC3_GFX90A:TG_SPLIT: 0
	.section	.text._ZL18flash_attn_ext_f16ILi128ELi128ELi8ELi4ELb0ELb0EEvPKcS1_S1_S1_S1_PKiPfP15HIP_vector_typeIfLj2EEffffjfiS5_IjLj3EEiiiiiiiiiiiliiliiiiil,"axG",@progbits,_ZL18flash_attn_ext_f16ILi128ELi128ELi8ELi4ELb0ELb0EEvPKcS1_S1_S1_S1_PKiPfP15HIP_vector_typeIfLj2EEffffjfiS5_IjLj3EEiiiiiiiiiiiliiliiiiil,comdat
	.globl	_ZL18flash_attn_ext_f16ILi128ELi128ELi8ELi4ELb0ELb0EEvPKcS1_S1_S1_S1_PKiPfP15HIP_vector_typeIfLj2EEffffjfiS5_IjLj3EEiiiiiiiiiiiliiliiiiil ; -- Begin function _ZL18flash_attn_ext_f16ILi128ELi128ELi8ELi4ELb0ELb0EEvPKcS1_S1_S1_S1_PKiPfP15HIP_vector_typeIfLj2EEffffjfiS5_IjLj3EEiiiiiiiiiiiliiliiiiil
	.p2align	8
	.type	_ZL18flash_attn_ext_f16ILi128ELi128ELi8ELi4ELb0ELb0EEvPKcS1_S1_S1_S1_PKiPfP15HIP_vector_typeIfLj2EEffffjfiS5_IjLj3EEiiiiiiiiiiiliiliiiiil,@function
_ZL18flash_attn_ext_f16ILi128ELi128ELi8ELi4ELb0ELb0EEvPKcS1_S1_S1_S1_PKiPfP15HIP_vector_typeIfLj2EEffffjfiS5_IjLj3EEiiiiiiiiiiiliiliiiiil: ; @_ZL18flash_attn_ext_f16ILi128ELi128ELi8ELi4ELb0ELb0EEvPKcS1_S1_S1_S1_PKiPfP15HIP_vector_typeIfLj2EEffffjfiS5_IjLj3EEiiiiiiiiiiiliiliiiiil
; %bb.0:
	s_load_dwordx2 s[4:5], s[0:1], 0x80
	s_load_dwordx4 s[36:39], s[0:1], 0x64
	s_mov_b32 s56, s2
	s_load_dword s57, s[0:1], 0xd0
                                        ; implicit-def: $vgpr215 : SGPR spill to VGPR lane
	s_mov_b32 s6, 0
	s_waitcnt lgkmcnt(0)
	s_abs_i32 s2, s5
	v_cvt_f32_u32_e32 v1, s2
	s_sub_i32 s8, 0, s2
	s_abs_i32 s7, s37
	s_xor_b32 s3, s37, s5
	v_rcp_iflag_f32_e32 v1, v1
	s_ashr_i32 s3, s3, 31
	v_mul_f32_e32 v1, 0x4f7ffffe, v1
	v_cvt_u32_f32_e32 v1, v1
	s_nop 0
	v_readfirstlane_b32 s9, v1
	s_mul_i32 s8, s8, s9
	s_mul_hi_u32 s8, s9, s8
	s_add_i32 s9, s9, s8
	s_mul_hi_u32 s8, s7, s9
	s_mul_i32 s9, s8, s2
	s_sub_i32 s7, s7, s9
	s_add_i32 s10, s8, 1
	s_sub_i32 s9, s7, s2
	s_cmp_ge_u32 s7, s2
	s_cselect_b32 s8, s10, s8
	s_cselect_b32 s7, s9, s7
	s_add_i32 s9, s8, 1
	s_cmp_ge_u32 s7, s2
	s_cselect_b32 s2, s9, s8
	s_add_i32 s4, s4, 63
	s_xor_b32 s2, s2, s3
	s_ashr_i32 s7, s4, 31
	s_sub_i32 s3, s2, s3
	s_lshr_b32 s2, s7, 26
	s_add_i32 s4, s4, s2
	s_add_i32 s2, s36, 7
	s_lshr_b32 s7, s2, 3
	s_add_i32 s2, s3, 3
	s_ashr_i32 s90, s4, 6
	s_ashr_i32 s4, s2, 31
	s_lshr_b32 s4, s4, 30
	s_add_i32 s2, s2, s4
	s_ashr_i32 s2, s2, 2
	s_mul_i32 s87, s7, s90
	s_mul_i32 s88, s87, s2
	;; [unrolled: 1-line block ×4, first 2 shown]
	s_ashr_i32 s10, s2, 31
	s_mul_i32 s4, s10, s56
	s_mul_hi_u32 s5, s2, s56
	v_writelane_b32 v215, s7, 0
	s_add_i32 s7, s5, s4
	s_cmp_lg_u64 s[6:7], 0
	s_mul_i32 s6, s2, s56
	s_cbranch_scc0 .LBB24_310
; %bb.1:
	s_add_u32 s4, s57, 0
	s_addc_u32 s5, 0, 0
	s_xor_b64 s[8:9], s[4:5], 0
	v_cvt_f32_u32_e32 v1, s8
	v_cvt_f32_u32_e32 v2, s9
	s_sub_u32 s11, 0, s8
	s_subb_u32 s14, 0, s9
	v_fmamk_f32 v1, v2, 0x4f800000, v1
	v_rcp_f32_e32 v1, v1
	s_nop 0
	v_mul_f32_e32 v1, 0x5f7ffffc, v1
	v_mul_f32_e32 v2, 0x2f800000, v1
	v_trunc_f32_e32 v2, v2
	v_fmamk_f32 v1, v2, 0xcf800000, v1
	v_cvt_u32_f32_e32 v2, v2
	v_cvt_u32_f32_e32 v1, v1
	v_readfirstlane_b32 s15, v2
	v_readfirstlane_b32 s12, v1
	s_mul_i32 s13, s11, s15
	s_mul_hi_u32 s17, s11, s12
	s_mul_i32 s16, s14, s12
	s_add_i32 s13, s17, s13
	s_add_i32 s13, s13, s16
	s_mul_i32 s18, s11, s12
	s_mul_i32 s17, s12, s13
	s_mul_hi_u32 s19, s12, s18
	s_mul_hi_u32 s16, s12, s13
	s_add_u32 s17, s19, s17
	s_addc_u32 s16, 0, s16
	s_mul_hi_u32 s20, s15, s18
	s_mul_i32 s18, s15, s18
	s_add_u32 s17, s17, s18
	s_mul_hi_u32 s19, s15, s13
	s_addc_u32 s16, s16, s20
	s_addc_u32 s17, s19, 0
	s_mul_i32 s13, s15, s13
	s_add_u32 s13, s16, s13
	s_addc_u32 s16, 0, s17
	s_add_u32 s17, s12, s13
	s_cselect_b64 s[12:13], -1, 0
	s_cmp_lg_u64 s[12:13], 0
	s_addc_u32 s15, s15, s16
	s_mul_i32 s12, s11, s15
	s_mul_hi_u32 s13, s11, s17
	s_add_i32 s12, s13, s12
	s_mul_i32 s14, s14, s17
	s_add_i32 s12, s12, s14
	s_mul_i32 s11, s11, s17
	s_mul_hi_u32 s14, s15, s11
	s_mul_i32 s16, s15, s11
	s_mul_i32 s19, s17, s12
	s_mul_hi_u32 s11, s17, s11
	s_mul_hi_u32 s18, s17, s12
	s_add_u32 s11, s11, s19
	s_addc_u32 s18, 0, s18
	s_add_u32 s11, s11, s16
	s_mul_hi_u32 s13, s15, s12
	s_addc_u32 s11, s18, s14
	s_addc_u32 s13, s13, 0
	s_mul_i32 s12, s15, s12
	s_add_u32 s11, s11, s12
	s_addc_u32 s14, 0, s13
	s_add_u32 s11, s17, s11
	s_cselect_b64 s[12:13], -1, 0
	s_cmp_lg_u64 s[12:13], 0
	s_addc_u32 s16, s15, s14
	s_ashr_i32 s12, s7, 31
	s_add_u32 s14, s6, s12
	s_mov_b32 s13, s12
	s_addc_u32 s15, s7, s12
	s_xor_b64 s[14:15], s[14:15], s[12:13]
	s_mul_i32 s17, s14, s16
	s_mul_hi_u32 s18, s14, s11
	s_mul_hi_u32 s7, s14, s16
	s_add_u32 s17, s18, s17
	s_addc_u32 s7, 0, s7
	s_mul_hi_u32 s19, s15, s11
	s_mul_i32 s11, s15, s11
	s_add_u32 s11, s17, s11
	s_mul_hi_u32 s18, s15, s16
	s_addc_u32 s7, s7, s19
	s_addc_u32 s11, s18, 0
	s_mul_i32 s16, s15, s16
	s_add_u32 s7, s7, s16
	s_addc_u32 s11, 0, s11
	s_mul_i32 s16, s8, s11
	s_mul_hi_u32 s17, s8, s7
	s_add_i32 s16, s17, s16
	s_mul_i32 s17, s9, s7
	s_add_i32 s20, s16, s17
	s_sub_i32 s18, s15, s20
	s_mul_i32 s16, s8, s7
	s_sub_u32 s14, s14, s16
	s_cselect_b64 s[16:17], -1, 0
	s_cmp_lg_u64 s[16:17], 0
	s_subb_u32 s21, s18, s9
	s_sub_u32 s22, s14, s8
	s_cselect_b64 s[18:19], -1, 0
	s_cmp_lg_u64 s[18:19], 0
	s_subb_u32 s18, s21, 0
	s_cmp_ge_u32 s18, s9
	s_cselect_b32 s19, -1, 0
	s_cmp_ge_u32 s22, s8
	s_cselect_b32 s21, -1, 0
	s_cmp_eq_u32 s18, s9
	s_cselect_b32 s18, s21, s19
	s_add_u32 s19, s7, 1
	s_addc_u32 s21, s11, 0
	s_add_u32 s22, s7, 2
	s_addc_u32 s23, s11, 0
	s_cmp_lg_u32 s18, 0
	s_cselect_b32 s18, s22, s19
	s_cselect_b32 s19, s23, s21
	s_cmp_lg_u64 s[16:17], 0
	s_subb_u32 s15, s15, s20
	s_cmp_ge_u32 s15, s9
	s_cselect_b32 s16, -1, 0
	s_cmp_ge_u32 s14, s8
	s_cselect_b32 s8, -1, 0
	s_cmp_eq_u32 s15, s9
	s_cselect_b32 s8, s8, s16
	s_cmp_lg_u32 s8, 0
	s_cselect_b32 s9, s19, s11
	s_cselect_b32 s8, s18, s7
	s_xor_b64 s[12:13], s[12:13], 0
	s_xor_b64 s[8:9], s[8:9], s[12:13]
	s_sub_u32 s54, s8, s12
	s_load_dwordx2 s[52:53], s[0:1], 0x74
	v_cvt_f32_u32_e32 v1, s57
	s_cbranch_execnz .LBB24_3
.LBB24_2:
	v_rcp_iflag_f32_e32 v2, v1
	s_sub_i32 s4, 0, s57
	v_mul_f32_e32 v2, 0x4f7ffffe, v2
	v_cvt_u32_f32_e32 v2, v2
	s_nop 0
	v_readfirstlane_b32 s5, v2
	s_mul_i32 s4, s4, s5
	s_mul_hi_u32 s4, s5, s4
	s_add_i32 s5, s5, s4
	s_mul_hi_u32 s4, s6, s5
	s_mul_i32 s7, s4, s57
	s_sub_i32 s6, s6, s7
	s_add_i32 s5, s4, 1
	s_sub_i32 s7, s6, s57
	s_cmp_ge_u32 s6, s57
	s_cselect_b32 s4, s5, s4
	s_cselect_b32 s6, s7, s6
	s_add_i32 s5, s4, 1
	s_cmp_ge_u32 s6, s57
	s_cselect_b32 s54, s5, s4
.LBB24_3:
	s_add_i32 s4, s56, 1
	s_mul_i32 s5, s10, s4
	s_mul_hi_u32 s6, s2, s4
	s_add_i32 s9, s6, s5
	s_mov_b32 s8, 0
	s_cmp_lg_u64 s[8:9], 0
	s_mul_i32 s2, s2, s4
	s_cbranch_scc0 .LBB24_311
; %bb.4:
	s_add_u32 s4, s57, 0
	s_addc_u32 s5, 0, 0
	s_xor_b64 s[6:7], s[4:5], 0
	v_cvt_f32_u32_e32 v2, s6
	v_cvt_f32_u32_e32 v3, s7
	s_sub_u32 s8, 0, s6
	s_subb_u32 s12, 0, s7
	v_fmamk_f32 v2, v3, 0x4f800000, v2
	v_rcp_f32_e32 v2, v2
	s_nop 0
	v_mul_f32_e32 v2, 0x5f7ffffc, v2
	v_mul_f32_e32 v3, 0x2f800000, v2
	v_trunc_f32_e32 v3, v3
	v_fmamk_f32 v2, v3, 0xcf800000, v2
	v_cvt_u32_f32_e32 v3, v3
	v_cvt_u32_f32_e32 v2, v2
	v_readfirstlane_b32 s13, v3
	v_readfirstlane_b32 s10, v2
	s_mul_i32 s11, s8, s13
	s_mul_hi_u32 s15, s8, s10
	s_mul_i32 s14, s12, s10
	s_add_i32 s11, s15, s11
	s_add_i32 s11, s11, s14
	s_mul_i32 s16, s8, s10
	s_mul_i32 s15, s10, s11
	s_mul_hi_u32 s17, s10, s16
	s_mul_hi_u32 s14, s10, s11
	s_add_u32 s15, s17, s15
	s_addc_u32 s14, 0, s14
	s_mul_hi_u32 s18, s13, s16
	s_mul_i32 s16, s13, s16
	s_add_u32 s15, s15, s16
	s_mul_hi_u32 s17, s13, s11
	s_addc_u32 s14, s14, s18
	s_addc_u32 s15, s17, 0
	s_mul_i32 s11, s13, s11
	s_add_u32 s11, s14, s11
	s_addc_u32 s14, 0, s15
	s_add_u32 s15, s10, s11
	s_cselect_b64 s[10:11], -1, 0
	s_cmp_lg_u64 s[10:11], 0
	s_addc_u32 s13, s13, s14
	s_mul_i32 s10, s8, s13
	s_mul_hi_u32 s11, s8, s15
	s_add_i32 s10, s11, s10
	s_mul_i32 s12, s12, s15
	s_add_i32 s10, s10, s12
	s_mul_i32 s8, s8, s15
	s_mul_hi_u32 s12, s13, s8
	s_mul_i32 s14, s13, s8
	s_mul_i32 s17, s15, s10
	s_mul_hi_u32 s8, s15, s8
	s_mul_hi_u32 s16, s15, s10
	s_add_u32 s8, s8, s17
	s_addc_u32 s16, 0, s16
	s_add_u32 s8, s8, s14
	s_mul_hi_u32 s11, s13, s10
	s_addc_u32 s8, s16, s12
	s_addc_u32 s11, s11, 0
	s_mul_i32 s10, s13, s10
	s_add_u32 s8, s8, s10
	s_addc_u32 s12, 0, s11
	s_add_u32 s14, s15, s8
	s_cselect_b64 s[10:11], -1, 0
	s_cmp_lg_u64 s[10:11], 0
	s_addc_u32 s12, s13, s12
	s_ashr_i32 s10, s9, 31
	s_add_u32 s8, s2, s10
	s_mov_b32 s11, s10
	s_addc_u32 s9, s9, s10
	s_xor_b64 s[8:9], s[8:9], s[10:11]
	s_mul_i32 s15, s8, s12
	s_mul_hi_u32 s16, s8, s14
	s_mul_hi_u32 s13, s8, s12
	s_add_u32 s15, s16, s15
	s_addc_u32 s13, 0, s13
	s_mul_hi_u32 s17, s9, s14
	s_mul_i32 s14, s9, s14
	s_add_u32 s14, s15, s14
	s_mul_hi_u32 s16, s9, s12
	s_addc_u32 s13, s13, s17
	s_addc_u32 s14, s16, 0
	s_mul_i32 s12, s9, s12
	s_add_u32 s16, s13, s12
	s_addc_u32 s17, 0, s14
	s_mul_i32 s12, s6, s17
	s_mul_hi_u32 s13, s6, s16
	s_add_i32 s12, s13, s12
	s_mul_i32 s13, s7, s16
	s_add_i32 s18, s12, s13
	s_sub_i32 s14, s9, s18
	s_mul_i32 s12, s6, s16
	s_sub_u32 s8, s8, s12
	s_cselect_b64 s[12:13], -1, 0
	s_cmp_lg_u64 s[12:13], 0
	s_subb_u32 s19, s14, s7
	s_sub_u32 s20, s8, s6
	s_cselect_b64 s[14:15], -1, 0
	s_cmp_lg_u64 s[14:15], 0
	s_subb_u32 s14, s19, 0
	s_cmp_ge_u32 s14, s7
	s_cselect_b32 s15, -1, 0
	s_cmp_ge_u32 s20, s6
	s_cselect_b32 s19, -1, 0
	s_cmp_eq_u32 s14, s7
	s_cselect_b32 s14, s19, s15
	s_add_u32 s15, s16, 1
	s_addc_u32 s19, s17, 0
	s_add_u32 s20, s16, 2
	s_addc_u32 s21, s17, 0
	s_cmp_lg_u32 s14, 0
	s_cselect_b32 s14, s20, s15
	s_cselect_b32 s15, s21, s19
	s_cmp_lg_u64 s[12:13], 0
	s_subb_u32 s9, s9, s18
	s_cmp_ge_u32 s9, s7
	s_cselect_b32 s12, -1, 0
	s_cmp_ge_u32 s8, s6
	s_cselect_b32 s6, -1, 0
	s_cmp_eq_u32 s9, s7
	s_cselect_b32 s6, s6, s12
	s_cmp_lg_u32 s6, 0
	s_cselect_b32 s7, s15, s17
	s_cselect_b32 s6, s14, s16
	s_xor_b64 s[8:9], s[10:11], 0
	s_xor_b64 s[6:7], s[6:7], s[8:9]
	s_sub_u32 s58, s6, s8
	s_load_dwordx2 s[44:45], s[0:1], 0x5c
	s_cbranch_execnz .LBB24_6
.LBB24_5:
	v_rcp_iflag_f32_e32 v1, v1
	s_sub_i32 s4, 0, s57
	v_mul_f32_e32 v1, 0x4f7ffffe, v1
	v_cvt_u32_f32_e32 v1, v1
	s_nop 0
	v_readfirstlane_b32 s5, v1
	s_mul_i32 s4, s4, s5
	s_mul_hi_u32 s4, s5, s4
	s_add_i32 s5, s5, s4
	s_mul_hi_u32 s4, s2, s5
	s_mul_i32 s6, s4, s57
	s_sub_i32 s2, s2, s6
	s_add_i32 s5, s4, 1
	s_sub_i32 s6, s2, s57
	s_cmp_ge_u32 s2, s57
	s_cselect_b32 s4, s5, s4
	s_cselect_b32 s2, s6, s2
	s_add_i32 s5, s4, 1
	s_cmp_ge_u32 s2, s57
	s_cselect_b32 s58, s5, s4
.LBB24_6:
	s_abs_i32 s91, s90
	v_cvt_f32_u32_e32 v1, s91
	s_load_dwordx16 s[16:31], s[0:1], 0x0
	s_load_dword s2, s[0:1], 0x40
	s_load_dwordx2 s[50:51], s[0:1], 0x8c
	s_load_dwordx4 s[40:43], s[0:1], 0x98
	s_load_dwordx2 s[46:47], s[0:1], 0xa8
	s_load_dwordx2 s[66:67], s[0:1], 0xb8
	;; [unrolled: 1-line block ×3, first 2 shown]
	s_waitcnt lgkmcnt(0)
	s_ashr_i32 s34, s50, 2
	s_sub_i32 s4, 0, s91
	v_rcp_iflag_f32_e32 v1, v1
	s_ashr_i32 s1, s90, 31
	v_writelane_b32 v215, s1, 1
	s_abs_i32 s1, s54
	v_mul_f32_e32 v1, 0x4f7ffffe, v1
	v_cvt_u32_f32_e32 v1, v1
	s_ashr_i32 s55, s39, 3
	s_ashr_i32 s62, s52, 3
	;; [unrolled: 1-line block ×3, first 2 shown]
	v_readfirstlane_b32 s50, v1
	s_mul_i32 s4, s4, s50
	s_mul_hi_u32 s4, s50, s4
	s_add_i32 s50, s50, s4
	s_mul_hi_u32 s4, s1, s50
	s_mul_i32 s4, s4, s91
	s_sub_i32 s1, s1, s4
	s_ashr_i32 s38, s42, 2
	s_ashr_i32 s0, s54, 31
	s_sub_i32 s4, s1, s91
	s_cmp_ge_u32 s1, s91
	s_cselect_b32 s1, s4, s1
	s_sub_i32 s4, s1, s91
	s_cmp_ge_u32 s1, s91
	s_cselect_b32 s1, s4, s1
	s_xor_b32 s1, s1, s0
	s_sub_i32 s82, s1, s0
	s_sub_i32 s0, s58, s54
	s_add_i32 s4, s0, s82
	s_min_i32 s64, s90, s4
	s_cmp_gt_i32 s58, s54
	s_cselect_b64 s[8:9], -1, 0
	s_cmp_le_i32 s58, s54
	s_cselect_b64 s[0:1], -1, 0
	s_cmp_gt_i32 s90, s4
	v_cvt_f16_f32_e32 v91, s2
	s_cselect_b64 s[4:5], -1, 0
	s_or_b64 s[0:1], s[4:5], s[0:1]
	v_bfe_u32 v79, v0, 10, 10
	s_mov_b32 s61, 0
	s_and_b64 vcc, exec, s[0:1]
	v_bfe_u32 v51, v0, 10, 2
	v_lshlrev_b32_e32 v81, 3, v79
	v_lshrrev_b32_e32 v93, 10, v0
	v_add_u32_e32 v89, 4, v79
	v_add_u32_e32 v87, 8, v79
	v_add_u32_e32 v85, 12, v79
	v_add_u32_e32 v83, 16, v79
	v_add_u32_e32 v55, 20, v79
	v_add_u32_e32 v53, 24, v79
	v_add_u32_e32 v1, 28, v79
	s_cbranch_vccz .LBB24_9
; %bb.7:
	s_andn2_b64 vcc, exec, s[8:9]
	s_cbranch_vccz .LBB24_273
.LBB24_8:
	s_endpgm
.LBB24_9:
	v_and_b32_e32 v3, 0x7f0, v81
	s_movk_i32 s2, 0x110
	v_and_b32_e32 v5, 15, v0
	v_lshrrev_b32_e32 v7, 1, v0
	v_and_b32_e32 v50, 0x3ff, v0
	v_mad_u32_u24 v4, v3, s2, 0
	v_mul_u32_u24_e32 v6, 0x110, v5
	v_and_b32_e32 v7, 0x78, v7
	v_add3_u32 v95, v4, v6, v7
	v_bfe_u32 v4, v0, 5, 5
	v_lshlrev_b32_e32 v6, 1, v50
	v_lshlrev_b32_e32 v2, 2, v50
	v_lshl_add_u32 v99, v79, 1, v4
	v_and_b32_e32 v52, 62, v6
	v_bfe_u32 v6, v0, 4, 6
	v_and_or_b32 v3, v0, 12, v3
	s_movk_i32 s0, 0x90
	v_mul_u32_u24_e32 v4, 0x90, v99
	v_lshl_add_u32 v6, v79, 2, v6
	v_and_b32_e32 v54, 60, v2
	v_lshlrev_b32_e32 v9, 4, v79
	v_bfe_u32 v11, v0, 2, 8
	v_lshrrev_b32_e32 v3, 2, v3
	v_lshlrev_b32_e32 v16, 1, v52
	v_mul_u32_u24_e32 v8, 0x110, v6
	v_and_b32_e32 v10, 16, v9
	v_and_b32_e32 v12, 60, v11
	;; [unrolled: 1-line block ×3, first 2 shown]
	v_or_b32_e32 v11, 3, v11
	v_add3_u32 v122, 0, v4, v16
	v_lshlrev_b32_e32 v4, 2, v54
	v_mad_u32_u24 v3, v3, s0, 0
	s_movk_i32 s0, 0x220
	v_add_u32_e32 v13, v12, v10
	v_add_u16_e32 v14, v12, v10
	v_mul_u32_u24_e32 v12, 0x110, v12
	v_mul_u32_u24_e32 v11, 0x110, v11
	v_add3_u32 v123, 0, v8, v4
	v_mad_u32_u24 v4, v15, s0, 0
	v_lshlrev_b32_e32 v8, 1, v5
	v_add3_u32 v125, v4, v12, v8
	v_add3_u32 v126, v4, v11, v8
	v_bfe_u32 v4, v0, 10, 1
	v_cmp_eq_u32_e64 s[0:1], 0, v4
	v_and_b32_e32 v4, 0x400, v0
	v_cmp_ne_u32_e64 s[10:11], 0, v4
	v_bfe_u32 v4, v93, 1, 9
	v_add_u32_e32 v8, 2, v4
	v_lshlrev_b32_e32 v11, 1, v8
	v_and_b32_e32 v12, 15, v8
	s_movk_i32 s6, 0x1e0
	v_lshrrev_b16_e32 v14, 1, v14
	v_and_or_b32 v11, v11, s6, v12
	v_add_u32_e32 v12, 4, v4
	v_lshl_add_u32 v124, v14, 2, v3
	v_lshl_add_u32 v3, v13, 1, v3
	v_lshlrev_b32_e32 v13, 1, v12
	v_and_b32_e32 v14, 15, v12
	v_and_or_b32 v13, v13, s6, v14
	v_add_u32_e32 v14, 6, v4
	v_lshlrev_b32_e32 v15, 1, v14
	v_and_b32_e32 v16, 15, v14
	v_and_or_b32 v15, v15, s6, v16
	v_add_u32_e32 v16, 8, v4
	;; [unrolled: 4-line block ×4, first 2 shown]
	s_cmp_eq_u64 s[24:25], 0
	v_writelane_b32 v215, s57, 2
	v_lshlrev_b32_e32 v21, 1, v20
	v_and_b32_e32 v22, 15, v20
	s_cselect_b64 s[4:5], -1, 0
	v_and_or_b32 v21, v21, s6, v22
	v_add_u32_e32 v22, 14, v4
	v_writelane_b32 v215, s4, 3
	s_cmp_lg_u64 s[26:27], 0
	v_lshlrev_b32_e32 v23, 1, v22
	v_and_b32_e32 v24, 15, v22
	v_writelane_b32 v215, s5, 4
	s_cselect_b64 s[4:5], -1, 0
	v_and_or_b32 v23, v23, s6, v24
	v_add_u32_e32 v24, 18, v4
	v_writelane_b32 v215, s4, 5
	s_lshl_b32 s60, s56, 5
	v_lshlrev_b32_e32 v25, 1, v24
	v_and_b32_e32 v26, 15, v24
	v_writelane_b32 v215, s5, 6
	s_ashr_i32 s15, s14, 31
	s_ashr_i32 s35, s34, 31
	s_lshl_b32 s7, s34, 4
	s_ashr_i32 s39, s38, 31
	s_lshl_b32 s12, s38, 4
	s_lshl_b64 s[4:5], s[60:61], 3
	v_and_or_b32 v25, v25, s6, v26
	v_add_u32_e32 v26, 20, v4
	s_add_u32 s8, s30, s4
	v_lshlrev_b32_e32 v27, 1, v26
	v_and_b32_e32 v28, 15, v26
	s_addc_u32 s9, s31, s5
	s_abs_i32 s57, s89
	v_and_or_b32 v27, v27, s6, v28
	v_add_u32_e32 v28, 22, v4
	v_cvt_f32_u32_e32 v37, s57
	v_lshlrev_b32_e32 v29, 1, v28
	v_and_b32_e32 v30, 15, v28
	v_and_or_b32 v29, v29, s6, v30
	v_add_u32_e32 v30, 24, v4
	v_lshlrev_b32_e32 v31, 1, v30
	v_and_b32_e32 v32, 15, v30
	v_and_or_b32 v31, v31, s6, v32
	v_add_u32_e32 v32, 26, v4
	v_rcp_iflag_f32_e32 v37, v37
	s_abs_i32 s92, s88
	v_lshlrev_b32_e32 v33, 1, v32
	v_and_b32_e32 v34, 15, v32
	v_cvt_f32_u32_e32 v39, s92
	v_add_u32_e32 v127, 0, v2
	v_or_b32_e32 v2, v81, v50
	v_and_or_b32 v33, v33, s6, v34
	v_add_u32_e32 v34, 28, v4
	v_lshlrev_b32_e32 v56, 3, v2
	v_or_b32_e32 v2, v9, v50
	v_lshlrev_b32_e32 v35, 1, v34
	v_and_b32_e32 v36, 15, v34
	v_mov_b32_e32 v57, 0
	v_mul_u32_u24_e32 v132, 0x110, v2
	v_and_b32_e32 v2, 31, v0
	v_writelane_b32 v215, s56, 7
	v_and_or_b32 v35, v35, s6, v36
	v_add_u32_e32 v36, 30, v4
	v_mul_f32_e32 v37, 0x4f7ffffe, v37
	s_mov_b32 s4, s66
	v_lshl_add_u64 v[74:75], s[8:9], 0, v[56:57]
	v_lshlrev_b32_e32 v56, 2, v2
	v_or_b32_e32 v2, v9, v2
	v_lshlrev_b32_e32 v38, 1, v36
	v_and_b32_e32 v40, 15, v36
	v_rcp_iflag_f32_e32 v39, v39
	s_abs_i32 s93, s87
	v_writelane_b32 v215, s4, 8
	v_cvt_u32_f32_e32 v37, v37
	v_mul_u32_u24_e32 v133, 0x110, v2
	v_or_b32_e32 v2, v9, v5
	v_and_or_b32 v38, v38, s6, v40
	v_cvt_f32_u32_e32 v40, s93
	v_writelane_b32 v215, s5, 9
	s_abs_i32 s94, s66
	v_cmp_gt_u32_e64 s[66:67], 32, v50
	v_mul_u32_u24_e32 v134, 0x110, v2
	v_add_u32_e32 v2, 16, v4
	v_add_u32_e32 v130, 64, v3
	v_add_u32_e32 v131, 0x44, v3
	v_writelane_b32 v215, s66, 10
	v_bfe_u32 v3, v79, 1, 4
	v_lshlrev_b32_e32 v4, 1, v2
	v_writelane_b32 v215, s67, 11
	v_and_or_b32 v4, v4, s6, v3
	s_ashr_i32 s6, s89, 31
	v_mul_f32_e32 v39, 0x4f7ffffe, v39
	v_readfirstlane_b32 s13, v37
	v_writelane_b32 v215, s6, 12
	s_sub_i32 s6, 0, s57
	v_cvt_f32_u32_e32 v41, s94
	v_rcp_iflag_f32_e32 v40, v40
	v_cvt_u32_f32_e32 v39, v39
	s_mul_i32 s6, s6, s13
	s_mul_hi_u32 s6, s13, s6
	s_add_i32 s6, s13, s6
	v_writelane_b32 v215, s6, 13
	s_ashr_i32 s6, s88, 31
	v_rcp_iflag_f32_e32 v41, v41
	v_mul_f32_e32 v40, 0x4f7ffffe, v40
	v_readfirstlane_b32 s33, v39
	v_writelane_b32 v215, s6, 14
	s_sub_i32 s6, 0, s92
	v_cvt_u32_f32_e32 v40, v40
	s_mul_i32 s6, s6, s33
	s_mul_hi_u32 s6, s33, s6
	s_add_i32 s6, s33, s6
	v_mul_f32_e32 v41, 0x4f7ffffe, v41
	v_writelane_b32 v215, s6, 15
	s_ashr_i32 s6, s87, 31
	v_cvt_u32_f32_e32 v41, v41
	v_readfirstlane_b32 s42, v40
	v_writelane_b32 v215, s6, 16
	s_sub_i32 s6, 0, s93
	s_mul_i32 s6, s6, s42
	s_mul_hi_u32 s6, s42, s6
	s_add_i32 s6, s42, s6
	v_readfirstlane_b32 s56, v41
	v_mul_lo_u32 v58, s34, v6
	v_writelane_b32 v215, s6, 17
	s_sub_i32 s6, 0, s94
	v_add_u32_e32 v60, s7, v58
	v_mul_lo_u32 v66, s38, v6
	s_mul_i32 s6, s6, s56
	v_add_u32_e32 v62, s7, v60
	v_add_u32_e32 v68, s12, v66
	s_mul_hi_u32 s6, s56, s6
	v_add_u32_e32 v64, s7, v62
	v_add_u32_e32 v70, s12, v68
	s_movk_i32 s7, 0xe0
	s_add_i32 s6, s56, s6
	v_add_u32_e32 v72, s12, v70
	v_and_or_b32 v3, v93, s7, v3
	v_writelane_b32 v215, s6, 18
	s_lshl_b64 s[6:7], s[14:15], 1
	s_mov_b32 s59, 0x10001
	v_ashrrev_i32_e32 v59, 31, v58
	v_ashrrev_i32_e32 v61, 31, v60
	v_ashrrev_i32_e32 v63, 31, v62
	v_ashrrev_i32_e32 v65, 31, v64
	v_ashrrev_i32_e32 v67, 31, v66
	v_ashrrev_i32_e32 v69, 31, v68
	v_ashrrev_i32_e32 v71, 31, v70
	v_ashrrev_i32_e32 v73, 31, v72
	v_add_u32_e32 v129, 0, v7
	v_writelane_b32 v215, s6, 19
	v_mbcnt_lo_u32_b32 v181, -1, 0
	v_mul_u32_u24_e32 v128, 0x110, v10
	v_cmp_gt_u32_e64 s[4:5], 16, v50
	v_mul_u32_u24_e32 v135, 0x110, v3
	v_mul_u32_u24_e32 v136, 0x110, v11
	v_lshrrev_b32_e32 v137, 2, v12
	v_mul_u32_u24_e32 v138, 0x110, v13
	v_mul_u32_u24_e32 v139, 0x110, v15
	v_lshrrev_b32_e32 v140, 2, v16
	;; [unrolled: 3-line block ×7, first 2 shown]
	v_mul_u32_u24_e32 v156, 0x110, v35
	v_mul_u32_u24_e32 v157, 0x110, v38
	v_writelane_b32 v215, s7, 20
	v_mad_u32_u24 v158, v5, s2, v129
	v_lshlrev_b32_e32 v76, 4, v5
	v_mov_b32_e32 v77, v57
	s_lshl_b64 s[68:69], s[38:39], 8
	s_lshl_b64 s[70:71], s[34:35], 8
	s_mov_b32 s15, 0x3fb8aa3b
	s_mov_b32 s67, 0xc2ce8ed0
	;; [unrolled: 1-line block ×5, first 2 shown]
	v_mul_lo_u32 v159, v91, s59
	v_add_u32_e32 v160, 0x1100, v123
	v_add_u32_e32 v161, 0x2200, v123
	;; [unrolled: 1-line block ×3, first 2 shown]
	v_bfe_u32 v163, v93, 2, 8
	v_mul_u32_u24_e32 v164, 0x110, v79
	v_lshrrev_b32_e32 v165, 2, v89
	v_lshrrev_b32_e32 v166, 2, v87
	v_lshrrev_b32_e32 v167, 2, v85
	v_lshrrev_b32_e32 v168, 2, v83
	v_lshrrev_b32_e32 v169, 2, v55
	v_lshrrev_b32_e32 v170, 2, v53
	v_lshrrev_b32_e32 v171, 2, v1
	v_bfe_u32 v172, v93, 3, 7
	v_lshrrev_b32_e32 v173, 2, v8
	v_and_b32_e32 v78, 3, v8
	v_lshrrev_b32_e32 v174, 2, v14
	v_and_b32_e32 v80, 3, v14
	;; [unrolled: 2-line block ×8, first 2 shown]
	v_mbcnt_hi_u32_b32 v182, -1, v181
	v_mov_b32_e32 v183, 0x7f800000
	v_and_b32_e32 v94, 3, v0
	v_mad_u64_u32 v[96:97], s[8:9], v51, s62, v[50:51]
	v_bfe_u32 v98, v79, 1, 2
	v_lshl_add_u64 v[100:101], s[22:23], 0, v[56:57]
	v_lshl_add_u64 v[102:103], v[66:67], 2, s[20:21]
	;; [unrolled: 1-line block ×9, first 2 shown]
	v_writelane_b32 v215, s62, 21
	s_branch .LBB24_12
.LBB24_10:                              ;   in Loop: Header=BB24_12 Depth=1
	s_or_b64 exec, exec, s[74:75]
	s_barrier
.LBB24_11:                              ;   in Loop: Header=BB24_12 Depth=1
	s_add_i32 s2, s54, s90
	s_abs_i32 s8, s2
	s_mul_hi_u32 s9, s8, s50
	s_mul_i32 s9, s9, s91
	s_sub_i32 s8, s8, s9
	s_ashr_i32 s7, s2, 31
	s_sub_i32 s9, s8, s91
	s_cmp_ge_u32 s8, s91
	s_cselect_b32 s8, s9, s8
	s_sub_i32 s9, s8, s91
	s_cmp_ge_u32 s8, s91
	s_cselect_b32 s8, s9, s8
	s_xor_b32 s8, s8, s7
	s_sub_i32 s7, s7, s8
	s_add_i32 s54, s2, s7
	s_sub_i32 s2, s58, s54
	s_min_i32 s64, s90, s2
	s_cmp_gt_i32 s58, s54
	s_cselect_b64 s[8:9], -1, 0
	s_cmp_le_i32 s90, s2
	s_cselect_b64 s[12:13], -1, 0
	s_and_b64 s[12:13], s[12:13], s[8:9]
	s_mov_b32 s82, 0
	s_and_b64 vcc, exec, s[12:13]
	s_cbranch_vccz .LBB24_272
.LBB24_12:                              ; =>This Loop Header: Depth=1
                                        ;     Child Loop BB24_181 Depth 2
                                        ;     Child Loop BB24_51 Depth 2
	s_ashr_i32 s2, s54, 31
	v_readlane_b32 s7, v215, 12
	s_xor_b32 s2, s2, s7
	s_abs_i32 s7, s54
	v_readlane_b32 s8, v215, 13
	s_mul_hi_u32 s8, s7, s8
	s_mul_i32 s9, s8, s57
	s_sub_i32 s7, s7, s9
	s_add_i32 s9, s8, 1
	s_sub_i32 s12, s7, s57
	s_cmp_ge_u32 s7, s57
	s_cselect_b32 s8, s9, s8
	s_cselect_b32 s7, s12, s7
	s_add_i32 s9, s8, 1
	s_cmp_ge_u32 s7, s57
	s_cselect_b32 s7, s9, s8
	s_xor_b32 s7, s7, s2
	s_sub_i32 s2, s7, s2
	s_mul_i32 s7, s2, s89
	s_sub_i32 s7, s54, s7
	s_ashr_i32 s8, s7, 31
	v_readlane_b32 s9, v215, 14
	s_xor_b32 s8, s8, s9
	s_abs_i32 s9, s7
	v_readlane_b32 s12, v215, 15
	s_mul_hi_u32 s12, s9, s12
	s_mul_i32 s13, s12, s92
	s_sub_i32 s9, s9, s13
	s_add_i32 s13, s12, 1
	s_sub_i32 s42, s9, s92
	s_cmp_ge_u32 s9, s92
	s_cselect_b32 s12, s13, s12
	s_cselect_b32 s9, s42, s9
	s_add_i32 s13, s12, 1
	s_cmp_ge_u32 s9, s92
	s_cselect_b32 s9, s13, s12
	s_xor_b32 s9, s9, s8
	s_sub_i32 s8, s9, s8
	s_mul_i32 s9, s8, s88
	s_sub_i32 s9, s7, s9
	;; [unrolled: 20-line block ×3, first 2 shown]
	s_ashr_i32 s12, s9, 31
	v_readlane_b32 s13, v215, 1
	s_abs_i32 s9, s9
	s_xor_b32 s12, s12, s13
	s_mul_hi_u32 s13, s9, s50
	s_mul_i32 s42, s13, s91
	s_sub_i32 s9, s9, s42
	s_add_i32 s42, s13, 1
	s_sub_i32 s56, s9, s91
	s_cmp_ge_u32 s9, s91
	s_cselect_b32 s13, s42, s13
	s_cselect_b32 s9, s56, s9
	s_add_i32 s42, s13, 1
	s_cmp_ge_u32 s9, s91
	s_cselect_b32 s9, s42, s13
	v_readlane_b32 s62, v215, 5
	s_xor_b32 s9, s9, s12
	v_readlane_b32 s63, v215, 6
	s_andn2_b64 vcc, exec, s[62:63]
	s_sub_i32 s65, s9, s12
	s_cbranch_vccnz .LBB24_14
; %bb.13:                               ;   in Loop: Header=BB24_12 Depth=1
	v_readlane_b32 s9, v215, 0
	s_mul_i32 s9, s2, s9
	s_add_i32 s12, s65, s9
	s_ashr_i32 s13, s12, 31
	s_lshl_b64 s[12:13], s[12:13], 2
	s_add_u32 s12, s26, s12
	s_addc_u32 s13, s27, s13
	global_load_dword v2, v57, s[12:13]
	s_waitcnt vmcnt(0)
	v_readfirstlane_b32 s9, v2
	s_ashr_i32 s12, s9, 31
	s_lshr_b32 s12, s12, 26
	s_add_i32 s9, s9, s12
	s_ashr_i32 s9, s9, 6
	s_min_i32 s64, s64, s9
.LBB24_14:                              ;   in Loop: Header=BB24_12 Depth=1
	s_mul_i32 s9, s8, s3
	s_lshl_b32 s7, s7, 2
	s_add_i32 s12, s7, s9
	s_mul_i32 s9, s2, s53
	s_ashr_i32 s13, s9, 31
	s_add_u32 s9, s16, s9
	s_mul_i32 s42, s12, s52
	s_addc_u32 s13, s17, s13
	s_ashr_i32 s56, s42, 31
	s_add_u32 s80, s9, s42
	s_addc_u32 s81, s13, s56
	s_ashr_i32 s9, s2, 31
	s_mul_hi_u32 s13, s40, s2
	s_mul_i32 s42, s40, s9
	s_add_i32 s13, s13, s42
	s_mul_i32 s42, s41, s2
	s_add_i32 s95, s13, s42
	s_mul_i32 s96, s40, s2
	s_add_u32 s13, s18, s96
	s_mul_i32 s97, s8, s51
	s_addc_u32 s42, s19, s95
	s_ashr_i32 s98, s97, 31
	s_add_u32 s62, s13, s97
	s_addc_u32 s63, s42, s98
	s_abs_i32 s13, s2
	v_readlane_b32 s42, v215, 18
	s_mul_hi_u32 s42, s13, s42
	s_mul_i32 s42, s42, s94
	s_sub_i32 s13, s13, s42
	s_sub_i32 s42, s13, s94
	s_cmp_ge_u32 s13, s94
	s_cselect_b32 s13, s42, s13
	s_sub_i32 s42, s13, s94
	s_cmp_ge_u32 s13, s94
	s_cselect_b32 s13, s42, s13
	s_xor_b32 s13, s13, s9
	s_sub_i32 s13, s13, s9
	s_ashr_i32 s42, s13, 31
	s_mul_i32 s42, s48, s42
	s_mul_hi_u32 s56, s48, s13
	s_add_i32 s42, s56, s42
	s_mul_i32 s56, s49, s13
	s_add_i32 s79, s42, s56
	s_mul_i32 s78, s48, s13
	s_mul_i32 s13, s36, s37
	s_add_u32 s76, s22, s78
	s_mul_i32 s13, s13, s2
	s_addc_u32 s77, s23, s79
	s_add_i32 s13, s12, s13
	s_lshl_b32 s60, s13, 6
	s_lshl_b64 s[72:73], s[60:61], 3
	s_add_u32 s72, s28, s72
	s_mul_hi_u32 s13, s46, s2
	s_mul_i32 s9, s46, s9
	s_addc_u32 s73, s29, s73
	s_add_i32 s9, s13, s9
	s_mul_i32 s13, s47, s2
	s_add_i32 s60, s9, s13
	s_mul_i32 s99, s46, s2
	s_add_u32 s2, s20, s99
	s_mul_i32 s56, s8, s43
	s_addc_u32 s9, s21, s60
	s_ashr_i32 s59, s56, 31
	s_add_u32 s2, s2, s56
	s_addc_u32 s86, s9, s59
	s_ashr_i32 s13, s12, 31
	s_lshl_b64 s[8:9], s[12:13], 2
	s_add_u32 s12, s24, s8
	s_addc_u32 s13, s25, s9
	v_readlane_b32 s8, v215, 3
	v_readlane_b32 s9, v215, 4
	s_and_b64 s[8:9], s[8:9], exec
	s_cselect_b32 s75, 0, s13
	s_cselect_b32 s74, 0, s12
	s_cmp_lg_u32 s82, 0
	v_or_b32_e32 v97, s7, v51
	s_cbranch_scc0 .LBB24_52
; %bb.15:                               ;   in Loop: Header=BB24_12 Depth=1
	s_lshl_b32 s42, s65, 3
	v_add_u32_e32 v2, s42, v163
	v_cmp_le_i32_e64 s[8:9], s36, v2
	v_cmp_le_i32_e64 s[12:13], s3, v97
	v_cmp_gt_i32_e32 vcc, s3, v97
	s_or_b64 s[8:9], s[8:9], s[12:13]
	s_and_saveexec_b64 s[12:13], s[8:9]
	s_xor_b64 s[8:9], exec, s[12:13]
; %bb.16:                               ;   in Loop: Header=BB24_12 Depth=1
	v_add_u32_e32 v2, v127, v164
	ds_write_b32 v2, v57
                                        ; implicit-def: $vgpr2
; %bb.17:                               ;   in Loop: Header=BB24_12 Depth=1
	s_andn2_saveexec_b64 s[8:9], s[8:9]
	s_cbranch_execz .LBB24_19
; %bb.18:                               ;   in Loop: Header=BB24_12 Depth=1
	v_mad_u64_u32 v[2:3], s[12:13], v2, s55, v[96:97]
	v_ashrrev_i32_e32 v3, 31, v2
	v_lshl_add_u64 v[2:3], v[2:3], 3, s[80:81]
	global_load_dwordx2 v[2:3], v[2:3], off
	s_waitcnt vmcnt(0)
	v_cvt_pk_f16_f32 v2, v2, v3
	v_pk_mul_f16 v2, v2, v159
	v_add_u32_e32 v3, v127, v164
	ds_write_b32 v3, v2
.LBB24_19:                              ;   in Loop: Header=BB24_12 Depth=1
	s_or_b64 exec, exec, s[8:9]
	v_add_u32_e32 v2, s42, v165
	v_cmp_le_i32_e64 s[8:9], s36, v2
	s_xor_b64 s[12:13], vcc, -1
	s_or_b64 s[8:9], s[8:9], s[12:13]
	s_and_saveexec_b64 s[84:85], s[8:9]
	s_xor_b64 s[8:9], exec, s[84:85]
; %bb.20:                               ;   in Loop: Header=BB24_12 Depth=1
	v_add_u32_e32 v2, v127, v164
	ds_write_b32 v2, v57 offset:1088
                                        ; implicit-def: $vgpr2
; %bb.21:                               ;   in Loop: Header=BB24_12 Depth=1
	s_andn2_saveexec_b64 s[8:9], s[8:9]
	s_cbranch_execz .LBB24_23
; %bb.22:                               ;   in Loop: Header=BB24_12 Depth=1
	v_mad_u64_u32 v[2:3], s[84:85], v2, s55, v[96:97]
	v_ashrrev_i32_e32 v3, 31, v2
	v_lshl_add_u64 v[2:3], v[2:3], 3, s[80:81]
	global_load_dwordx2 v[2:3], v[2:3], off
	s_waitcnt vmcnt(0)
	v_cvt_pk_f16_f32 v2, v2, v3
	v_pk_mul_f16 v2, v2, v159
	v_add_u32_e32 v3, v127, v164
	ds_write_b32 v3, v2 offset:1088
.LBB24_23:                              ;   in Loop: Header=BB24_12 Depth=1
	s_or_b64 exec, exec, s[8:9]
	v_add_u32_e32 v2, s42, v166
	v_cmp_le_i32_e32 vcc, s36, v2
	s_or_b64 s[8:9], vcc, s[12:13]
	s_and_saveexec_b64 s[84:85], s[8:9]
	s_xor_b64 s[8:9], exec, s[84:85]
; %bb.24:                               ;   in Loop: Header=BB24_12 Depth=1
	v_add_u32_e32 v2, v127, v164
	ds_write_b32 v2, v57 offset:2176
                                        ; implicit-def: $vgpr2
; %bb.25:                               ;   in Loop: Header=BB24_12 Depth=1
	s_andn2_saveexec_b64 s[8:9], s[8:9]
	s_cbranch_execz .LBB24_27
; %bb.26:                               ;   in Loop: Header=BB24_12 Depth=1
	v_mad_u64_u32 v[2:3], s[84:85], v2, s55, v[96:97]
	v_ashrrev_i32_e32 v3, 31, v2
	v_lshl_add_u64 v[2:3], v[2:3], 3, s[80:81]
	global_load_dwordx2 v[2:3], v[2:3], off
	s_waitcnt vmcnt(0)
	v_cvt_pk_f16_f32 v2, v2, v3
	v_pk_mul_f16 v2, v2, v159
	v_add_u32_e32 v3, v127, v164
	ds_write_b32 v3, v2 offset:2176
.LBB24_27:                              ;   in Loop: Header=BB24_12 Depth=1
	s_or_b64 exec, exec, s[8:9]
	v_add_u32_e32 v2, s42, v167
	v_cmp_le_i32_e32 vcc, s36, v2
	s_or_b64 s[8:9], vcc, s[12:13]
	;; [unrolled: 24-line block ×6, first 2 shown]
	s_and_saveexec_b64 s[12:13], s[8:9]
	s_xor_b64 s[8:9], exec, s[12:13]
; %bb.44:                               ;   in Loop: Header=BB24_12 Depth=1
	v_add_u32_e32 v2, v127, v164
	ds_write_b32 v2, v57 offset:7616
                                        ; implicit-def: $vgpr2
; %bb.45:                               ;   in Loop: Header=BB24_12 Depth=1
	s_andn2_saveexec_b64 s[8:9], s[8:9]
	s_cbranch_execz .LBB24_47
; %bb.46:                               ;   in Loop: Header=BB24_12 Depth=1
	v_mad_u64_u32 v[2:3], s[12:13], v2, s55, v[96:97]
	v_ashrrev_i32_e32 v3, 31, v2
	v_lshl_add_u64 v[2:3], v[2:3], 3, s[80:81]
	global_load_dwordx2 v[2:3], v[2:3], off
	s_waitcnt vmcnt(0)
	v_cvt_pk_f16_f32 v2, v2, v3
	v_pk_mul_f16 v2, v2, v159
	v_add_u32_e32 v3, v127, v164
	ds_write_b32 v3, v2 offset:7616
.LBB24_47:                              ;   in Loop: Header=BB24_12 Depth=1
	s_or_b64 exec, exec, s[8:9]
	s_waitcnt lgkmcnt(0)
	s_barrier
	ds_read2_b64 v[14:17], v95 offset1:4
	ds_read2_b64 v[10:13], v95 offset0:8 offset1:12
	ds_read2_b64 v[6:9], v95 offset0:16 offset1:20
	ds_read2_b64 v[2:5], v95 offset0:24 offset1:28
	s_add_i32 s12, s64, -1
	s_cmp_lt_i32 s82, s12
	s_mov_b64 s[8:9], -1
	s_waitcnt lgkmcnt(0)
	s_barrier
                                        ; implicit-def: $vgpr186
                                        ; implicit-def: $vgpr189
                                        ; implicit-def: $vgpr187
	s_cbranch_scc1 .LBB24_49
; %bb.48:                               ;   in Loop: Header=BB24_12 Depth=1
	v_and_b32_e32 v18, 64, v182
	v_add_u32_e32 v186, 64, v18
	v_xor_b32_e32 v189, 32, v182
	v_xor_b32_e32 v187, 16, v182
	s_mov_b64 s[8:9], 0
.LBB24_49:                              ;   in Loop: Header=BB24_12 Depth=1
	v_add_u32_e32 v18, s42, v99
	v_mul_hi_u32 v19, s44, v18
	v_add_u32_e32 v19, v18, v19
	v_lshrrev_b32_e32 v19, s45, v19
	v_mul_lo_u32 v19, v19, s36
	v_sub_u32_e32 v18, v18, v19
	s_andn2_b64 vcc, exec, s[8:9]
	v_mad_i64_i32 v[118:119], s[8:9], v18, s14, 0
	s_cbranch_vccnz .LBB24_53
; %bb.50:                               ;   in Loop: Header=BB24_12 Depth=1
	v_lshl_add_u64 v[18:19], v[118:119], 1, s[76:77]
	v_lshlrev_b32_e32 v56, 1, v52
	v_mbcnt_hi_u32_b32 v188, -1, v181
	v_lshl_add_u64 v[120:121], v[18:19], 0, v[56:57]
	v_and_b32_e32 v18, 64, v188
	v_add_u32_e32 v186, 64, v18
	v_xor_b32_e32 v189, 32, v188
	v_cmp_lt_i32_e32 vcc, v189, v186
	v_xor_b32_e32 v187, 16, v188
	s_lshl_b32 s8, s82, 6
	v_cndmask_b32_e32 v18, v188, v189, vcc
	v_cmp_lt_i32_e32 vcc, v187, v186
	v_lshlrev_b32_e32 v190, 2, v18
	v_mov_b32_e32 v46, 0
	v_cndmask_b32_e32 v18, v188, v187, vcc
	v_lshlrev_b32_e32 v191, 2, v18
	v_mov_b32_e32 v184, 0xfeffffff
	v_mov_b32_e32 v185, 0
	;; [unrolled: 1-line block ×17, first 2 shown]
.LBB24_51:                              ;   Parent Loop BB24_12 Depth=1
                                        ; =>  This Inner Loop Header: Depth=2
	s_ashr_i32 s9, s8, 31
	v_lshl_add_u64 v[20:21], s[8:9], 1, v[120:121]
	global_load_dword v20, v[20:21], off
	s_mul_hi_i32 s85, s8, s34
	s_mul_i32 s84, s8, s34
	s_lshl_b64 s[84:85], s[84:85], 2
	s_add_u32 s84, s62, s84
	s_addc_u32 s85, s63, s85
	v_lshlrev_b32_e32 v56, 2, v54
	v_lshl_add_u64 v[24:25], v[60:61], 2, s[84:85]
	v_lshl_add_u64 v[24:25], v[24:25], 0, v[56:57]
	;; [unrolled: 1-line block ×6, first 2 shown]
	v_mov_b32_e32 v36, v184
	v_mov_b32_e32 v37, v185
	s_waitcnt vmcnt(0)
	ds_write_b32 v122, v20 offset:17408
	v_lshl_add_u64 v[20:21], v[58:59], 2, s[84:85]
	v_lshl_add_u64 v[20:21], v[20:21], 0, v[56:57]
	global_load_dwordx4 v[192:195], v[20:21], off
	v_add_u32_e32 v20, v158, v128
	s_mul_hi_i32 s85, s8, s38
	s_mul_i32 s84, s8, s38
	s_lshl_b64 s[84:85], s[84:85], 2
	s_add_u32 s84, s2, s84
	s_addc_u32 s85, s86, s85
	s_add_i32 s82, s82, 1
	s_add_i32 s8, s8, 64
	s_cmp_lt_i32 s82, s12
	s_waitcnt vmcnt(0)
	ds_write_b128 v123, v[192:195]
	global_load_dwordx4 v[192:195], v[24:25], off
	s_waitcnt vmcnt(0)
	ds_write_b128 v160, v[192:195]
	global_load_dwordx4 v[192:195], v[28:29], off
	;; [unrolled: 3-line block ×3, first 2 shown]
	s_waitcnt vmcnt(0)
	ds_write_b128 v162, v[192:195]
	s_waitcnt lgkmcnt(0)
	s_barrier
	ds_read2_b64 v[192:195], v20 offset1:4
	s_waitcnt lgkmcnt(0)
	v_mfma_f32_16x16x16_f16 v[196:199], v[192:193], v[14:15], 0
	v_mfma_f32_16x16x16_f16 v[192:195], v[194:195], v[16:17], v[196:199]
	s_nop 6
	ds_read2_b64 v[196:199], v20 offset0:8 offset1:12
	s_waitcnt lgkmcnt(0)
	v_mfma_f32_16x16x16_f16 v[192:195], v[196:197], v[10:11], v[192:195]
	v_mfma_f32_16x16x16_f16 v[192:195], v[198:199], v[12:13], v[192:195]
	ds_read2_b64 v[196:199], v20 offset0:16 offset1:20
	s_waitcnt lgkmcnt(0)
	v_mfma_f32_16x16x16_f16 v[192:195], v[196:197], v[6:7], v[192:195]
	v_mfma_f32_16x16x16_f16 v[192:195], v[198:199], v[8:9], v[192:195]
	ds_read2_b64 v[196:199], v20 offset0:24 offset1:28
	v_add_u32_e32 v20, 0x2000, v20
	s_waitcnt lgkmcnt(0)
	v_mfma_f32_16x16x16_f16 v[192:195], v[196:197], v[2:3], v[192:195]
	v_mfma_f32_16x16x16_f16 v[192:195], v[198:199], v[4:5], v[192:195]
	ds_read2_b64 v[196:199], v20 offset0:64 offset1:68
	s_waitcnt lgkmcnt(0)
	v_mfma_f32_16x16x16_f16 v[200:203], v[196:197], v[14:15], 0
	v_mfma_f32_16x16x16_f16 v[196:199], v[198:199], v[16:17], v[200:203]
	s_nop 6
	ds_read2_b64 v[200:203], v20 offset0:72 offset1:76
	s_waitcnt lgkmcnt(0)
	v_mfma_f32_16x16x16_f16 v[196:199], v[200:201], v[10:11], v[196:199]
	v_mfma_f32_16x16x16_f16 v[196:199], v[202:203], v[12:13], v[196:199]
	ds_read2_b64 v[200:203], v20 offset0:80 offset1:84
	s_waitcnt lgkmcnt(0)
	v_mfma_f32_16x16x16_f16 v[196:199], v[200:201], v[6:7], v[196:199]
	v_mfma_f32_16x16x16_f16 v[196:199], v[202:203], v[8:9], v[196:199]
	ds_read2_b64 v[200:203], v20 offset0:88 offset1:92
	v_add_u32_e32 v20, 0x4400, v124
	s_waitcnt lgkmcnt(0)
	s_barrier
	ds_read2_b32 v[20:21], v20 offset1:1
	v_mfma_f32_16x16x16_f16 v[196:199], v[200:201], v[2:3], v[196:199]
	s_waitcnt lgkmcnt(0)
	v_cvt_f32_f16_e32 v24, v20
	v_cvt_f32_f16_sdwa v20, v20 dst_sel:DWORD dst_unused:UNUSED_PAD src0_sel:WORD_1
	v_add_f32_e32 v24, v192, v24
	v_add_f32_e32 v25, v193, v20
	v_cvt_f32_f16_e32 v20, v21
	v_cvt_f32_f16_sdwa v21, v21 dst_sel:DWORD dst_unused:UNUSED_PAD src0_sel:WORD_1
	v_mfma_f32_16x16x16_f16 v[196:199], v[202:203], v[4:5], v[196:199]
	v_lshl_add_u64 v[192:193], v[72:73], 2, s[84:85]
	v_add_f32_e32 v28, v194, v20
	ds_read_b32 v20, v130 offset:17408
	v_add_f32_e32 v29, v195, v21
	v_add_f32_e32 v44, 0x40051340, v29
	s_waitcnt lgkmcnt(0)
	v_cvt_f32_f16_e32 v21, v20
	v_cvt_f32_f16_sdwa v20, v20 dst_sel:DWORD dst_unused:UNUSED_PAD src0_sel:WORD_1
	v_add_f32_e32 v32, v196, v21
	v_add_f32_e32 v33, v197, v20
	ds_read_b32 v20, v131 offset:17408
	v_lshl_add_u64 v[196:197], v[192:193], 0, v[56:57]
	s_waitcnt lgkmcnt(0)
	v_cvt_f32_f16_e32 v21, v20
	v_cvt_f32_f16_sdwa v20, v20 dst_sel:DWORD dst_unused:UNUSED_PAD src0_sel:WORD_1
	v_add_f32_e32 v40, v198, v21
	v_add_f32_e32 v41, v199, v20
	;; [unrolled: 1-line block ×4, first 2 shown]
	v_max3_f32 v20, v36, v20, v21
	v_add_f32_e32 v21, 0x40051340, v28
	v_max3_f32 v20, v20, v21, v44
	v_add_f32_e32 v21, 0x40051340, v32
	v_add_f32_e32 v44, 0x40051340, v33
	v_max3_f32 v20, v20, v21, v44
	v_add_f32_e32 v21, 0x40051340, v40
	v_add_f32_e32 v44, 0x40051340, v41
	v_max3_f32 v20, v20, v21, v44
	ds_bpermute_b32 v21, v190, v20
	s_waitcnt lgkmcnt(0)
	v_max_f32_e32 v21, v21, v21
	v_max_f32_e32 v20, v20, v21
	ds_bpermute_b32 v21, v191, v20
	s_waitcnt lgkmcnt(0)
	v_max_f32_e32 v21, v21, v21
	v_max_f32_e32 v184, v20, v21
	v_sub_f32_e32 v20, v24, v184
	v_mul_f32_e32 v21, 0x3fb8aa3b, v20
	v_fma_f32 v24, v20, s15, -v21
	v_rndne_f32_e32 v44, v21
	v_fmac_f32_e32 v24, 0x32a5705f, v20
	v_sub_f32_e32 v21, v21, v44
	v_add_f32_e32 v21, v21, v24
	v_exp_f32_e32 v21, v21
	v_cvt_i32_f32_e32 v24, v44
	v_cmp_ngt_f32_e32 vcc, s67, v20
	v_sub_f32_e32 v36, v36, v184
	v_ldexp_f32 v21, v21, v24
	v_cndmask_b32_e32 v21, 0, v21, vcc
	v_cmp_nlt_f32_e32 vcc, s66, v20
	s_nop 1
	v_cndmask_b32_e32 v20, v183, v21, vcc
	v_sub_f32_e32 v21, v25, v184
	v_mul_f32_e32 v24, 0x3fb8aa3b, v21
	v_fma_f32 v25, v21, s15, -v24
	v_rndne_f32_e32 v44, v24
	v_fmac_f32_e32 v25, 0x32a5705f, v21
	v_sub_f32_e32 v24, v24, v44
	v_add_f32_e32 v24, v24, v25
	v_exp_f32_e32 v24, v24
	v_cvt_i32_f32_e32 v25, v44
	v_cmp_ngt_f32_e32 vcc, s67, v21
	v_ldexp_f32 v24, v24, v25
	s_nop 0
	v_cndmask_b32_e32 v24, 0, v24, vcc
	v_cmp_nlt_f32_e32 vcc, s66, v21
	s_nop 1
	v_cndmask_b32_e32 v21, v183, v24, vcc
	v_sub_f32_e32 v24, v28, v184
	v_mul_f32_e32 v28, 0x3fb8aa3b, v24
	v_fma_f32 v44, v24, s15, -v28
	v_rndne_f32_e32 v45, v28
	v_fmac_f32_e32 v44, 0x32a5705f, v24
	v_sub_f32_e32 v28, v28, v45
	v_add_f32_e32 v28, v28, v44
	v_exp_f32_e32 v28, v28
	v_cvt_i32_f32_e32 v44, v45
	v_cmp_ngt_f32_e32 vcc, s67, v24
	v_add_f32_e32 v25, v20, v21
	v_ldexp_f32 v28, v28, v44
	v_cndmask_b32_e32 v28, 0, v28, vcc
	v_cmp_nlt_f32_e32 vcc, s66, v24
	s_nop 1
	v_cndmask_b32_e32 v24, v183, v28, vcc
	v_sub_f32_e32 v28, v29, v184
	v_mul_f32_e32 v29, 0x3fb8aa3b, v28
	v_fma_f32 v44, v28, s15, -v29
	v_rndne_f32_e32 v45, v29
	v_fmac_f32_e32 v44, 0x32a5705f, v28
	v_sub_f32_e32 v29, v29, v45
	v_add_f32_e32 v29, v29, v44
	v_exp_f32_e32 v29, v29
	v_cvt_i32_f32_e32 v44, v45
	v_cmp_ngt_f32_e32 vcc, s67, v28
	v_add_f32_e32 v25, v24, v25
	v_ldexp_f32 v29, v29, v44
	v_cndmask_b32_e32 v29, 0, v29, vcc
	v_cmp_nlt_f32_e32 vcc, s66, v28
	s_nop 1
	v_cndmask_b32_e32 v28, v183, v29, vcc
	v_add_f32_e32 v29, v28, v25
	v_sub_f32_e32 v25, v32, v184
	v_mul_f32_e32 v32, 0x3fb8aa3b, v25
	v_fma_f32 v44, v25, s15, -v32
	v_rndne_f32_e32 v45, v32
	v_fmac_f32_e32 v44, 0x32a5705f, v25
	v_sub_f32_e32 v32, v32, v45
	v_add_f32_e32 v32, v32, v44
	v_exp_f32_e32 v32, v32
	v_cvt_i32_f32_e32 v44, v45
	v_cmp_ngt_f32_e32 vcc, s67, v25
	v_ldexp_f32 v32, v32, v44
	s_nop 0
	v_cndmask_b32_e32 v32, 0, v32, vcc
	v_cmp_nlt_f32_e32 vcc, s66, v25
	s_nop 1
	v_cndmask_b32_e32 v25, v183, v32, vcc
	v_add_f32_e32 v32, v25, v29
	v_sub_f32_e32 v29, v33, v184
	v_mul_f32_e32 v33, 0x3fb8aa3b, v29
	v_fma_f32 v44, v29, s15, -v33
	v_rndne_f32_e32 v45, v33
	v_fmac_f32_e32 v44, 0x32a5705f, v29
	v_sub_f32_e32 v33, v33, v45
	v_add_f32_e32 v33, v33, v44
	v_exp_f32_e32 v33, v33
	v_cvt_i32_f32_e32 v44, v45
	v_cmp_ngt_f32_e32 vcc, s67, v29
	v_ldexp_f32 v33, v33, v44
	s_nop 0
	v_cndmask_b32_e32 v33, 0, v33, vcc
	v_cmp_nlt_f32_e32 vcc, s66, v29
	s_nop 1
	v_cndmask_b32_e32 v29, v183, v33, vcc
	v_add_f32_e32 v33, v29, v32
	v_sub_f32_e32 v32, v40, v184
	v_mul_f32_e32 v40, 0x3fb8aa3b, v32
	v_fma_f32 v44, v32, s15, -v40
	v_rndne_f32_e32 v45, v40
	v_fmac_f32_e32 v44, 0x32a5705f, v32
	v_sub_f32_e32 v40, v40, v45
	v_add_f32_e32 v40, v40, v44
	v_exp_f32_e32 v40, v40
	v_cvt_i32_f32_e32 v44, v45
	v_cmp_ngt_f32_e32 vcc, s67, v32
	v_cvt_pk_f16_f32 v198, v25, v29
	v_ldexp_f32 v40, v40, v44
	v_cndmask_b32_e32 v40, 0, v40, vcc
	v_cmp_nlt_f32_e32 vcc, s66, v32
	s_nop 1
	v_cndmask_b32_e32 v32, v183, v40, vcc
	v_add_f32_e32 v40, v32, v33
	v_sub_f32_e32 v33, v41, v184
	v_mul_f32_e32 v41, 0x3fb8aa3b, v33
	v_fma_f32 v44, v33, s15, -v41
	v_rndne_f32_e32 v45, v41
	v_fmac_f32_e32 v44, 0x32a5705f, v33
	v_sub_f32_e32 v41, v41, v45
	v_add_f32_e32 v41, v41, v44
	v_exp_f32_e32 v41, v41
	v_cvt_i32_f32_e32 v44, v45
	v_cmp_ngt_f32_e32 vcc, s67, v33
	v_ldexp_f32 v41, v41, v44
	s_nop 0
	v_cndmask_b32_e32 v41, 0, v41, vcc
	v_cmp_nlt_f32_e32 vcc, s66, v33
	s_nop 1
	v_cndmask_b32_e32 v33, v183, v41, vcc
	v_add_f32_e32 v185, v33, v40
	v_mul_f32_e32 v40, 0x3fb8aa3b, v36
	v_fma_f32 v41, v36, s15, -v40
	v_rndne_f32_e32 v44, v40
	v_fmac_f32_e32 v41, 0x32a5705f, v36
	v_sub_f32_e32 v40, v40, v44
	v_add_f32_e32 v40, v40, v41
	v_exp_f32_e32 v40, v40
	v_cvt_i32_f32_e32 v41, v44
	v_cmp_ngt_f32_e32 vcc, s67, v36
	v_lshl_add_u64 v[44:45], v[70:71], 2, s[84:85]
	v_lshl_add_u64 v[44:45], v[44:45], 0, v[56:57]
	v_ldexp_f32 v40, v40, v41
	v_cndmask_b32_e32 v40, 0, v40, vcc
	v_cmp_nlt_f32_e32 vcc, s66, v36
	v_cvt_pk_f16_f32 v199, v32, v33
	s_nop 0
	v_cndmask_b32_e32 v40, v183, v40, vcc
	v_cmp_le_f32_e32 vcc, s33, v36
	s_nop 1
	v_cndmask_b32_e32 v36, 0, v40, vcc
	v_fmac_f32_e32 v185, v37, v36
	v_cvt_f16_f32_e32 v36, v36
	v_lshl_add_u64 v[40:41], v[68:69], 2, s[84:85]
	v_lshl_add_u64 v[40:41], v[40:41], 0, v[56:57]
	v_mul_u32_u24_e32 v36, 0x10001, v36
	v_pk_mul_f16 v19, v19, v36
	v_pk_mul_f16 v18, v18, v36
	;; [unrolled: 1-line block ×16, first 2 shown]
	v_lshl_add_u64 v[36:37], v[66:67], 2, s[84:85]
	v_lshl_add_u64 v[36:37], v[36:37], 0, v[56:57]
	global_load_dwordx4 v[192:195], v[36:37], off
	s_waitcnt vmcnt(0)
	ds_write_b128 v123, v[192:195]
	global_load_dwordx4 v[192:195], v[40:41], off
	s_waitcnt vmcnt(0)
	ds_write_b128 v160, v[192:195]
	;; [unrolled: 3-line block ×3, first 2 shown]
	global_load_dwordx4 v[192:195], v[196:197], off
	v_cvt_pk_f16_f32 v197, v24, v28
	v_cvt_pk_f16_f32 v196, v20, v21
	s_waitcnt vmcnt(0)
	ds_write_b128 v162, v[192:195]
	s_waitcnt lgkmcnt(0)
	s_barrier
	ds_read_u16 v36, v125 offset:272
	ds_read_u16 v37, v125 offset:544
	v_cvt_f32_f16_e32 v194, v18
	v_cvt_f32_f16_sdwa v195, v18 dst_sel:DWORD dst_unused:UNUSED_PAD src0_sel:WORD_1
	ds_read_u16 v18, v126
	ds_read_u16 v40, v126 offset:32
	v_cvt_f32_f16_e32 v192, v19
	v_cvt_f32_f16_sdwa v193, v19 dst_sel:DWORD dst_unused:UNUSED_PAD src0_sel:WORD_1
	s_waitcnt lgkmcnt(1)
	v_perm_b32 v19, v18, v37, s6
	ds_read_u16 v18, v125
	ds_read_u16 v41, v125 offset:32
	s_waitcnt lgkmcnt(1)
	v_perm_b32 v18, v36, v18, s6
	ds_read_u16 v24, v125 offset:8704
	ds_read_u16 v28, v125 offset:8976
	;; [unrolled: 1-line block ×4, first 2 shown]
	v_mfma_f32_16x16x16_f16 v[18:21], v[18:19], v[196:197], v[192:195]
	s_waitcnt lgkmcnt(0)
	v_perm_b32 v37, v37, v36, s6
	v_perm_b32 v36, v28, v24, s6
	ds_read_u16 v24, v125 offset:304
	ds_read_u16 v25, v125 offset:576
	v_cvt_f32_f16_e32 v192, v23
	v_cvt_f32_f16_sdwa v193, v23 dst_sel:DWORD dst_unused:UNUSED_PAD src0_sel:WORD_1
	v_cvt_f32_f16_e32 v194, v22
	v_cvt_f32_f16_sdwa v195, v22 dst_sel:DWORD dst_unused:UNUSED_PAD src0_sel:WORD_1
	s_waitcnt lgkmcnt(0)
	v_perm_b32 v23, v40, v25, s6
	v_perm_b32 v22, v24, v41, s6
	ds_read_u16 v28, v125 offset:8736
	ds_read_u16 v32, v125 offset:9008
	;; [unrolled: 1-line block ×4, first 2 shown]
	v_mfma_f32_16x16x16_f16 v[22:25], v[22:23], v[196:197], v[192:195]
	s_waitcnt lgkmcnt(0)
	v_perm_b32 v29, v33, v29, s6
	v_perm_b32 v28, v32, v28, s6
	v_cvt_f16_f32_e32 v18, v18
	s_nop 3
	v_cvt_f16_f32_e32 v22, v22
	v_cvt_f16_f32_e32 v23, v23
	;; [unrolled: 1-line block ×4, first 2 shown]
	v_cvt_f32_f16_e32 v22, v22
	v_cvt_f32_f16_e32 v23, v23
	;; [unrolled: 1-line block ×4, first 2 shown]
	v_cvt_f16_f32_e32 v19, v19
	v_cvt_f16_f32_e32 v20, v20
	v_mfma_f32_16x16x16_f16 v[22:25], v[28:29], v[198:199], v[22:25]
	ds_read_u16 v28, v125 offset:64
	ds_read_u16 v29, v125 offset:336
	;; [unrolled: 1-line block ×4, first 2 shown]
	v_cvt_f16_f32_e32 v21, v21
	v_cvt_f32_f16_e32 v192, v27
	v_cvt_f32_f16_sdwa v193, v27 dst_sel:DWORD dst_unused:UNUSED_PAD src0_sel:WORD_1
	v_cvt_f32_f16_e32 v194, v26
	v_cvt_f32_f16_sdwa v195, v26 dst_sel:DWORD dst_unused:UNUSED_PAD src0_sel:WORD_1
	s_waitcnt lgkmcnt(0)
	v_perm_b32 v27, v33, v32, s6
	v_perm_b32 v26, v29, v28, s6
	v_cvt_f32_f16_e32 v18, v18
	v_cvt_f32_f16_e32 v19, v19
	;; [unrolled: 1-line block ×4, first 2 shown]
	v_mfma_f32_16x16x16_f16 v[26:29], v[26:27], v[196:197], v[192:195]
	v_cvt_pk_f16_f32 v23, v22, v23
	v_cvt_pk_f16_f32 v22, v24, v25
	v_mfma_f32_16x16x16_f16 v[18:21], v[36:37], v[198:199], v[18:21]
	ds_read_u16 v32, v125 offset:8768
	ds_read_u16 v36, v125 offset:9040
	;; [unrolled: 1-line block ×4, first 2 shown]
	s_nop 0
	v_cvt_f16_f32_e32 v26, v26
	v_cvt_f16_f32_e32 v27, v27
	;; [unrolled: 1-line block ×4, first 2 shown]
	s_waitcnt lgkmcnt(0)
	v_perm_b32 v33, v37, v33, s6
	v_perm_b32 v32, v36, v32, s6
	v_cvt_f32_f16_e32 v26, v26
	v_cvt_f32_f16_e32 v27, v27
	;; [unrolled: 1-line block ×5, first 2 shown]
	v_cvt_f32_f16_sdwa v193, v31 dst_sel:DWORD dst_unused:UNUSED_PAD src0_sel:WORD_1
	v_mfma_f32_16x16x16_f16 v[26:29], v[32:33], v[198:199], v[26:29]
	ds_read_u16 v32, v125 offset:96
	ds_read_u16 v33, v125 offset:368
	ds_read_u16 v36, v125 offset:640
	ds_read_u16 v37, v126 offset:96
	v_cvt_f32_f16_e32 v194, v30
	v_cvt_f32_f16_sdwa v195, v30 dst_sel:DWORD dst_unused:UNUSED_PAD src0_sel:WORD_1
	s_waitcnt lgkmcnt(2)
	v_perm_b32 v30, v33, v32, s6
	v_cvt_pk_f16_f32 v27, v26, v27
	s_waitcnt lgkmcnt(0)
	v_perm_b32 v31, v37, v36, s6
	ds_read_u16 v36, v125 offset:8800
	ds_read_u16 v40, v125 offset:9072
	ds_read_u16 v37, v125 offset:9344
	ds_read_u16 v41, v126 offset:8800
	v_mfma_f32_16x16x16_f16 v[30:33], v[30:31], v[196:197], v[192:195]
	s_waitcnt lgkmcnt(0)
	v_perm_b32 v37, v41, v37, s6
	v_perm_b32 v36, v40, v36, s6
	v_cvt_f32_f16_e32 v192, v35
	s_nop 3
	v_cvt_f16_f32_e32 v30, v30
	v_cvt_f16_f32_e32 v31, v31
	v_cvt_f16_f32_e32 v32, v32
	v_cvt_f16_f32_e32 v33, v33
	v_cvt_f32_f16_e32 v30, v30
	v_cvt_f32_f16_e32 v31, v31
	v_cvt_f32_f16_e32 v32, v32
	v_cvt_f32_f16_e32 v33, v33
	v_cvt_f32_f16_sdwa v193, v35 dst_sel:DWORD dst_unused:UNUSED_PAD src0_sel:WORD_1
	v_cvt_f32_f16_e32 v194, v34
	v_mfma_f32_16x16x16_f16 v[30:33], v[36:37], v[198:199], v[30:33]
	ds_read_u16 v36, v125 offset:128
	ds_read_u16 v37, v125 offset:400
	ds_read_u16 v40, v125 offset:672
	ds_read_u16 v41, v126 offset:128
	v_cvt_f32_f16_sdwa v195, v34 dst_sel:DWORD dst_unused:UNUSED_PAD src0_sel:WORD_1
	v_cvt_pk_f16_f32 v26, v28, v29
	s_waitcnt lgkmcnt(2)
	v_perm_b32 v34, v37, v36, s6
	v_cvt_pk_f16_f32 v31, v30, v31
	s_waitcnt lgkmcnt(0)
	v_perm_b32 v35, v41, v40, s6
	ds_read_u16 v40, v125 offset:8832
	ds_read_u16 v44, v125 offset:9104
	ds_read_u16 v41, v125 offset:9376
	ds_read_u16 v45, v126 offset:8832
	v_mfma_f32_16x16x16_f16 v[34:37], v[34:35], v[196:197], v[192:195]
	s_waitcnt lgkmcnt(0)
	v_perm_b32 v41, v45, v41, s6
	v_perm_b32 v40, v44, v40, s6
	v_cvt_f32_f16_e32 v192, v39
	s_nop 3
	v_cvt_f16_f32_e32 v34, v34
	v_cvt_f16_f32_e32 v35, v35
	v_cvt_f16_f32_e32 v36, v36
	v_cvt_f16_f32_e32 v37, v37
	v_cvt_f32_f16_e32 v34, v34
	v_cvt_f32_f16_e32 v35, v35
	v_cvt_f32_f16_e32 v36, v36
	v_cvt_f32_f16_e32 v37, v37
	v_cvt_f32_f16_sdwa v193, v39 dst_sel:DWORD dst_unused:UNUSED_PAD src0_sel:WORD_1
	v_cvt_f32_f16_e32 v194, v38
	v_mfma_f32_16x16x16_f16 v[34:37], v[40:41], v[198:199], v[34:37]
	ds_read_u16 v40, v125 offset:160
	ds_read_u16 v41, v125 offset:432
	ds_read_u16 v44, v125 offset:704
	ds_read_u16 v45, v126 offset:160
	v_cvt_f32_f16_sdwa v195, v38 dst_sel:DWORD dst_unused:UNUSED_PAD src0_sel:WORD_1
	v_cvt_pk_f16_f32 v30, v32, v33
	;; [unrolled: 32-line block ×3, first 2 shown]
	s_waitcnt lgkmcnt(2)
	v_perm_b32 v42, v45, v44, s6
	v_cvt_pk_f16_f32 v39, v38, v39
	s_waitcnt lgkmcnt(0)
	v_perm_b32 v43, v49, v47, s6
	v_cvt_pk_f16_f32 v38, v40, v41
	v_cvt_pk_f16_f32 v19, v18, v19
	v_mfma_f32_16x16x16_f16 v[42:45], v[42:43], v[196:197], v[192:195]
	ds_read_u16 v47, v125 offset:8896
	ds_read_u16 v49, v125 offset:9168
	ds_read_u16 v56, v125 offset:9440
	ds_read_u16 v192, v126 offset:8896
	v_cvt_f32_f16_e32 v194, v46
	v_cvt_f32_f16_sdwa v195, v46 dst_sel:DWORD dst_unused:UNUSED_PAD src0_sel:WORD_1
	s_nop 1
	v_cvt_f16_f32_e32 v42, v42
	v_cvt_f16_f32_e32 v43, v43
	;; [unrolled: 1-line block ×4, first 2 shown]
	s_waitcnt lgkmcnt(0)
	v_perm_b32 v193, v192, v56, s6
	v_perm_b32 v192, v49, v47, s6
	ds_read_u16 v49, v125 offset:224
	ds_read_u16 v56, v125 offset:496
	;; [unrolled: 1-line block ×4, first 2 shown]
	v_cvt_f32_f16_e32 v42, v42
	v_cvt_f32_f16_e32 v43, v43
	;; [unrolled: 1-line block ×4, first 2 shown]
	s_waitcnt lgkmcnt(0)
	v_perm_b32 v47, v200, v47, s6
	v_perm_b32 v46, v56, v49, s6
	v_mfma_f32_16x16x16_f16 v[42:45], v[192:193], v[198:199], v[42:45]
	v_cvt_f32_f16_e32 v192, v48
	v_cvt_f32_f16_sdwa v193, v48 dst_sel:DWORD dst_unused:UNUSED_PAD src0_sel:WORD_1
	v_cvt_pk_f16_f32 v18, v20, v21
	s_nop 0
	v_mfma_f32_16x16x16_f16 v[46:49], v[46:47], v[196:197], v[192:195]
	ds_read_u16 v56, v125 offset:8928
	s_nop 1
	ds_read_u16 v192, v125 offset:9200
	ds_read_u16 v193, v125 offset:9472
	;; [unrolled: 1-line block ×3, first 2 shown]
	v_cvt_pk_f16_f32 v43, v42, v43
	v_cvt_pk_f16_f32 v42, v44, v45
	v_cvt_f16_f32_e32 v46, v46
	v_cvt_f16_f32_e32 v47, v47
	;; [unrolled: 1-line block ×4, first 2 shown]
	s_waitcnt lgkmcnt(0)
	v_perm_b32 v193, v194, v193, s6
	v_perm_b32 v192, v192, v56, s6
	v_cvt_f32_f16_e32 v46, v46
	v_cvt_f32_f16_e32 v47, v47
	;; [unrolled: 1-line block ×4, first 2 shown]
	s_barrier
	s_nop 0
	v_mfma_f32_16x16x16_f16 v[46:49], v[192:193], v[198:199], v[46:49]
	s_nop 7
	v_cvt_pk_f16_f32 v46, v46, v47
	v_cvt_pk_f16_f32 v47, v48, v49
	s_cbranch_scc1 .LBB24_51
	s_branch .LBB24_54
.LBB24_52:                              ;   in Loop: Header=BB24_12 Depth=1
	s_cbranch_execz .LBB24_11
	s_branch .LBB24_145
.LBB24_53:                              ;   in Loop: Header=BB24_12 Depth=1
	v_mov_b32_e32 v184, 0xfeffffff
	v_mov_b32_e32 v185, 0
	;; [unrolled: 1-line block ×19, first 2 shown]
.LBB24_54:                              ;   in Loop: Header=BB24_12 Depth=1
	s_lshl_b32 s8, s82, 6
	s_ashr_i32 s9, s8, 31
	s_lshl_b64 s[12:13], s[8:9], 1
	s_add_u32 s12, s76, s12
	s_addc_u32 s13, s77, s13
	v_lshl_add_u64 v[20:21], v[118:119], 1, s[12:13]
	v_lshlrev_b32_e32 v56, 1, v52
	v_lshl_add_u64 v[20:21], v[20:21], 0, v[56:57]
	global_load_dword v20, v[20:21], off
	s_mul_hi_i32 s13, s34, s8
	s_mul_i32 s12, s34, s8
	s_lshl_b64 s[12:13], s[12:13], 2
	s_add_u32 s12, s62, s12
	s_addc_u32 s13, s63, s13
	v_lshlrev_b32_e32 v56, 2, v54
	v_lshl_add_u64 v[24:25], v[60:61], 2, s[12:13]
	v_lshl_add_u64 v[24:25], v[24:25], 0, v[56:57]
	;; [unrolled: 1-line block ×6, first 2 shown]
	v_cmp_lt_i32_e32 vcc, v189, v186
	s_mul_hi_i32 s9, s38, s8
	s_mul_i32 s8, s38, s8
	s_lshl_b64 s[8:9], s[8:9], 2
	s_add_u32 s8, s2, s8
	s_addc_u32 s9, s86, s9
	s_cmp_lg_u64 s[74:75], 0
	s_waitcnt vmcnt(0)
	ds_write_b32 v122, v20 offset:17408
	v_lshl_add_u64 v[20:21], v[58:59], 2, s[12:13]
	v_lshl_add_u64 v[20:21], v[20:21], 0, v[56:57]
	global_load_dwordx4 v[118:121], v[20:21], off
	v_add_u32_e32 v20, v158, v128
	s_waitcnt vmcnt(0)
	ds_write_b128 v123, v[118:121]
	global_load_dwordx4 v[118:121], v[24:25], off
	s_waitcnt vmcnt(0)
	ds_write_b128 v160, v[118:121]
	global_load_dwordx4 v[118:121], v[28:29], off
	;; [unrolled: 3-line block ×3, first 2 shown]
	s_waitcnt vmcnt(0)
	ds_write_b128 v162, v[118:121]
	s_waitcnt lgkmcnt(0)
	s_barrier
	ds_read2_b64 v[118:121], v20 offset1:4
	s_waitcnt lgkmcnt(0)
	v_mfma_f32_16x16x16_f16 v[190:193], v[118:119], v[14:15], 0
	v_mfma_f32_16x16x16_f16 v[118:121], v[120:121], v[16:17], v[190:193]
	s_nop 6
	ds_read2_b64 v[190:193], v20 offset0:8 offset1:12
	s_waitcnt lgkmcnt(0)
	v_mfma_f32_16x16x16_f16 v[118:121], v[190:191], v[10:11], v[118:121]
	v_mfma_f32_16x16x16_f16 v[118:121], v[192:193], v[12:13], v[118:121]
	ds_read2_b64 v[190:193], v20 offset0:16 offset1:20
	s_waitcnt lgkmcnt(0)
	v_mfma_f32_16x16x16_f16 v[118:121], v[190:191], v[6:7], v[118:121]
	v_mfma_f32_16x16x16_f16 v[118:121], v[192:193], v[8:9], v[118:121]
	ds_read2_b64 v[190:193], v20 offset0:24 offset1:28
	v_add_u32_e32 v20, 0x2000, v20
	s_waitcnt lgkmcnt(0)
	v_mfma_f32_16x16x16_f16 v[118:121], v[190:191], v[2:3], v[118:121]
	v_mfma_f32_16x16x16_f16 v[118:121], v[192:193], v[4:5], v[118:121]
	ds_read2_b64 v[190:193], v20 offset0:64 offset1:68
	s_waitcnt lgkmcnt(0)
	v_mfma_f32_16x16x16_f16 v[194:197], v[190:191], v[14:15], 0
	v_mfma_f32_16x16x16_f16 v[14:17], v[192:193], v[16:17], v[194:197]
	ds_read2_b64 v[190:193], v20 offset0:72 offset1:76
	s_waitcnt lgkmcnt(0)
	v_mfma_f32_16x16x16_f16 v[14:17], v[190:191], v[10:11], v[14:17]
	v_mfma_f32_16x16x16_f16 v[10:13], v[192:193], v[12:13], v[14:17]
	s_nop 6
	ds_read2_b64 v[14:17], v20 offset0:80 offset1:84
	s_waitcnt lgkmcnt(0)
	v_mfma_f32_16x16x16_f16 v[10:13], v[14:15], v[6:7], v[10:13]
	v_mfma_f32_16x16x16_f16 v[6:9], v[16:17], v[8:9], v[10:13]
	s_nop 6
	ds_read2_b64 v[10:13], v20 offset0:88 offset1:92
	s_waitcnt lgkmcnt(0)
	v_mfma_f32_16x16x16_f16 v[6:9], v[10:11], v[2:3], v[6:9]
	v_add_u32_e32 v2, 0x4400, v124
	s_barrier
	ds_read2_b32 v[2:3], v2 offset1:1
	v_mfma_f32_16x16x16_f16 v[10:13], v[12:13], v[4:5], v[6:9]
	s_waitcnt lgkmcnt(0)
	v_cvt_f32_f16_e32 v4, v2
	v_cvt_f32_f16_sdwa v2, v2 dst_sel:DWORD dst_unused:UNUSED_PAD src0_sel:WORD_1
	s_nop 0
	v_add_f32_e32 v6, v118, v4
	v_add_f32_e32 v7, v119, v2
	v_cvt_f32_f16_e32 v2, v3
	v_cvt_f32_f16_sdwa v3, v3 dst_sel:DWORD dst_unused:UNUSED_PAD src0_sel:WORD_1
	v_add_f32_e32 v8, v120, v2
	ds_read_b32 v2, v130 offset:17408
	v_add_f32_e32 v9, v121, v3
	s_waitcnt lgkmcnt(0)
	v_cvt_f32_f16_e32 v3, v2
	v_cvt_f32_f16_sdwa v2, v2 dst_sel:DWORD dst_unused:UNUSED_PAD src0_sel:WORD_1
	v_add_f32_e32 v5, v10, v3
	v_add_f32_e32 v4, v11, v2
	ds_read_b32 v2, v131 offset:17408
	v_add_f32_e32 v10, 0x40051340, v6
	v_add_f32_e32 v11, 0x40051340, v7
	v_max3_f32 v10, v184, v10, v11
	v_add_f32_e32 v11, 0x40051340, v8
	s_waitcnt lgkmcnt(0)
	v_cvt_f32_f16_e32 v3, v2
	v_cvt_f32_f16_sdwa v2, v2 dst_sel:DWORD dst_unused:UNUSED_PAD src0_sel:WORD_1
	v_add_f32_e32 v3, v12, v3
	v_add_f32_e32 v12, 0x40051340, v9
	;; [unrolled: 1-line block ×3, first 2 shown]
	v_max3_f32 v10, v10, v11, v12
	v_add_f32_e32 v11, 0x40051340, v5
	v_add_f32_e32 v12, 0x40051340, v4
	v_max3_f32 v10, v10, v11, v12
	v_add_f32_e32 v11, 0x40051340, v3
	v_add_f32_e32 v12, 0x40051340, v2
	v_max3_f32 v10, v10, v11, v12
	v_cndmask_b32_e32 v11, v188, v189, vcc
	v_lshlrev_b32_e32 v21, 2, v11
	ds_bpermute_b32 v11, v21, v10
	v_cmp_lt_i32_e32 vcc, v187, v186
	s_waitcnt lgkmcnt(0)
	v_max_f32_e32 v11, v11, v11
	v_max_f32_e32 v10, v10, v11
	v_cndmask_b32_e32 v11, v188, v187, vcc
	v_lshlrev_b32_e32 v24, 2, v11
	ds_bpermute_b32 v11, v24, v10
	s_waitcnt lgkmcnt(0)
	v_max_f32_e32 v11, v11, v11
	v_max_f32_e32 v20, v10, v11
	v_sub_f32_e32 v6, v6, v20
	v_mul_f32_e32 v10, 0x3fb8aa3b, v6
	v_fma_f32 v11, v6, s15, -v10
	v_rndne_f32_e32 v12, v10
	v_fmac_f32_e32 v11, 0x32a5705f, v6
	v_sub_f32_e32 v10, v10, v12
	v_add_f32_e32 v10, v10, v11
	v_exp_f32_e32 v10, v10
	v_cvt_i32_f32_e32 v11, v12
	v_cmp_ngt_f32_e32 vcc, s67, v6
	v_sub_f32_e32 v7, v7, v20
	v_sub_f32_e32 v8, v8, v20
	v_ldexp_f32 v10, v10, v11
	v_cndmask_b32_e32 v10, 0, v10, vcc
	v_cmp_nlt_f32_e32 vcc, s66, v6
	v_sub_f32_e32 v9, v9, v20
	v_sub_f32_e32 v5, v5, v20
	v_cndmask_b32_e32 v6, v183, v10, vcc
	v_mul_f32_e32 v10, 0x3fb8aa3b, v7
	v_fma_f32 v11, v7, s15, -v10
	v_rndne_f32_e32 v12, v10
	v_fmac_f32_e32 v11, 0x32a5705f, v7
	v_sub_f32_e32 v10, v10, v12
	v_add_f32_e32 v10, v10, v11
	v_exp_f32_e32 v10, v10
	v_cvt_i32_f32_e32 v11, v12
	v_cmp_ngt_f32_e32 vcc, s67, v7
	v_sub_f32_e32 v4, v4, v20
	v_sub_f32_e32 v3, v3, v20
	v_ldexp_f32 v10, v10, v11
	v_mul_f32_e32 v11, 0x3fb8aa3b, v8
	v_fma_f32 v12, v8, s15, -v11
	v_rndne_f32_e32 v13, v11
	v_fmac_f32_e32 v12, 0x32a5705f, v8
	v_sub_f32_e32 v11, v11, v13
	v_add_f32_e32 v11, v11, v12
	v_exp_f32_e32 v11, v11
	v_cvt_i32_f32_e32 v12, v13
	v_cndmask_b32_e32 v10, 0, v10, vcc
	v_cmp_nlt_f32_e32 vcc, s66, v7
	v_sub_f32_e32 v2, v2, v20
	v_ldexp_f32 v11, v11, v12
	v_cndmask_b32_e32 v7, v183, v10, vcc
	v_cmp_ngt_f32_e32 vcc, s67, v8
	v_add_f32_e32 v10, v6, v7
	s_nop 0
	v_cndmask_b32_e32 v11, 0, v11, vcc
	v_cmp_nlt_f32_e32 vcc, s66, v8
	s_nop 1
	v_cndmask_b32_e32 v8, v183, v11, vcc
	v_mul_f32_e32 v11, 0x3fb8aa3b, v9
	v_fma_f32 v12, v9, s15, -v11
	v_rndne_f32_e32 v13, v11
	v_fmac_f32_e32 v12, 0x32a5705f, v9
	v_sub_f32_e32 v11, v11, v13
	v_add_f32_e32 v11, v11, v12
	v_exp_f32_e32 v11, v11
	v_cvt_i32_f32_e32 v12, v13
	v_cmp_ngt_f32_e32 vcc, s67, v9
	v_add_f32_e32 v10, v8, v10
	v_ldexp_f32 v11, v11, v12
	v_cndmask_b32_e32 v11, 0, v11, vcc
	v_cmp_nlt_f32_e32 vcc, s66, v9
	s_nop 1
	v_cndmask_b32_e32 v36, v183, v11, vcc
	v_add_f32_e32 v9, v36, v10
	v_mul_f32_e32 v10, 0x3fb8aa3b, v5
	v_fma_f32 v11, v5, s15, -v10
	v_rndne_f32_e32 v12, v10
	v_fmac_f32_e32 v11, 0x32a5705f, v5
	v_sub_f32_e32 v10, v10, v12
	v_add_f32_e32 v10, v10, v11
	v_exp_f32_e32 v10, v10
	v_cvt_i32_f32_e32 v11, v12
	v_cmp_ngt_f32_e32 vcc, s67, v5
	v_ldexp_f32 v10, v10, v11
	s_nop 0
	v_cndmask_b32_e32 v10, 0, v10, vcc
	v_cmp_nlt_f32_e32 vcc, s66, v5
	s_nop 1
	v_cndmask_b32_e32 v37, v183, v10, vcc
	v_add_f32_e32 v5, v37, v9
	v_mul_f32_e32 v9, 0x3fb8aa3b, v4
	v_fma_f32 v10, v4, s15, -v9
	v_rndne_f32_e32 v11, v9
	v_fmac_f32_e32 v10, 0x32a5705f, v4
	v_sub_f32_e32 v9, v9, v11
	v_add_f32_e32 v9, v9, v10
	v_exp_f32_e32 v9, v9
	v_cvt_i32_f32_e32 v10, v11
	v_cmp_ngt_f32_e32 vcc, s67, v4
	v_ldexp_f32 v9, v9, v10
	s_nop 0
	;; [unrolled: 16-line block ×4, first 2 shown]
	v_cndmask_b32_e32 v4, 0, v4, vcc
	v_cmp_nlt_f32_e32 vcc, s66, v2
	v_sub_f32_e32 v2, v184, v20
	s_nop 0
	v_cndmask_b32_e32 v44, v183, v4, vcc
	v_add_f32_e32 v25, v44, v3
	v_mul_f32_e32 v3, 0x3fb8aa3b, v2
	v_fma_f32 v4, v2, s15, -v3
	v_rndne_f32_e32 v5, v3
	v_fmac_f32_e32 v4, 0x32a5705f, v2
	v_sub_f32_e32 v3, v3, v5
	v_add_f32_e32 v3, v3, v4
	v_exp_f32_e32 v3, v3
	v_cvt_i32_f32_e32 v4, v5
	v_cmp_ngt_f32_e32 vcc, s67, v2
	v_ldexp_f32 v3, v3, v4
	s_nop 0
	v_cndmask_b32_e32 v3, 0, v3, vcc
	v_cmp_nlt_f32_e32 vcc, s66, v2
	v_lshl_add_u64 v[4:5], v[68:69], 2, s[8:9]
	s_nop 0
	v_cndmask_b32_e32 v3, v183, v3, vcc
	v_cmp_le_f32_e32 vcc, s33, v2
	s_nop 1
	v_cndmask_b32_e32 v2, 0, v3, vcc
	v_fmac_f32_e32 v25, v185, v2
	v_cvt_f16_f32_e32 v2, v2
	v_mul_u32_u24_e32 v2, 0x10001, v2
	v_pk_mul_f16 v19, v19, v2
	v_pk_mul_f16 v18, v18, v2
	;; [unrolled: 1-line block ×16, first 2 shown]
	v_lshl_add_u64 v[2:3], v[66:67], 2, s[8:9]
	v_lshl_add_u64 v[22:23], v[4:5], 0, v[56:57]
	;; [unrolled: 1-line block ×7, first 2 shown]
	global_load_dwordx4 v[2:5], v[2:3], off
	v_cvt_f32_f16_e32 v42, v10
	v_cvt_f32_f16_sdwa v43, v10 dst_sel:DWORD dst_unused:UNUSED_PAD src0_sel:WORD_1
	v_cvt_f32_f16_sdwa v45, v13 dst_sel:DWORD dst_unused:UNUSED_PAD src0_sel:WORD_1
	v_cvt_f32_f16_e32 v46, v12
	v_cvt_f32_f16_sdwa v47, v12 dst_sel:DWORD dst_unused:UNUSED_PAD src0_sel:WORD_1
	v_cvt_f32_f16_e32 v48, v14
	;; [unrolled: 2-line block ×4, first 2 shown]
	v_cvt_f32_f16_sdwa v121, v16 dst_sel:DWORD dst_unused:UNUSED_PAD src0_sel:WORD_1
	s_cselect_b64 s[8:9], -1, 0
	s_and_b64 s[12:13], s[0:1], s[8:9]
	s_waitcnt vmcnt(0)
	ds_write_b128 v123, v[2:5]
	global_load_dwordx4 v[2:5], v[22:23], off
	s_waitcnt vmcnt(0)
	ds_write_b128 v160, v[2:5]
	global_load_dwordx4 v[2:5], v[26:27], off
	;; [unrolled: 3-line block ×3, first 2 shown]
	s_waitcnt vmcnt(0)
	ds_write_b128 v162, v[2:5]
	s_waitcnt lgkmcnt(0)
	s_barrier
	ds_read_u16 v22, v125 offset:272
	ds_read_u16 v23, v125 offset:544
	v_cvt_f32_f16_e32 v4, v18
	v_cvt_f32_f16_sdwa v5, v18 dst_sel:DWORD dst_unused:UNUSED_PAD src0_sel:WORD_1
	ds_read_u16 v18, v126
	ds_read_u16 v27, v126 offset:32
	v_cvt_f32_f16_e32 v2, v19
	v_cvt_f32_f16_sdwa v3, v19 dst_sel:DWORD dst_unused:UNUSED_PAD src0_sel:WORD_1
	s_waitcnt lgkmcnt(1)
	v_perm_b32 v19, v18, v23, s6
	ds_read_u16 v18, v125
	ds_read_u16 v35, v125 offset:32
	v_cvt_pk_f16_f32 v23, v8, v36
	s_waitcnt lgkmcnt(1)
	v_perm_b32 v18, v22, v18, s6
	v_cvt_pk_f16_f32 v22, v6, v7
	s_nop 1
	v_mfma_f32_16x16x16_f16 v[2:5], v[18:19], v[22:23], v[2:5]
	ds_read_u16 v6, v125 offset:8704
	ds_read_u16 v8, v125 offset:8976
	;; [unrolled: 1-line block ×4, first 2 shown]
	v_cvt_pk_f16_f32 v19, v41, v44
	v_cvt_f32_f16_sdwa v41, v11 dst_sel:DWORD dst_unused:UNUSED_PAD src0_sel:WORD_1
	s_nop 1
	v_cvt_f16_f32_e32 v2, v2
	v_cvt_f16_f32_e32 v3, v3
	;; [unrolled: 1-line block ×4, first 2 shown]
	s_waitcnt lgkmcnt(0)
	v_perm_b32 v7, v18, v7, s6
	v_perm_b32 v6, v8, v6, s6
	v_cvt_f32_f16_e32 v2, v2
	v_cvt_f32_f16_e32 v3, v3
	;; [unrolled: 1-line block ×4, first 2 shown]
	v_cvt_pk_f16_f32 v18, v37, v40
	ds_read_u16 v8, v125 offset:304
	ds_read_u16 v36, v125 offset:576
	v_mfma_f32_16x16x16_f16 v[2:5], v[6:7], v[18:19], v[2:5]
	v_cvt_f32_f16_e32 v6, v29
	v_cvt_f32_f16_sdwa v7, v29 dst_sel:DWORD dst_unused:UNUSED_PAD src0_sel:WORD_1
	s_waitcnt lgkmcnt(0)
	v_perm_b32 v37, v27, v36, s6
	v_perm_b32 v36, v8, v35, s6
	s_nop 2
	v_cvt_f16_f32_e32 v4, v4
	v_cvt_f16_f32_e32 v5, v5
	v_cvt_f32_f16_e32 v40, v11
	v_cvt_f32_f16_e32 v44, v13
	v_cvt_f16_f32_e32 v30, v2
	v_perm_b32 v26, v5, v4, s6
	v_cvt_f32_f16_e32 v4, v32
	v_cvt_f32_f16_sdwa v5, v32 dst_sel:DWORD dst_unused:UNUSED_PAD src0_sel:WORD_1
	ds_read_u16 v8, v125 offset:8736
	ds_read_u16 v27, v125 offset:9008
	;; [unrolled: 1-line block ×4, first 2 shown]
	v_mfma_f32_16x16x16_f16 v[4:7], v[36:37], v[22:23], v[4:7]
	s_waitcnt lgkmcnt(2)
	v_perm_b32 v36, v27, v8, s6
	s_waitcnt lgkmcnt(0)
	v_perm_b32 v37, v32, v29, s6
	v_cvt_f32_f16_e32 v8, v9
	s_nop 2
	v_cvt_f16_f32_e32 v4, v4
	v_cvt_f16_f32_e32 v5, v5
	;; [unrolled: 1-line block ×4, first 2 shown]
	v_cvt_f32_f16_e32 v4, v4
	v_cvt_f32_f16_e32 v5, v5
	;; [unrolled: 1-line block ×4, first 2 shown]
	v_cvt_f32_f16_sdwa v9, v9 dst_sel:DWORD dst_unused:UNUSED_PAD src0_sel:WORD_1
	v_cvt_f16_f32_e32 v31, v3
	v_mfma_f32_16x16x16_f16 v[4:7], v[36:37], v[18:19], v[4:7]
	ds_read_u16 v32, v125 offset:64
	ds_read_u16 v37, v125 offset:336
	;; [unrolled: 1-line block ×4, first 2 shown]
	v_perm_b32 v30, v31, v30, s6
	s_nop 2
	v_cvt_f16_f32_e32 v6, v6
	v_cvt_f16_f32_e32 v7, v7
	s_waitcnt lgkmcnt(0)
	v_perm_b32 v29, v38, v29, s6
	v_cvt_f16_f32_e32 v35, v4
	v_cvt_f16_f32_e32 v36, v5
	v_perm_b32 v27, v7, v6, s6
	v_cvt_f32_f16_e32 v6, v28
	v_cvt_f32_f16_sdwa v7, v28 dst_sel:DWORD dst_unused:UNUSED_PAD src0_sel:WORD_1
	v_perm_b32 v28, v37, v32, s6
	v_perm_b32 v35, v36, v35, s6
	s_nop 0
	v_mfma_f32_16x16x16_f16 v[6:9], v[28:29], v[22:23], v[6:9]
	ds_read_u16 v28, v125 offset:8768
	ds_read_u16 v32, v125 offset:9040
	;; [unrolled: 1-line block ×4, first 2 shown]
	s_nop 3
	v_cvt_f16_f32_e32 v6, v6
	v_cvt_f16_f32_e32 v7, v7
	;; [unrolled: 1-line block ×4, first 2 shown]
	s_waitcnt lgkmcnt(0)
	v_perm_b32 v29, v37, v29, s6
	v_perm_b32 v28, v32, v28, s6
	v_cvt_f32_f16_e32 v6, v6
	v_cvt_f32_f16_e32 v7, v7
	;; [unrolled: 1-line block ×4, first 2 shown]
	s_nop 1
	v_mfma_f32_16x16x16_f16 v[6:9], v[28:29], v[18:19], v[6:9]
	s_nop 7
	v_cvt_f16_f32_e32 v8, v8
	v_cvt_f16_f32_e32 v9, v9
	;; [unrolled: 1-line block ×4, first 2 shown]
	v_perm_b32 v28, v9, v8, s6
	ds_read_u16 v8, v125 offset:96
	ds_read_u16 v29, v125 offset:368
	;; [unrolled: 1-line block ×4, first 2 shown]
	s_waitcnt lgkmcnt(2)
	v_perm_b32 v8, v29, v8, s6
	s_waitcnt lgkmcnt(0)
	v_perm_b32 v9, v32, v9, s6
	s_nop 1
	v_mfma_f32_16x16x16_f16 v[8:11], v[8:9], v[22:23], v[40:43]
	ds_read_u16 v29, v125 offset:8800
	ds_read_u16 v32, v125 offset:9072
	;; [unrolled: 1-line block ×4, first 2 shown]
	s_nop 3
	v_cvt_f16_f32_e32 v8, v8
	v_cvt_f16_f32_e32 v9, v9
	;; [unrolled: 1-line block ×4, first 2 shown]
	s_waitcnt lgkmcnt(0)
	v_perm_b32 v41, v40, v37, s6
	v_perm_b32 v40, v32, v29, s6
	v_cvt_f32_f16_e32 v8, v8
	v_cvt_f32_f16_e32 v9, v9
	;; [unrolled: 1-line block ×4, first 2 shown]
	s_nop 1
	v_mfma_f32_16x16x16_f16 v[8:11], v[40:41], v[18:19], v[8:11]
	s_nop 7
	v_cvt_f16_f32_e32 v10, v10
	v_cvt_f16_f32_e32 v11, v11
	;; [unrolled: 1-line block ×4, first 2 shown]
	v_perm_b32 v29, v11, v10, s6
	ds_read_u16 v10, v125 offset:128
	ds_read_u16 v32, v125 offset:400
	;; [unrolled: 1-line block ×4, first 2 shown]
	s_waitcnt lgkmcnt(2)
	v_perm_b32 v10, v32, v10, s6
	s_waitcnt lgkmcnt(0)
	v_perm_b32 v11, v37, v11, s6
	ds_read_u16 v32, v125 offset:8832
	ds_read_u16 v37, v125 offset:9104
	;; [unrolled: 1-line block ×4, first 2 shown]
	v_mfma_f32_16x16x16_f16 v[10:13], v[10:11], v[22:23], v[44:47]
	s_waitcnt lgkmcnt(0)
	s_nop 1
	v_perm_b32 v45, v43, v40, s6
	v_perm_b32 v44, v37, v32, s6
	v_cvt_f32_f16_e32 v46, v15
	s_nop 1
	v_cvt_f16_f32_e32 v10, v10
	v_cvt_f16_f32_e32 v11, v11
	;; [unrolled: 1-line block ×4, first 2 shown]
	v_cvt_f32_f16_e32 v10, v10
	v_cvt_f32_f16_e32 v11, v11
	;; [unrolled: 1-line block ×4, first 2 shown]
	v_cvt_f32_f16_sdwa v47, v15 dst_sel:DWORD dst_unused:UNUSED_PAD src0_sel:WORD_1
	s_nop 0
	v_mfma_f32_16x16x16_f16 v[10:13], v[44:45], v[18:19], v[10:13]
	s_nop 7
	v_cvt_f16_f32_e32 v12, v12
	v_cvt_f16_f32_e32 v13, v13
	;; [unrolled: 1-line block ×4, first 2 shown]
	v_perm_b32 v32, v13, v12, s6
	ds_read_u16 v12, v125 offset:160
	ds_read_u16 v37, v125 offset:432
	ds_read_u16 v13, v125 offset:704
	ds_read_u16 v40, v126 offset:160
	s_waitcnt lgkmcnt(2)
	v_perm_b32 v12, v37, v12, s6
	s_waitcnt lgkmcnt(0)
	v_perm_b32 v13, v40, v13, s6
	s_nop 1
	v_mfma_f32_16x16x16_f16 v[12:15], v[12:13], v[22:23], v[46:49]
	ds_read_u16 v37, v125 offset:8864
	ds_read_u16 v40, v125 offset:9136
	ds_read_u16 v45, v125 offset:9408
	ds_read_u16 v46, v126 offset:8864
	s_nop 3
	v_cvt_f16_f32_e32 v12, v12
	v_cvt_f16_f32_e32 v13, v13
	;; [unrolled: 1-line block ×4, first 2 shown]
	s_waitcnt lgkmcnt(0)
	v_perm_b32 v47, v46, v45, s6
	v_perm_b32 v46, v40, v37, s6
	v_cvt_f32_f16_e32 v12, v12
	v_cvt_f32_f16_e32 v13, v13
	v_cvt_f32_f16_e32 v14, v14
	v_cvt_f32_f16_e32 v15, v15
	s_nop 1
	v_mfma_f32_16x16x16_f16 v[12:15], v[46:47], v[18:19], v[12:15]
	s_nop 7
	v_cvt_f16_f32_e32 v14, v14
	v_cvt_f16_f32_e32 v15, v15
	;; [unrolled: 1-line block ×4, first 2 shown]
	v_perm_b32 v37, v15, v14, s6
	ds_read_u16 v14, v125 offset:192
	ds_read_u16 v40, v125 offset:464
	;; [unrolled: 1-line block ×4, first 2 shown]
	s_waitcnt lgkmcnt(2)
	v_perm_b32 v14, v40, v14, s6
	s_waitcnt lgkmcnt(0)
	v_perm_b32 v15, v47, v15, s6
	ds_read_u16 v40, v125 offset:8896
	ds_read_u16 v47, v125 offset:9168
	ds_read_u16 v48, v125 offset:9440
	ds_read_u16 v49, v126 offset:8896
	v_mfma_f32_16x16x16_f16 v[14:17], v[14:15], v[22:23], v[118:121]
	s_waitcnt lgkmcnt(0)
	v_perm_b32 v49, v49, v48, s6
	v_perm_b32 v48, v47, v40, s6
	v_cvt_f32_f16_e32 v118, v34
	s_nop 3
	v_cvt_f16_f32_e32 v14, v14
	v_cvt_f16_f32_e32 v15, v15
	;; [unrolled: 1-line block ×4, first 2 shown]
	v_cvt_f32_f16_e32 v14, v14
	v_cvt_f32_f16_e32 v15, v15
	;; [unrolled: 1-line block ×4, first 2 shown]
	v_cvt_f32_f16_sdwa v119, v34 dst_sel:DWORD dst_unused:UNUSED_PAD src0_sel:WORD_1
	v_cvt_f32_f16_e32 v120, v33
	v_mfma_f32_16x16x16_f16 v[14:17], v[48:49], v[18:19], v[14:17]
	v_cvt_f32_f16_sdwa v121, v33 dst_sel:DWORD dst_unused:UNUSED_PAD src0_sel:WORD_1
	s_nop 6
	v_cvt_f16_f32_e32 v16, v16
	v_cvt_f16_f32_e32 v17, v17
	;; [unrolled: 1-line block ×4, first 2 shown]
	v_perm_b32 v40, v17, v16, s6
	ds_read_u16 v16, v125 offset:224
	ds_read_u16 v49, v125 offset:496
	;; [unrolled: 1-line block ×4, first 2 shown]
	s_waitcnt lgkmcnt(2)
	v_perm_b32 v16, v49, v16, s6
	s_waitcnt lgkmcnt(0)
	v_perm_b32 v17, v56, v17, s6
	s_nop 1
	v_mfma_f32_16x16x16_f16 v[118:121], v[16:17], v[22:23], v[118:121]
	ds_read_u16 v16, v125 offset:8928
	ds_read_u16 v17, v125 offset:9200
	;; [unrolled: 1-line block ×4, first 2 shown]
	s_waitcnt lgkmcnt(0)
	s_barrier
	s_nop 1
	v_cvt_f16_f32_e32 v22, v118
	v_cvt_f16_f32_e32 v23, v119
	;; [unrolled: 1-line block ×4, first 2 shown]
	v_cvt_f32_f16_e32 v118, v22
	v_cvt_f32_f16_e32 v119, v23
	v_perm_b32 v23, v56, v49, s6
	v_perm_b32 v22, v17, v16, s6
	v_cvt_f32_f16_e32 v120, v33
	v_cvt_f32_f16_e32 v121, v34
	v_perm_b32 v33, v42, v41, s6
	v_perm_b32 v34, v39, v38, s6
	v_mfma_f32_16x16x16_f16 v[16:19], v[22:23], v[18:19], v[118:121]
	s_nop 7
	v_cvt_f16_f32_e32 v18, v18
	v_cvt_f16_f32_e32 v19, v19
	v_cvt_f16_f32_e32 v22, v16
	v_cvt_f16_f32_e32 v23, v17
	v_perm_b32 v18, v19, v18, s6
	ds_bpermute_b32 v19, v21, v25
	s_waitcnt lgkmcnt(0)
	v_add_f32_e32 v19, v25, v19
	ds_bpermute_b32 v21, v24, v19
	v_perm_b32 v25, v44, v43, s6
	s_waitcnt lgkmcnt(0)
	v_add_f32_e32 v21, v19, v21
	v_perm_b32 v19, v23, v22, s6
	v_perm_b32 v22, v48, v47, s6
	;; [unrolled: 1-line block ×3, first 2 shown]
	s_and_saveexec_b64 s[8:9], s[12:13]
	s_cbranch_execz .LBB24_56
; %bb.55:                               ;   in Loop: Header=BB24_12 Depth=1
	v_cvt_pk_f16_f32 v3, v2, v3
	v_lshlrev_b32_e32 v2, 2, v94
	v_cvt_pk_f16_f32 v4, v4, v5
	v_cvt_pk_f16_f32 v5, v6, v7
	;; [unrolled: 1-line block ×3, first 2 shown]
	global_load_dword v11, v2, s[74:75]
	v_cvt_pk_f16_f32 v6, v8, v9
	v_cvt_pk_f16_f32 v8, v12, v13
	v_max_f32_e32 v12, v20, v20
	v_cvt_pk_f16_f32 v9, v14, v15
	v_cvt_pk_f16_f32 v10, v16, v17
	s_waitcnt vmcnt(0)
	v_max_f32_e32 v2, v11, v11
	v_max_f32_e32 v2, v12, v2
	v_sub_f32_e32 v12, v20, v2
	v_mul_f32_e32 v13, 0x3fb8aa3b, v12
	v_fma_f32 v14, v12, s15, -v13
	v_rndne_f32_e32 v15, v13
	v_fmac_f32_e32 v14, 0x32a5705f, v12
	v_sub_f32_e32 v13, v13, v15
	v_add_f32_e32 v13, v13, v14
	v_exp_f32_e32 v13, v13
	v_cvt_i32_f32_e32 v14, v15
	v_cmp_ngt_f32_e32 vcc, s67, v12
	v_sub_f32_e32 v11, v11, v2
	v_ldexp_f32 v13, v13, v14
	v_cndmask_b32_e32 v13, 0, v13, vcc
	v_cmp_nlt_f32_e32 vcc, s66, v12
	s_nop 1
	v_cndmask_b32_e32 v13, v183, v13, vcc
	v_cmp_le_f32_e32 vcc, s33, v12
	s_nop 1
	v_cndmask_b32_e32 v12, 0, v13, vcc
	v_cvt_f16_f32_e32 v13, v12
	v_cmp_ngt_f32_e32 vcc, s67, v11
	v_mul_u32_u24_e32 v13, 0x10001, v13
	v_pk_mul_f16 v30, v3, v13
	v_mul_f32_e32 v3, 0x3fb8aa3b, v11
	v_pk_mul_f16 v35, v4, v13
	v_pk_mul_f16 v34, v5, v13
	v_fma_f32 v4, v11, s15, -v3
	v_rndne_f32_e32 v5, v3
	v_fmac_f32_e32 v4, 0x32a5705f, v11
	v_sub_f32_e32 v3, v3, v5
	v_add_f32_e32 v3, v3, v4
	v_exp_f32_e32 v3, v3
	v_cvt_i32_f32_e32 v4, v5
	v_pk_mul_f16 v26, v26, v13
	v_pk_mul_f16 v27, v27, v13
	;; [unrolled: 1-line block ×3, first 2 shown]
	v_ldexp_f32 v3, v3, v4
	v_cndmask_b32_e32 v3, 0, v3, vcc
	v_cmp_nlt_f32_e32 vcc, s66, v11
	v_pk_mul_f16 v33, v6, v13
	v_pk_mul_f16 v29, v29, v13
	v_cndmask_b32_e32 v3, v183, v3, vcc
	v_fmac_f32_e32 v3, v21, v12
	v_pk_mul_f16 v25, v7, v13
	v_pk_mul_f16 v32, v32, v13
	;; [unrolled: 1-line block ×8, first 2 shown]
	v_mov_b64_e32 v[20:21], v[2:3]
.LBB24_56:                              ;   in Loop: Header=BB24_12 Depth=1
	s_or_b64 exec, exec, s[8:9]
	s_and_saveexec_b64 s[8:9], s[4:5]
; %bb.57:                               ;   in Loop: Header=BB24_12 Depth=1
	v_add_u32_e32 v2, 0, v132
	ds_write2_b32 v2, v20, v21 offset0:64 offset1:65
; %bb.58:                               ;   in Loop: Header=BB24_12 Depth=1
	s_or_b64 exec, exec, s[8:9]
	s_waitcnt lgkmcnt(0)
	s_barrier
	s_and_saveexec_b64 s[8:9], s[10:11]
	s_xor_b64 s[8:9], exec, s[8:9]
	s_cbranch_execz .LBB24_60
; %bb.59:                               ;   in Loop: Header=BB24_12 Depth=1
	s_barrier
                                        ; implicit-def: $vgpr24
.LBB24_60:                              ;   in Loop: Header=BB24_12 Depth=1
	s_andn2_saveexec_b64 s[8:9], s[8:9]
	s_cbranch_execz .LBB24_66
; %bb.61:                               ;   in Loop: Header=BB24_12 Depth=1
	v_add_u32_e32 v3, 0, v133
	ds_read_b64 v[6:7], v3 offset:256
	s_waitcnt lgkmcnt(0)
	s_barrier
	ds_bpermute_b32 v2, v24, v6
	v_max_f32_e32 v4, v6, v6
	s_waitcnt lgkmcnt(0)
	v_max_f32_e32 v2, v2, v2
	v_max_f32_e32 v2, v4, v2
	v_sub_f32_e32 v4, v6, v2
	v_mul_f32_e32 v5, 0x3fb8aa3b, v4
	v_fma_f32 v6, v4, s15, -v5
	v_rndne_f32_e32 v8, v5
	v_fmac_f32_e32 v6, 0x32a5705f, v4
	v_sub_f32_e32 v5, v5, v8
	v_add_f32_e32 v5, v5, v6
	v_cvt_i32_f32_e32 v8, v8
	v_exp_f32_e32 v5, v5
	v_cmp_ngt_f32_e32 vcc, s67, v4
	v_ldexp_f32 v5, v5, v8
	s_nop 0
	v_cndmask_b32_e32 v5, 0, v5, vcc
	v_cmp_nlt_f32_e32 vcc, s66, v4
	s_nop 1
	v_cndmask_b32_e32 v4, v183, v5, vcc
	v_mul_f32_e32 v5, v7, v4
	ds_bpermute_b32 v5, v24, v5
	s_waitcnt lgkmcnt(0)
	v_fmac_f32_e32 v5, v7, v4
	s_mov_b64 s[12:13], exec
	v_readlane_b32 s82, v215, 10
	v_readlane_b32 s83, v215, 11
	s_and_b64 s[82:83], s[12:13], s[82:83]
	s_mov_b64 exec, s[82:83]
; %bb.62:                               ;   in Loop: Header=BB24_12 Depth=1
	ds_write_b64 v3, v[4:5] offset:256
; %bb.63:                               ;   in Loop: Header=BB24_12 Depth=1
	s_or_b64 exec, exec, s[12:13]
	s_and_saveexec_b64 s[12:13], s[4:5]
	s_cbranch_execz .LBB24_65
; %bb.64:                               ;   in Loop: Header=BB24_12 Depth=1
	v_mov_b32_e32 v3, v5
	global_store_dwordx2 v[74:75], v[2:3], off
.LBB24_65:                              ;   in Loop: Header=BB24_12 Depth=1
	s_or_b64 exec, exec, s[12:13]
.LBB24_66:                              ;   in Loop: Header=BB24_12 Depth=1
	s_or_b64 exec, exec, s[8:9]
	v_add_u32_e32 v2, v129, v134
	ds_write2_b32 v2, v30, v26 offset1:1
	ds_write2_b32 v2, v35, v27 offset0:8 offset1:9
	ds_write2_b32 v2, v34, v28 offset0:16 offset1:17
	;; [unrolled: 1-line block ×7, first 2 shown]
	s_waitcnt lgkmcnt(0)
	s_barrier
	s_and_saveexec_b64 s[82:83], s[0:1]
	s_cbranch_execz .LBB24_144
; %bb.67:                               ;   in Loop: Header=BB24_12 Depth=1
	v_add_u32_e32 v3, s42, v172
	v_or_b32_e32 v2, s7, v98
	v_cmp_gt_i32_e64 s[8:9], s36, v3
	v_cmp_gt_i32_e32 vcc, s3, v2
	s_and_b64 s[12:13], s[8:9], vcc
	v_mov_b32_e32 v2, 0x47
	s_and_saveexec_b64 s[8:9], s[12:13]
	s_cbranch_execz .LBB24_69
; %bb.68:                               ;   in Loop: Header=BB24_12 Depth=1
	v_mad_u64_u32 v[2:3], s[12:13], v3, s37, v[98:99]
	v_add_u32_e32 v3, 0, v135
	ds_read2st64_b32 v[4:5], v3 offset0:1 offset1:18
	v_add_u32_e32 v3, v127, v135
	ds_read2st64_b32 v[6:7], v3 offset1:17
	v_lshl_add_u32 v2, v2, 6, v50
	v_ashrrev_i32_e32 v3, 31, v2
	v_lshl_add_u64 v[2:3], v[2:3], 3, s[72:73]
	s_waitcnt lgkmcnt(0)
	v_cvt_f32_f16_e32 v8, v6
	v_cvt_f32_f16_sdwa v9, v6 dst_sel:DWORD dst_unused:UNUSED_PAD src0_sel:WORD_1
	v_cvt_f32_f16_e32 v6, v7
	v_cvt_f32_f16_sdwa v7, v7 dst_sel:DWORD dst_unused:UNUSED_PAD src0_sel:WORD_1
	v_pk_fma_f32 v[8:9], v[4:5], v[8:9], 0 op_sel_hi:[0,1,0]
	v_mov_b32_e32 v4, v5
	v_pk_fma_f32 v[4:5], v[4:5], v[6:7], v[8:9] op_sel_hi:[0,1,1]
	global_store_dwordx2 v[2:3], v[4:5], off
	v_mov_b32_e32 v2, 0
.LBB24_69:                              ;   in Loop: Header=BB24_12 Depth=1
	s_or_b64 exec, exec, s[8:9]
	s_movk_i32 s8, 0x47
	v_cmp_gt_i32_e64 s[8:9], s8, v2
	s_mov_b64 s[12:13], -1
	s_and_saveexec_b64 s[84:85], s[8:9]
; %bb.70:                               ;   in Loop: Header=BB24_12 Depth=1
	v_cmp_eq_u32_e64 s[8:9], 0, v2
	s_orn2_b64 s[12:13], s[8:9], exec
; %bb.71:                               ;   in Loop: Header=BB24_12 Depth=1
	s_or_b64 exec, exec, s[84:85]
	s_and_b64 exec, exec, s[12:13]
	s_cbranch_execz .LBB24_144
; %bb.72:                               ;   in Loop: Header=BB24_12 Depth=1
	v_add_u32_e32 v3, s42, v173
	v_or_b32_e32 v2, s7, v78
	v_cmp_gt_i32_e64 s[8:9], s36, v3
	v_cmp_gt_i32_e64 s[12:13], s3, v2
	s_and_b64 s[12:13], s[8:9], s[12:13]
	v_mov_b32_e32 v2, 0x47
	s_and_saveexec_b64 s[8:9], s[12:13]
	s_cbranch_execz .LBB24_74
; %bb.73:                               ;   in Loop: Header=BB24_12 Depth=1
	v_mad_u64_u32 v[2:3], s[12:13], v3, s37, v[78:79]
	v_add_u32_e32 v3, 0, v136
	ds_read2st64_b32 v[4:5], v3 offset0:1 offset1:18
	v_add_u32_e32 v3, v127, v136
	ds_read2st64_b32 v[6:7], v3 offset1:17
	v_lshl_add_u32 v2, v2, 6, v50
	v_ashrrev_i32_e32 v3, 31, v2
	v_lshl_add_u64 v[2:3], v[2:3], 3, s[72:73]
	s_waitcnt lgkmcnt(0)
	v_cvt_f32_f16_e32 v8, v6
	v_cvt_f32_f16_sdwa v9, v6 dst_sel:DWORD dst_unused:UNUSED_PAD src0_sel:WORD_1
	v_cvt_f32_f16_e32 v6, v7
	v_cvt_f32_f16_sdwa v7, v7 dst_sel:DWORD dst_unused:UNUSED_PAD src0_sel:WORD_1
	v_pk_fma_f32 v[8:9], v[4:5], v[8:9], 0 op_sel_hi:[0,1,0]
	v_mov_b32_e32 v4, v5
	v_pk_fma_f32 v[4:5], v[4:5], v[6:7], v[8:9] op_sel_hi:[0,1,1]
	global_store_dwordx2 v[2:3], v[4:5], off
	v_mov_b32_e32 v2, 0
.LBB24_74:                              ;   in Loop: Header=BB24_12 Depth=1
	s_or_b64 exec, exec, s[8:9]
	s_movk_i32 s8, 0x47
	v_cmp_gt_i32_e64 s[8:9], s8, v2
	s_mov_b64 s[12:13], -1
	s_and_saveexec_b64 s[84:85], s[8:9]
; %bb.75:                               ;   in Loop: Header=BB24_12 Depth=1
	v_cmp_eq_u32_e64 s[8:9], 0, v2
	s_orn2_b64 s[12:13], s[8:9], exec
; %bb.76:                               ;   in Loop: Header=BB24_12 Depth=1
	s_or_b64 exec, exec, s[84:85]
	s_and_b64 exec, exec, s[12:13]
	s_cbranch_execz .LBB24_144
; %bb.77:                               ;   in Loop: Header=BB24_12 Depth=1
	v_add_u32_e32 v3, s42, v137
	v_cmp_gt_i32_e64 s[8:9], s36, v3
	s_and_b64 s[12:13], s[8:9], vcc
	v_mov_b32_e32 v2, 0x47
	s_and_saveexec_b64 s[8:9], s[12:13]
	s_cbranch_execz .LBB24_79
; %bb.78:                               ;   in Loop: Header=BB24_12 Depth=1
	v_mad_u64_u32 v[2:3], s[12:13], v3, s37, v[98:99]
	v_add_u32_e32 v3, 0, v138
	ds_read2st64_b32 v[4:5], v3 offset0:1 offset1:18
	v_add_u32_e32 v3, v127, v138
	ds_read2st64_b32 v[6:7], v3 offset1:17
	v_lshl_add_u32 v2, v2, 6, v50
	v_ashrrev_i32_e32 v3, 31, v2
	v_lshl_add_u64 v[2:3], v[2:3], 3, s[72:73]
	s_waitcnt lgkmcnt(0)
	v_cvt_f32_f16_e32 v8, v6
	v_cvt_f32_f16_sdwa v9, v6 dst_sel:DWORD dst_unused:UNUSED_PAD src0_sel:WORD_1
	v_cvt_f32_f16_e32 v6, v7
	v_cvt_f32_f16_sdwa v7, v7 dst_sel:DWORD dst_unused:UNUSED_PAD src0_sel:WORD_1
	v_pk_fma_f32 v[8:9], v[4:5], v[8:9], 0 op_sel_hi:[0,1,0]
	v_mov_b32_e32 v4, v5
	v_pk_fma_f32 v[4:5], v[4:5], v[6:7], v[8:9] op_sel_hi:[0,1,1]
	global_store_dwordx2 v[2:3], v[4:5], off
	v_mov_b32_e32 v2, 0
.LBB24_79:                              ;   in Loop: Header=BB24_12 Depth=1
	s_or_b64 exec, exec, s[8:9]
	s_movk_i32 s8, 0x47
	v_cmp_gt_i32_e64 s[8:9], s8, v2
	s_mov_b64 s[12:13], -1
	s_and_saveexec_b64 s[84:85], s[8:9]
; %bb.80:                               ;   in Loop: Header=BB24_12 Depth=1
	v_cmp_eq_u32_e64 s[8:9], 0, v2
	s_orn2_b64 s[12:13], s[8:9], exec
; %bb.81:                               ;   in Loop: Header=BB24_12 Depth=1
	s_or_b64 exec, exec, s[84:85]
	s_and_b64 exec, exec, s[12:13]
	s_cbranch_execz .LBB24_144
; %bb.82:                               ;   in Loop: Header=BB24_12 Depth=1
	v_add_u32_e32 v3, s42, v174
	v_or_b32_e32 v2, s7, v80
	v_cmp_gt_i32_e64 s[8:9], s36, v3
	v_cmp_gt_i32_e64 s[12:13], s3, v2
	s_and_b64 s[12:13], s[8:9], s[12:13]
	v_mov_b32_e32 v2, 0x47
	s_and_saveexec_b64 s[8:9], s[12:13]
	s_cbranch_execz .LBB24_84
; %bb.83:                               ;   in Loop: Header=BB24_12 Depth=1
	v_mad_u64_u32 v[2:3], s[12:13], v3, s37, v[80:81]
	v_add_u32_e32 v3, 0, v139
	ds_read2st64_b32 v[4:5], v3 offset0:1 offset1:18
	v_add_u32_e32 v3, v127, v139
	ds_read2st64_b32 v[6:7], v3 offset1:17
	v_lshl_add_u32 v2, v2, 6, v50
	v_ashrrev_i32_e32 v3, 31, v2
	v_lshl_add_u64 v[2:3], v[2:3], 3, s[72:73]
	s_waitcnt lgkmcnt(0)
	v_cvt_f32_f16_e32 v8, v6
	v_cvt_f32_f16_sdwa v9, v6 dst_sel:DWORD dst_unused:UNUSED_PAD src0_sel:WORD_1
	v_cvt_f32_f16_e32 v6, v7
	v_cvt_f32_f16_sdwa v7, v7 dst_sel:DWORD dst_unused:UNUSED_PAD src0_sel:WORD_1
	v_pk_fma_f32 v[8:9], v[4:5], v[8:9], 0 op_sel_hi:[0,1,0]
	v_mov_b32_e32 v4, v5
	v_pk_fma_f32 v[4:5], v[4:5], v[6:7], v[8:9] op_sel_hi:[0,1,1]
	global_store_dwordx2 v[2:3], v[4:5], off
	v_mov_b32_e32 v2, 0
.LBB24_84:                              ;   in Loop: Header=BB24_12 Depth=1
	s_or_b64 exec, exec, s[8:9]
	s_movk_i32 s8, 0x47
	v_cmp_gt_i32_e64 s[8:9], s8, v2
	s_mov_b64 s[12:13], -1
	s_and_saveexec_b64 s[84:85], s[8:9]
; %bb.85:                               ;   in Loop: Header=BB24_12 Depth=1
	v_cmp_eq_u32_e64 s[8:9], 0, v2
	s_orn2_b64 s[12:13], s[8:9], exec
; %bb.86:                               ;   in Loop: Header=BB24_12 Depth=1
	s_or_b64 exec, exec, s[84:85]
	s_and_b64 exec, exec, s[12:13]
	s_cbranch_execz .LBB24_144
; %bb.87:                               ;   in Loop: Header=BB24_12 Depth=1
	v_add_u32_e32 v3, s42, v140
	v_cmp_gt_i32_e64 s[8:9], s36, v3
	s_and_b64 s[12:13], s[8:9], vcc
	v_mov_b32_e32 v2, 0x47
	s_and_saveexec_b64 s[8:9], s[12:13]
	s_cbranch_execz .LBB24_89
; %bb.88:                               ;   in Loop: Header=BB24_12 Depth=1
	v_mad_u64_u32 v[2:3], s[12:13], v3, s37, v[98:99]
	v_add_u32_e32 v3, 0, v141
	ds_read2st64_b32 v[4:5], v3 offset0:1 offset1:18
	v_add_u32_e32 v3, v127, v141
	ds_read2st64_b32 v[6:7], v3 offset1:17
	v_lshl_add_u32 v2, v2, 6, v50
	v_ashrrev_i32_e32 v3, 31, v2
	v_lshl_add_u64 v[2:3], v[2:3], 3, s[72:73]
	s_waitcnt lgkmcnt(0)
	v_cvt_f32_f16_e32 v8, v6
	v_cvt_f32_f16_sdwa v9, v6 dst_sel:DWORD dst_unused:UNUSED_PAD src0_sel:WORD_1
	v_cvt_f32_f16_e32 v6, v7
	v_cvt_f32_f16_sdwa v7, v7 dst_sel:DWORD dst_unused:UNUSED_PAD src0_sel:WORD_1
	v_pk_fma_f32 v[8:9], v[4:5], v[8:9], 0 op_sel_hi:[0,1,0]
	v_mov_b32_e32 v4, v5
	v_pk_fma_f32 v[4:5], v[4:5], v[6:7], v[8:9] op_sel_hi:[0,1,1]
	global_store_dwordx2 v[2:3], v[4:5], off
	v_mov_b32_e32 v2, 0
.LBB24_89:                              ;   in Loop: Header=BB24_12 Depth=1
	s_or_b64 exec, exec, s[8:9]
	s_movk_i32 s8, 0x47
	v_cmp_gt_i32_e64 s[8:9], s8, v2
	s_mov_b64 s[12:13], -1
	s_and_saveexec_b64 s[84:85], s[8:9]
; %bb.90:                               ;   in Loop: Header=BB24_12 Depth=1
	v_cmp_eq_u32_e64 s[8:9], 0, v2
	s_orn2_b64 s[12:13], s[8:9], exec
; %bb.91:                               ;   in Loop: Header=BB24_12 Depth=1
	s_or_b64 exec, exec, s[84:85]
	s_and_b64 exec, exec, s[12:13]
	s_cbranch_execz .LBB24_144
; %bb.92:                               ;   in Loop: Header=BB24_12 Depth=1
	v_add_u32_e32 v3, s42, v175
	v_or_b32_e32 v2, s7, v82
	v_cmp_gt_i32_e64 s[8:9], s36, v3
	v_cmp_gt_i32_e64 s[12:13], s3, v2
	s_and_b64 s[12:13], s[8:9], s[12:13]
	v_mov_b32_e32 v2, 0x47
	s_and_saveexec_b64 s[8:9], s[12:13]
	s_cbranch_execz .LBB24_94
; %bb.93:                               ;   in Loop: Header=BB24_12 Depth=1
	v_mad_u64_u32 v[2:3], s[12:13], v3, s37, v[82:83]
	v_add_u32_e32 v3, 0, v142
	ds_read2st64_b32 v[4:5], v3 offset0:1 offset1:18
	v_add_u32_e32 v3, v127, v142
	ds_read2st64_b32 v[6:7], v3 offset1:17
	v_lshl_add_u32 v2, v2, 6, v50
	v_ashrrev_i32_e32 v3, 31, v2
	v_lshl_add_u64 v[2:3], v[2:3], 3, s[72:73]
	s_waitcnt lgkmcnt(0)
	v_cvt_f32_f16_e32 v8, v6
	v_cvt_f32_f16_sdwa v9, v6 dst_sel:DWORD dst_unused:UNUSED_PAD src0_sel:WORD_1
	v_cvt_f32_f16_e32 v6, v7
	v_cvt_f32_f16_sdwa v7, v7 dst_sel:DWORD dst_unused:UNUSED_PAD src0_sel:WORD_1
	v_pk_fma_f32 v[8:9], v[4:5], v[8:9], 0 op_sel_hi:[0,1,0]
	v_mov_b32_e32 v4, v5
	v_pk_fma_f32 v[4:5], v[4:5], v[6:7], v[8:9] op_sel_hi:[0,1,1]
	global_store_dwordx2 v[2:3], v[4:5], off
	v_mov_b32_e32 v2, 0
.LBB24_94:                              ;   in Loop: Header=BB24_12 Depth=1
	s_or_b64 exec, exec, s[8:9]
	s_movk_i32 s8, 0x47
	v_cmp_gt_i32_e64 s[8:9], s8, v2
	s_mov_b64 s[12:13], -1
	s_and_saveexec_b64 s[84:85], s[8:9]
; %bb.95:                               ;   in Loop: Header=BB24_12 Depth=1
	v_cmp_eq_u32_e64 s[8:9], 0, v2
	s_orn2_b64 s[12:13], s[8:9], exec
; %bb.96:                               ;   in Loop: Header=BB24_12 Depth=1
	s_or_b64 exec, exec, s[84:85]
	s_and_b64 exec, exec, s[12:13]
	s_cbranch_execz .LBB24_144
; %bb.97:                               ;   in Loop: Header=BB24_12 Depth=1
	v_add_u32_e32 v3, s42, v143
	v_cmp_gt_i32_e64 s[8:9], s36, v3
	s_and_b64 s[12:13], s[8:9], vcc
	v_mov_b32_e32 v2, 0x47
	s_and_saveexec_b64 s[8:9], s[12:13]
	s_cbranch_execz .LBB24_99
; %bb.98:                               ;   in Loop: Header=BB24_12 Depth=1
	v_mad_u64_u32 v[2:3], s[12:13], v3, s37, v[98:99]
	v_add_u32_e32 v3, 0, v144
	ds_read2st64_b32 v[4:5], v3 offset0:1 offset1:18
	v_add_u32_e32 v3, v127, v144
	ds_read2st64_b32 v[6:7], v3 offset1:17
	v_lshl_add_u32 v2, v2, 6, v50
	v_ashrrev_i32_e32 v3, 31, v2
	v_lshl_add_u64 v[2:3], v[2:3], 3, s[72:73]
	s_waitcnt lgkmcnt(0)
	v_cvt_f32_f16_e32 v8, v6
	v_cvt_f32_f16_sdwa v9, v6 dst_sel:DWORD dst_unused:UNUSED_PAD src0_sel:WORD_1
	v_cvt_f32_f16_e32 v6, v7
	v_cvt_f32_f16_sdwa v7, v7 dst_sel:DWORD dst_unused:UNUSED_PAD src0_sel:WORD_1
	v_pk_fma_f32 v[8:9], v[4:5], v[8:9], 0 op_sel_hi:[0,1,0]
	v_mov_b32_e32 v4, v5
	v_pk_fma_f32 v[4:5], v[4:5], v[6:7], v[8:9] op_sel_hi:[0,1,1]
	global_store_dwordx2 v[2:3], v[4:5], off
	v_mov_b32_e32 v2, 0
.LBB24_99:                              ;   in Loop: Header=BB24_12 Depth=1
	s_or_b64 exec, exec, s[8:9]
	s_movk_i32 s8, 0x47
	v_cmp_gt_i32_e64 s[8:9], s8, v2
	s_mov_b64 s[12:13], -1
	s_and_saveexec_b64 s[84:85], s[8:9]
; %bb.100:                              ;   in Loop: Header=BB24_12 Depth=1
	v_cmp_eq_u32_e64 s[8:9], 0, v2
	s_orn2_b64 s[12:13], s[8:9], exec
; %bb.101:                              ;   in Loop: Header=BB24_12 Depth=1
	s_or_b64 exec, exec, s[84:85]
	s_and_b64 exec, exec, s[12:13]
	s_cbranch_execz .LBB24_144
; %bb.102:                              ;   in Loop: Header=BB24_12 Depth=1
	v_add_u32_e32 v3, s42, v176
	v_or_b32_e32 v2, s7, v84
	v_cmp_gt_i32_e64 s[8:9], s36, v3
	v_cmp_gt_i32_e64 s[12:13], s3, v2
	s_and_b64 s[12:13], s[8:9], s[12:13]
	v_mov_b32_e32 v2, 0x47
	s_and_saveexec_b64 s[8:9], s[12:13]
	s_cbranch_execz .LBB24_104
; %bb.103:                              ;   in Loop: Header=BB24_12 Depth=1
	v_mad_u64_u32 v[2:3], s[12:13], v3, s37, v[84:85]
	v_add_u32_e32 v3, 0, v145
	ds_read2st64_b32 v[4:5], v3 offset0:1 offset1:18
	v_add_u32_e32 v3, v127, v145
	ds_read2st64_b32 v[6:7], v3 offset1:17
	v_lshl_add_u32 v2, v2, 6, v50
	v_ashrrev_i32_e32 v3, 31, v2
	v_lshl_add_u64 v[2:3], v[2:3], 3, s[72:73]
	s_waitcnt lgkmcnt(0)
	v_cvt_f32_f16_e32 v8, v6
	v_cvt_f32_f16_sdwa v9, v6 dst_sel:DWORD dst_unused:UNUSED_PAD src0_sel:WORD_1
	v_cvt_f32_f16_e32 v6, v7
	v_cvt_f32_f16_sdwa v7, v7 dst_sel:DWORD dst_unused:UNUSED_PAD src0_sel:WORD_1
	v_pk_fma_f32 v[8:9], v[4:5], v[8:9], 0 op_sel_hi:[0,1,0]
	v_mov_b32_e32 v4, v5
	v_pk_fma_f32 v[4:5], v[4:5], v[6:7], v[8:9] op_sel_hi:[0,1,1]
	global_store_dwordx2 v[2:3], v[4:5], off
	v_mov_b32_e32 v2, 0
.LBB24_104:                             ;   in Loop: Header=BB24_12 Depth=1
	s_or_b64 exec, exec, s[8:9]
	s_movk_i32 s8, 0x47
	v_cmp_gt_i32_e64 s[8:9], s8, v2
	s_mov_b64 s[12:13], -1
	s_and_saveexec_b64 s[84:85], s[8:9]
; %bb.105:                              ;   in Loop: Header=BB24_12 Depth=1
	v_cmp_eq_u32_e64 s[8:9], 0, v2
	s_orn2_b64 s[12:13], s[8:9], exec
; %bb.106:                              ;   in Loop: Header=BB24_12 Depth=1
	s_or_b64 exec, exec, s[84:85]
	s_and_b64 exec, exec, s[12:13]
	s_cbranch_execz .LBB24_144
; %bb.107:                              ;   in Loop: Header=BB24_12 Depth=1
	v_add_u32_e32 v3, s42, v146
	v_cmp_gt_i32_e64 s[8:9], s36, v3
	s_and_b64 s[12:13], s[8:9], vcc
	v_mov_b32_e32 v2, 0x47
	s_and_saveexec_b64 s[8:9], s[12:13]
	s_cbranch_execz .LBB24_109
; %bb.108:                              ;   in Loop: Header=BB24_12 Depth=1
	v_mad_u64_u32 v[2:3], s[12:13], v3, s37, v[98:99]
	v_add_u32_e32 v3, 0, v147
	ds_read2st64_b32 v[4:5], v3 offset0:1 offset1:18
	v_add_u32_e32 v3, v127, v147
	ds_read2st64_b32 v[6:7], v3 offset1:17
	v_lshl_add_u32 v2, v2, 6, v50
	v_ashrrev_i32_e32 v3, 31, v2
	v_lshl_add_u64 v[2:3], v[2:3], 3, s[72:73]
	s_waitcnt lgkmcnt(0)
	v_cvt_f32_f16_e32 v8, v6
	v_cvt_f32_f16_sdwa v9, v6 dst_sel:DWORD dst_unused:UNUSED_PAD src0_sel:WORD_1
	v_cvt_f32_f16_e32 v6, v7
	v_cvt_f32_f16_sdwa v7, v7 dst_sel:DWORD dst_unused:UNUSED_PAD src0_sel:WORD_1
	v_pk_fma_f32 v[8:9], v[4:5], v[8:9], 0 op_sel_hi:[0,1,0]
	v_mov_b32_e32 v4, v5
	v_pk_fma_f32 v[4:5], v[4:5], v[6:7], v[8:9] op_sel_hi:[0,1,1]
	global_store_dwordx2 v[2:3], v[4:5], off
	v_mov_b32_e32 v2, 0
.LBB24_109:                             ;   in Loop: Header=BB24_12 Depth=1
	s_or_b64 exec, exec, s[8:9]
	s_movk_i32 s8, 0x47
	v_cmp_gt_i32_e64 s[8:9], s8, v2
	s_mov_b64 s[12:13], -1
	s_and_saveexec_b64 s[84:85], s[8:9]
; %bb.110:                              ;   in Loop: Header=BB24_12 Depth=1
	v_cmp_eq_u32_e64 s[8:9], 0, v2
	s_orn2_b64 s[12:13], s[8:9], exec
; %bb.111:                              ;   in Loop: Header=BB24_12 Depth=1
	s_or_b64 exec, exec, s[84:85]
	s_and_b64 exec, exec, s[12:13]
	s_cbranch_execz .LBB24_144
; %bb.112:                              ;   in Loop: Header=BB24_12 Depth=1
	v_add_u32_e32 v3, s42, v177
	v_or_b32_e32 v2, s7, v86
	v_cmp_gt_i32_e64 s[8:9], s36, v3
	v_cmp_gt_i32_e64 s[12:13], s3, v2
	s_and_b64 s[12:13], s[8:9], s[12:13]
	v_mov_b32_e32 v2, 0x47
	s_and_saveexec_b64 s[8:9], s[12:13]
	s_cbranch_execz .LBB24_114
; %bb.113:                              ;   in Loop: Header=BB24_12 Depth=1
	v_mad_u64_u32 v[2:3], s[12:13], v3, s37, v[86:87]
	v_add_u32_e32 v3, 0, v148
	ds_read2st64_b32 v[4:5], v3 offset0:1 offset1:18
	v_add_u32_e32 v3, v127, v148
	ds_read2st64_b32 v[6:7], v3 offset1:17
	v_lshl_add_u32 v2, v2, 6, v50
	v_ashrrev_i32_e32 v3, 31, v2
	v_lshl_add_u64 v[2:3], v[2:3], 3, s[72:73]
	s_waitcnt lgkmcnt(0)
	v_cvt_f32_f16_e32 v8, v6
	v_cvt_f32_f16_sdwa v9, v6 dst_sel:DWORD dst_unused:UNUSED_PAD src0_sel:WORD_1
	v_cvt_f32_f16_e32 v6, v7
	v_cvt_f32_f16_sdwa v7, v7 dst_sel:DWORD dst_unused:UNUSED_PAD src0_sel:WORD_1
	v_pk_fma_f32 v[8:9], v[4:5], v[8:9], 0 op_sel_hi:[0,1,0]
	v_mov_b32_e32 v4, v5
	v_pk_fma_f32 v[4:5], v[4:5], v[6:7], v[8:9] op_sel_hi:[0,1,1]
	global_store_dwordx2 v[2:3], v[4:5], off
	v_mov_b32_e32 v2, 0
.LBB24_114:                             ;   in Loop: Header=BB24_12 Depth=1
	s_or_b64 exec, exec, s[8:9]
	s_movk_i32 s8, 0x47
	v_cmp_gt_i32_e64 s[8:9], s8, v2
	s_mov_b64 s[12:13], -1
	s_and_saveexec_b64 s[84:85], s[8:9]
; %bb.115:                              ;   in Loop: Header=BB24_12 Depth=1
	v_cmp_eq_u32_e64 s[8:9], 0, v2
	s_orn2_b64 s[12:13], s[8:9], exec
; %bb.116:                              ;   in Loop: Header=BB24_12 Depth=1
	s_or_b64 exec, exec, s[84:85]
	s_and_b64 exec, exec, s[12:13]
	s_cbranch_execz .LBB24_144
; %bb.117:                              ;   in Loop: Header=BB24_12 Depth=1
	v_add_u32_e32 v3, s42, v149
	v_cmp_gt_i32_e64 s[8:9], s36, v3
	s_and_b64 s[12:13], s[8:9], vcc
	v_mov_b32_e32 v2, 0x47
	s_and_saveexec_b64 s[8:9], s[12:13]
	s_cbranch_execz .LBB24_119
; %bb.118:                              ;   in Loop: Header=BB24_12 Depth=1
	v_mad_u64_u32 v[2:3], s[12:13], v3, s37, v[98:99]
	v_add_u32_e32 v3, 0, v150
	ds_read2st64_b32 v[4:5], v3 offset0:1 offset1:18
	v_add_u32_e32 v3, v127, v150
	ds_read2st64_b32 v[6:7], v3 offset1:17
	v_lshl_add_u32 v2, v2, 6, v50
	v_ashrrev_i32_e32 v3, 31, v2
	v_lshl_add_u64 v[2:3], v[2:3], 3, s[72:73]
	s_waitcnt lgkmcnt(0)
	v_cvt_f32_f16_e32 v8, v6
	v_cvt_f32_f16_sdwa v9, v6 dst_sel:DWORD dst_unused:UNUSED_PAD src0_sel:WORD_1
	v_cvt_f32_f16_e32 v6, v7
	v_cvt_f32_f16_sdwa v7, v7 dst_sel:DWORD dst_unused:UNUSED_PAD src0_sel:WORD_1
	v_pk_fma_f32 v[8:9], v[4:5], v[8:9], 0 op_sel_hi:[0,1,0]
	v_mov_b32_e32 v4, v5
	v_pk_fma_f32 v[4:5], v[4:5], v[6:7], v[8:9] op_sel_hi:[0,1,1]
	global_store_dwordx2 v[2:3], v[4:5], off
	v_mov_b32_e32 v2, 0
.LBB24_119:                             ;   in Loop: Header=BB24_12 Depth=1
	s_or_b64 exec, exec, s[8:9]
	s_movk_i32 s8, 0x47
	v_cmp_gt_i32_e64 s[8:9], s8, v2
	s_mov_b64 s[12:13], -1
	s_and_saveexec_b64 s[84:85], s[8:9]
; %bb.120:                              ;   in Loop: Header=BB24_12 Depth=1
	v_cmp_eq_u32_e64 s[8:9], 0, v2
	s_orn2_b64 s[12:13], s[8:9], exec
; %bb.121:                              ;   in Loop: Header=BB24_12 Depth=1
	s_or_b64 exec, exec, s[84:85]
	s_and_b64 exec, exec, s[12:13]
	s_cbranch_execz .LBB24_144
; %bb.122:                              ;   in Loop: Header=BB24_12 Depth=1
	v_add_u32_e32 v3, s42, v178
	v_or_b32_e32 v2, s7, v88
	v_cmp_gt_i32_e64 s[8:9], s36, v3
	v_cmp_gt_i32_e64 s[12:13], s3, v2
	s_and_b64 s[12:13], s[8:9], s[12:13]
	v_mov_b32_e32 v2, 0x47
	s_and_saveexec_b64 s[8:9], s[12:13]
	s_cbranch_execz .LBB24_124
; %bb.123:                              ;   in Loop: Header=BB24_12 Depth=1
	v_mad_u64_u32 v[2:3], s[12:13], v3, s37, v[88:89]
	v_add_u32_e32 v3, 0, v151
	ds_read2st64_b32 v[4:5], v3 offset0:1 offset1:18
	v_add_u32_e32 v3, v127, v151
	ds_read2st64_b32 v[6:7], v3 offset1:17
	v_lshl_add_u32 v2, v2, 6, v50
	v_ashrrev_i32_e32 v3, 31, v2
	v_lshl_add_u64 v[2:3], v[2:3], 3, s[72:73]
	s_waitcnt lgkmcnt(0)
	v_cvt_f32_f16_e32 v8, v6
	v_cvt_f32_f16_sdwa v9, v6 dst_sel:DWORD dst_unused:UNUSED_PAD src0_sel:WORD_1
	v_cvt_f32_f16_e32 v6, v7
	v_cvt_f32_f16_sdwa v7, v7 dst_sel:DWORD dst_unused:UNUSED_PAD src0_sel:WORD_1
	v_pk_fma_f32 v[8:9], v[4:5], v[8:9], 0 op_sel_hi:[0,1,0]
	v_mov_b32_e32 v4, v5
	v_pk_fma_f32 v[4:5], v[4:5], v[6:7], v[8:9] op_sel_hi:[0,1,1]
	global_store_dwordx2 v[2:3], v[4:5], off
	v_mov_b32_e32 v2, 0
.LBB24_124:                             ;   in Loop: Header=BB24_12 Depth=1
	s_or_b64 exec, exec, s[8:9]
	s_movk_i32 s8, 0x47
	v_cmp_gt_i32_e64 s[8:9], s8, v2
	s_mov_b64 s[12:13], -1
	s_and_saveexec_b64 s[84:85], s[8:9]
; %bb.125:                              ;   in Loop: Header=BB24_12 Depth=1
	v_cmp_eq_u32_e64 s[8:9], 0, v2
	s_orn2_b64 s[12:13], s[8:9], exec
; %bb.126:                              ;   in Loop: Header=BB24_12 Depth=1
	s_or_b64 exec, exec, s[84:85]
	s_and_b64 exec, exec, s[12:13]
	s_cbranch_execz .LBB24_144
; %bb.127:                              ;   in Loop: Header=BB24_12 Depth=1
	v_add_u32_e32 v3, s42, v152
	v_cmp_gt_i32_e64 s[8:9], s36, v3
	s_and_b64 s[12:13], s[8:9], vcc
	v_mov_b32_e32 v2, 0x47
	s_and_saveexec_b64 s[8:9], s[12:13]
	s_cbranch_execz .LBB24_129
; %bb.128:                              ;   in Loop: Header=BB24_12 Depth=1
	v_mad_u64_u32 v[2:3], s[12:13], v3, s37, v[98:99]
	v_add_u32_e32 v3, 0, v153
	ds_read2st64_b32 v[4:5], v3 offset0:1 offset1:18
	v_add_u32_e32 v3, v127, v153
	ds_read2st64_b32 v[6:7], v3 offset1:17
	v_lshl_add_u32 v2, v2, 6, v50
	v_ashrrev_i32_e32 v3, 31, v2
	v_lshl_add_u64 v[2:3], v[2:3], 3, s[72:73]
	s_waitcnt lgkmcnt(0)
	v_cvt_f32_f16_e32 v8, v6
	v_cvt_f32_f16_sdwa v9, v6 dst_sel:DWORD dst_unused:UNUSED_PAD src0_sel:WORD_1
	v_cvt_f32_f16_e32 v6, v7
	v_cvt_f32_f16_sdwa v7, v7 dst_sel:DWORD dst_unused:UNUSED_PAD src0_sel:WORD_1
	v_pk_fma_f32 v[8:9], v[4:5], v[8:9], 0 op_sel_hi:[0,1,0]
	v_mov_b32_e32 v4, v5
	v_pk_fma_f32 v[4:5], v[4:5], v[6:7], v[8:9] op_sel_hi:[0,1,1]
	global_store_dwordx2 v[2:3], v[4:5], off
	v_mov_b32_e32 v2, 0
.LBB24_129:                             ;   in Loop: Header=BB24_12 Depth=1
	s_or_b64 exec, exec, s[8:9]
	s_movk_i32 s8, 0x47
	v_cmp_gt_i32_e64 s[8:9], s8, v2
	s_mov_b64 s[12:13], -1
	s_and_saveexec_b64 s[84:85], s[8:9]
; %bb.130:                              ;   in Loop: Header=BB24_12 Depth=1
	v_cmp_eq_u32_e64 s[8:9], 0, v2
	s_orn2_b64 s[12:13], s[8:9], exec
; %bb.131:                              ;   in Loop: Header=BB24_12 Depth=1
	s_or_b64 exec, exec, s[84:85]
	s_and_b64 exec, exec, s[12:13]
	s_cbranch_execz .LBB24_144
; %bb.132:                              ;   in Loop: Header=BB24_12 Depth=1
	v_add_u32_e32 v3, s42, v179
	v_or_b32_e32 v2, s7, v90
	v_cmp_gt_i32_e64 s[8:9], s36, v3
	v_cmp_gt_i32_e64 s[12:13], s3, v2
	s_and_b64 s[12:13], s[8:9], s[12:13]
	v_mov_b32_e32 v2, 0x47
	s_and_saveexec_b64 s[8:9], s[12:13]
	s_cbranch_execz .LBB24_134
; %bb.133:                              ;   in Loop: Header=BB24_12 Depth=1
	v_mad_u64_u32 v[2:3], s[12:13], v3, s37, v[90:91]
	v_add_u32_e32 v3, 0, v154
	ds_read2st64_b32 v[4:5], v3 offset0:1 offset1:18
	v_add_u32_e32 v3, v127, v154
	ds_read2st64_b32 v[6:7], v3 offset1:17
	v_lshl_add_u32 v2, v2, 6, v50
	v_ashrrev_i32_e32 v3, 31, v2
	v_lshl_add_u64 v[2:3], v[2:3], 3, s[72:73]
	s_waitcnt lgkmcnt(0)
	v_cvt_f32_f16_e32 v8, v6
	v_cvt_f32_f16_sdwa v9, v6 dst_sel:DWORD dst_unused:UNUSED_PAD src0_sel:WORD_1
	v_cvt_f32_f16_e32 v6, v7
	v_cvt_f32_f16_sdwa v7, v7 dst_sel:DWORD dst_unused:UNUSED_PAD src0_sel:WORD_1
	v_pk_fma_f32 v[8:9], v[4:5], v[8:9], 0 op_sel_hi:[0,1,0]
	v_mov_b32_e32 v4, v5
	v_pk_fma_f32 v[4:5], v[4:5], v[6:7], v[8:9] op_sel_hi:[0,1,1]
	global_store_dwordx2 v[2:3], v[4:5], off
	v_mov_b32_e32 v2, 0
.LBB24_134:                             ;   in Loop: Header=BB24_12 Depth=1
	s_or_b64 exec, exec, s[8:9]
	s_movk_i32 s8, 0x47
	v_cmp_gt_i32_e64 s[8:9], s8, v2
	s_mov_b64 s[12:13], -1
	s_and_saveexec_b64 s[84:85], s[8:9]
; %bb.135:                              ;   in Loop: Header=BB24_12 Depth=1
	v_cmp_eq_u32_e64 s[8:9], 0, v2
	s_orn2_b64 s[12:13], s[8:9], exec
; %bb.136:                              ;   in Loop: Header=BB24_12 Depth=1
	s_or_b64 exec, exec, s[84:85]
	s_and_b64 exec, exec, s[12:13]
	s_cbranch_execz .LBB24_144
; %bb.137:                              ;   in Loop: Header=BB24_12 Depth=1
	v_add_u32_e32 v3, s42, v155
	v_cmp_gt_i32_e64 s[8:9], s36, v3
	s_and_b64 s[12:13], s[8:9], vcc
	v_mov_b32_e32 v2, 0x47
	s_and_saveexec_b64 s[8:9], s[12:13]
	s_cbranch_execz .LBB24_139
; %bb.138:                              ;   in Loop: Header=BB24_12 Depth=1
	v_mad_u64_u32 v[2:3], s[12:13], v3, s37, v[98:99]
	v_add_u32_e32 v3, 0, v156
	ds_read2st64_b32 v[4:5], v3 offset0:1 offset1:18
	v_add_u32_e32 v3, v127, v156
	ds_read2st64_b32 v[6:7], v3 offset1:17
	v_lshl_add_u32 v2, v2, 6, v50
	v_ashrrev_i32_e32 v3, 31, v2
	v_lshl_add_u64 v[2:3], v[2:3], 3, s[72:73]
	s_waitcnt lgkmcnt(0)
	v_cvt_f32_f16_e32 v8, v6
	v_cvt_f32_f16_sdwa v9, v6 dst_sel:DWORD dst_unused:UNUSED_PAD src0_sel:WORD_1
	v_cvt_f32_f16_e32 v6, v7
	v_cvt_f32_f16_sdwa v7, v7 dst_sel:DWORD dst_unused:UNUSED_PAD src0_sel:WORD_1
	v_pk_fma_f32 v[8:9], v[4:5], v[8:9], 0 op_sel_hi:[0,1,0]
	v_mov_b32_e32 v4, v5
	v_pk_fma_f32 v[4:5], v[4:5], v[6:7], v[8:9] op_sel_hi:[0,1,1]
	global_store_dwordx2 v[2:3], v[4:5], off
	v_mov_b32_e32 v2, 0
.LBB24_139:                             ;   in Loop: Header=BB24_12 Depth=1
	s_or_b64 exec, exec, s[8:9]
	s_movk_i32 s8, 0x47
	v_cmp_gt_i32_e32 vcc, s8, v2
	s_mov_b64 s[8:9], -1
	s_and_saveexec_b64 s[12:13], vcc
; %bb.140:                              ;   in Loop: Header=BB24_12 Depth=1
	v_cmp_eq_u32_e32 vcc, 0, v2
	s_orn2_b64 s[8:9], vcc, exec
; %bb.141:                              ;   in Loop: Header=BB24_12 Depth=1
	s_or_b64 exec, exec, s[12:13]
	s_and_b64 exec, exec, s[8:9]
	s_cbranch_execz .LBB24_144
; %bb.142:                              ;   in Loop: Header=BB24_12 Depth=1
	v_add_u32_e32 v2, s42, v180
	v_or_b32_e32 v3, s7, v92
	v_cmp_gt_i32_e32 vcc, s36, v2
	v_cmp_gt_i32_e64 s[8:9], s3, v3
	s_and_b64 s[8:9], vcc, s[8:9]
	s_and_b64 exec, exec, s[8:9]
	s_cbranch_execz .LBB24_144
; %bb.143:                              ;   in Loop: Header=BB24_12 Depth=1
	v_mad_u64_u32 v[2:3], s[8:9], v2, s37, v[92:93]
	v_add_u32_e32 v3, 0, v157
	ds_read2st64_b32 v[4:5], v3 offset0:1 offset1:18
	v_add_u32_e32 v3, v127, v157
	ds_read2st64_b32 v[6:7], v3 offset1:17
	v_lshl_add_u32 v2, v2, 6, v50
	v_ashrrev_i32_e32 v3, 31, v2
	v_lshl_add_u64 v[2:3], v[2:3], 3, s[72:73]
	s_waitcnt lgkmcnt(0)
	v_cvt_f32_f16_e32 v8, v6
	v_cvt_f32_f16_sdwa v9, v6 dst_sel:DWORD dst_unused:UNUSED_PAD src0_sel:WORD_1
	v_cvt_f32_f16_e32 v6, v7
	v_cvt_f32_f16_sdwa v7, v7 dst_sel:DWORD dst_unused:UNUSED_PAD src0_sel:WORD_1
	v_pk_fma_f32 v[8:9], v[4:5], v[8:9], 0 op_sel_hi:[0,1,0]
	v_mov_b32_e32 v4, v5
	v_pk_fma_f32 v[4:5], v[4:5], v[6:7], v[8:9] op_sel_hi:[0,1,1]
	global_store_dwordx2 v[2:3], v[4:5], off
.LBB24_144:                             ;   in Loop: Header=BB24_12 Depth=1
	s_or_b64 exec, exec, s[82:83]
	s_barrier
	s_branch .LBB24_11
.LBB24_145:                             ;   in Loop: Header=BB24_12 Depth=1
	s_lshl_b32 s65, s65, 3
	v_add_u32_e32 v2, s65, v163
	v_cmp_le_i32_e64 s[8:9], s36, v2
	v_cmp_le_i32_e64 s[12:13], s3, v97
	v_cmp_gt_i32_e32 vcc, s3, v97
	s_or_b64 s[8:9], s[8:9], s[12:13]
	s_and_saveexec_b64 s[12:13], s[8:9]
	s_xor_b64 s[8:9], exec, s[12:13]
; %bb.146:                              ;   in Loop: Header=BB24_12 Depth=1
	v_add_u32_e32 v2, v127, v164
	ds_write_b32 v2, v57
                                        ; implicit-def: $vgpr2
; %bb.147:                              ;   in Loop: Header=BB24_12 Depth=1
	s_andn2_saveexec_b64 s[8:9], s[8:9]
	s_cbranch_execz .LBB24_149
; %bb.148:                              ;   in Loop: Header=BB24_12 Depth=1
	v_mad_u64_u32 v[2:3], s[12:13], v2, s55, v[96:97]
	v_ashrrev_i32_e32 v3, 31, v2
	v_lshl_add_u64 v[2:3], v[2:3], 3, s[80:81]
	global_load_dwordx2 v[2:3], v[2:3], off
	s_waitcnt vmcnt(0)
	v_cvt_pk_f16_f32 v2, v2, v3
	v_pk_mul_f16 v2, v2, v159
	v_add_u32_e32 v3, v127, v164
	ds_write_b32 v3, v2
.LBB24_149:                             ;   in Loop: Header=BB24_12 Depth=1
	s_or_b64 exec, exec, s[8:9]
	v_add_u32_e32 v2, s65, v165
	v_cmp_le_i32_e64 s[8:9], s36, v2
	s_xor_b64 s[12:13], vcc, -1
	s_or_b64 s[8:9], s[8:9], s[12:13]
	s_and_saveexec_b64 s[82:83], s[8:9]
	s_xor_b64 s[8:9], exec, s[82:83]
; %bb.150:                              ;   in Loop: Header=BB24_12 Depth=1
	v_add_u32_e32 v2, v127, v164
	ds_write_b32 v2, v57 offset:1088
                                        ; implicit-def: $vgpr2
; %bb.151:                              ;   in Loop: Header=BB24_12 Depth=1
	s_andn2_saveexec_b64 s[8:9], s[8:9]
	s_cbranch_execz .LBB24_153
; %bb.152:                              ;   in Loop: Header=BB24_12 Depth=1
	v_mad_u64_u32 v[2:3], s[82:83], v2, s55, v[96:97]
	v_ashrrev_i32_e32 v3, 31, v2
	v_lshl_add_u64 v[2:3], v[2:3], 3, s[80:81]
	global_load_dwordx2 v[2:3], v[2:3], off
	s_waitcnt vmcnt(0)
	v_cvt_pk_f16_f32 v2, v2, v3
	v_pk_mul_f16 v2, v2, v159
	v_add_u32_e32 v3, v127, v164
	ds_write_b32 v3, v2 offset:1088
.LBB24_153:                             ;   in Loop: Header=BB24_12 Depth=1
	s_or_b64 exec, exec, s[8:9]
	v_add_u32_e32 v2, s65, v166
	v_cmp_le_i32_e32 vcc, s36, v2
	s_or_b64 s[8:9], vcc, s[12:13]
	s_and_saveexec_b64 s[82:83], s[8:9]
	s_xor_b64 s[8:9], exec, s[82:83]
; %bb.154:                              ;   in Loop: Header=BB24_12 Depth=1
	v_add_u32_e32 v2, v127, v164
	ds_write_b32 v2, v57 offset:2176
                                        ; implicit-def: $vgpr2
; %bb.155:                              ;   in Loop: Header=BB24_12 Depth=1
	s_andn2_saveexec_b64 s[8:9], s[8:9]
	s_cbranch_execz .LBB24_157
; %bb.156:                              ;   in Loop: Header=BB24_12 Depth=1
	v_mad_u64_u32 v[2:3], s[82:83], v2, s55, v[96:97]
	v_ashrrev_i32_e32 v3, 31, v2
	v_lshl_add_u64 v[2:3], v[2:3], 3, s[80:81]
	global_load_dwordx2 v[2:3], v[2:3], off
	s_waitcnt vmcnt(0)
	v_cvt_pk_f16_f32 v2, v2, v3
	v_pk_mul_f16 v2, v2, v159
	v_add_u32_e32 v3, v127, v164
	ds_write_b32 v3, v2 offset:2176
.LBB24_157:                             ;   in Loop: Header=BB24_12 Depth=1
	s_or_b64 exec, exec, s[8:9]
	v_add_u32_e32 v2, s65, v167
	v_cmp_le_i32_e32 vcc, s36, v2
	s_or_b64 s[8:9], vcc, s[12:13]
	;; [unrolled: 24-line block ×6, first 2 shown]
	s_and_saveexec_b64 s[12:13], s[8:9]
	s_xor_b64 s[8:9], exec, s[12:13]
; %bb.174:                              ;   in Loop: Header=BB24_12 Depth=1
	v_add_u32_e32 v2, v127, v164
	ds_write_b32 v2, v57 offset:7616
                                        ; implicit-def: $vgpr2
; %bb.175:                              ;   in Loop: Header=BB24_12 Depth=1
	s_andn2_saveexec_b64 s[8:9], s[8:9]
	s_cbranch_execz .LBB24_177
; %bb.176:                              ;   in Loop: Header=BB24_12 Depth=1
	v_mad_u64_u32 v[2:3], s[12:13], v2, s55, v[96:97]
	v_ashrrev_i32_e32 v3, 31, v2
	v_lshl_add_u64 v[2:3], v[2:3], 3, s[80:81]
	global_load_dwordx2 v[2:3], v[2:3], off
	s_waitcnt vmcnt(0)
	v_cvt_pk_f16_f32 v2, v2, v3
	v_pk_mul_f16 v2, v2, v159
	v_add_u32_e32 v3, v127, v164
	ds_write_b32 v3, v2 offset:7616
.LBB24_177:                             ;   in Loop: Header=BB24_12 Depth=1
	s_or_b64 exec, exec, s[8:9]
	s_waitcnt lgkmcnt(0)
	s_barrier
	ds_read2_b64 v[14:17], v95 offset1:4
	ds_read2_b64 v[10:13], v95 offset0:8 offset1:12
	ds_read2_b64 v[6:9], v95 offset0:16 offset1:20
	;; [unrolled: 1-line block ×3, first 2 shown]
	s_cmp_gt_i32 s64, 1
	s_mov_b64 s[8:9], -1
	s_waitcnt lgkmcnt(0)
	s_barrier
                                        ; implicit-def: $vgpr38
                                        ; implicit-def: $vgpr39
                                        ; implicit-def: $vgpr41
                                        ; implicit-def: $vgpr40
	s_cbranch_scc1 .LBB24_179
; %bb.178:                              ;   in Loop: Header=BB24_12 Depth=1
	v_mbcnt_hi_u32_b32 v38, -1, v181
	v_and_b32_e32 v18, 64, v38
	v_add_u32_e32 v39, 64, v18
	v_xor_b32_e32 v41, 32, v38
	v_xor_b32_e32 v40, 16, v38
	s_mov_b64 s[8:9], 0
.LBB24_179:                             ;   in Loop: Header=BB24_12 Depth=1
	v_add_u32_e32 v18, s65, v99
	v_mul_hi_u32 v19, s44, v18
	v_add_u32_e32 v19, v18, v19
	v_lshrrev_b32_e32 v19, s45, v19
	v_mul_lo_u32 v19, v19, s36
	s_andn2_b64 vcc, exec, s[8:9]
	v_sub_u32_e32 v43, v18, v19
	s_cbranch_vccnz .LBB24_183
; %bb.180:                              ;   in Loop: Header=BB24_12 Depth=1
	v_mbcnt_hi_u32_b32 v38, -1, v181
	v_and_b32_e32 v18, 64, v38
	v_add_u32_e32 v39, 64, v18
	v_xor_b32_e32 v41, 32, v38
	v_cmp_lt_i32_e32 vcc, v41, v39
	v_xor_b32_e32 v40, 16, v38
	v_readlane_b32 s12, v215, 19
	v_cndmask_b32_e32 v18, v38, v41, vcc
	v_cmp_lt_i32_e32 vcc, v40, v39
	v_lshlrev_b32_e32 v56, 2, v18
	v_readlane_b32 s13, v215, 20
	v_cndmask_b32_e32 v18, v38, v40, vcc
	v_lshlrev_b32_e32 v188, 2, v18
	v_mov_b64_e32 v[18:19], s[78:79]
	s_add_i32 s8, s64, -1
	v_mad_i64_i32 v[18:19], s[12:13], s12, v43, v[18:19]
	s_add_u32 s12, s99, s56
	s_addc_u32 s13, s60, s59
	v_lshl_add_u64 v[20:21], v[102:103], 0, s[12:13]
	v_lshl_add_u64 v[22:23], v[104:105], 0, s[12:13]
	;; [unrolled: 1-line block ×4, first 2 shown]
	s_add_u32 s12, s96, s97
	s_addc_u32 s13, s95, s98
	v_lshl_add_u64 v[18:19], v[100:101], 0, v[18:19]
	v_lshl_add_u64 v[28:29], v[110:111], 0, s[12:13]
	v_lshl_add_u64 v[30:31], v[112:113], 0, s[12:13]
	v_lshl_add_u64 v[32:33], v[114:115], 0, s[12:13]
	v_lshl_add_u64 v[34:35], v[116:117], 0, s[12:13]
	v_mov_b32_e32 v42, 0
	v_mov_b32_e32 v36, 0xfeffffff
	;; [unrolled: 1-line block ×3, first 2 shown]
	s_mov_b32 s9, s8
	v_mov_b32_e32 v44, 0
	v_mov_b32_e32 v46, 0
	;; [unrolled: 1-line block ×15, first 2 shown]
.LBB24_181:                             ;   Parent Loop BB24_12 Depth=1
                                        ; =>  This Inner Loop Header: Depth=2
	v_mov_b32_e32 v202, v36
	global_load_dword v36, v[18:19], off
	v_mov_b32_e32 v203, v37
	v_lshl_add_u64 v[194:195], v[30:31], 0, v[76:77]
	v_lshl_add_u64 v[196:197], v[32:33], 0, v[76:77]
	;; [unrolled: 1-line block ×5, first 2 shown]
	s_add_i32 s9, s9, -1
	s_mov_b64 s[12:13], 0x80
	v_lshl_add_u64 v[18:19], v[18:19], 0, s[12:13]
	v_lshl_add_u64 v[24:25], v[24:25], 0, s[68:69]
	;; [unrolled: 1-line block ×6, first 2 shown]
	s_cmp_lg_u32 s9, 0
	s_waitcnt vmcnt(0)
	ds_write_b32 v122, v36 offset:17408
	v_lshl_add_u64 v[36:37], v[28:29], 0, v[76:77]
	global_load_dwordx4 v[190:193], v[36:37], off
	v_add_u32_e32 v36, v158, v128
	v_lshl_add_u64 v[28:29], v[28:29], 0, s[70:71]
	s_waitcnt vmcnt(0)
	ds_write_b128 v123, v[190:193]
	global_load_dwordx4 v[190:193], v[194:195], off
	s_waitcnt vmcnt(0)
	ds_write_b128 v160, v[190:193]
	global_load_dwordx4 v[190:193], v[196:197], off
	;; [unrolled: 3-line block ×3, first 2 shown]
	s_waitcnt vmcnt(0)
	ds_write_b128 v162, v[190:193]
	s_waitcnt lgkmcnt(0)
	s_barrier
	ds_read2_b64 v[190:193], v36 offset1:4
	s_waitcnt lgkmcnt(0)
	v_mfma_f32_16x16x16_f16 v[194:197], v[190:191], v[14:15], 0
	v_mfma_f32_16x16x16_f16 v[190:193], v[192:193], v[16:17], v[194:197]
	s_nop 6
	ds_read2_b64 v[194:197], v36 offset0:8 offset1:12
	s_waitcnt lgkmcnt(0)
	v_mfma_f32_16x16x16_f16 v[190:193], v[194:195], v[10:11], v[190:193]
	v_mfma_f32_16x16x16_f16 v[190:193], v[196:197], v[12:13], v[190:193]
	ds_read2_b64 v[194:197], v36 offset0:16 offset1:20
	s_waitcnt lgkmcnt(0)
	v_mfma_f32_16x16x16_f16 v[190:193], v[194:195], v[6:7], v[190:193]
	v_mfma_f32_16x16x16_f16 v[190:193], v[196:197], v[8:9], v[190:193]
	ds_read2_b64 v[194:197], v36 offset0:24 offset1:28
	v_add_u32_e32 v36, 0x2000, v36
	s_waitcnt lgkmcnt(0)
	v_mfma_f32_16x16x16_f16 v[190:193], v[194:195], v[2:3], v[190:193]
	v_mfma_f32_16x16x16_f16 v[190:193], v[196:197], v[4:5], v[190:193]
	ds_read2_b64 v[194:197], v36 offset0:64 offset1:68
	s_waitcnt lgkmcnt(0)
	v_mfma_f32_16x16x16_f16 v[198:201], v[194:195], v[14:15], 0
	v_mfma_f32_16x16x16_f16 v[194:197], v[196:197], v[16:17], v[198:201]
	s_nop 6
	ds_read2_b64 v[198:201], v36 offset0:72 offset1:76
	s_waitcnt lgkmcnt(0)
	v_mfma_f32_16x16x16_f16 v[194:197], v[198:199], v[10:11], v[194:197]
	v_mfma_f32_16x16x16_f16 v[194:197], v[200:201], v[12:13], v[194:197]
	ds_read2_b64 v[198:201], v36 offset0:80 offset1:84
	s_waitcnt lgkmcnt(0)
	v_mfma_f32_16x16x16_f16 v[194:197], v[198:199], v[6:7], v[194:197]
	v_mfma_f32_16x16x16_f16 v[194:197], v[200:201], v[8:9], v[194:197]
	ds_read2_b64 v[198:201], v36 offset0:88 offset1:92
	v_add_u32_e32 v36, 0x4400, v124
	s_waitcnt lgkmcnt(0)
	s_barrier
	ds_read2_b32 v[36:37], v36 offset1:1
	v_mfma_f32_16x16x16_f16 v[194:197], v[198:199], v[2:3], v[194:197]
	s_waitcnt lgkmcnt(0)
	v_cvt_f32_f16_e32 v189, v36
	v_cvt_f32_f16_sdwa v36, v36 dst_sel:DWORD dst_unused:UNUSED_PAD src0_sel:WORD_1
	v_add_f32_e32 v189, v190, v189
	v_add_f32_e32 v190, v191, v36
	v_cvt_f32_f16_e32 v36, v37
	v_mfma_f32_16x16x16_f16 v[194:197], v[200:201], v[4:5], v[194:197]
	v_cvt_f32_f16_sdwa v37, v37 dst_sel:DWORD dst_unused:UNUSED_PAD src0_sel:WORD_1
	v_add_f32_e32 v191, v192, v36
	ds_read_b32 v36, v130 offset:17408
	v_add_f32_e32 v37, v193, v37
	s_waitcnt lgkmcnt(0)
	v_cvt_f32_f16_e32 v192, v36
	v_cvt_f32_f16_sdwa v36, v36 dst_sel:DWORD dst_unused:UNUSED_PAD src0_sel:WORD_1
	s_nop 0
	v_add_f32_e32 v192, v194, v192
	v_add_f32_e32 v194, v195, v36
	ds_read_b32 v36, v131 offset:17408
	s_waitcnt lgkmcnt(0)
	v_cvt_f32_f16_e32 v193, v36
	v_cvt_f32_f16_sdwa v36, v36 dst_sel:DWORD dst_unused:UNUSED_PAD src0_sel:WORD_1
	v_add_f32_e32 v195, v196, v193
	v_add_f32_e32 v196, v197, v36
	v_add_f32_e32 v36, 0x40051340, v189
	v_add_f32_e32 v193, 0x40051340, v190
	v_max3_f32 v36, v202, v36, v193
	v_add_f32_e32 v193, 0x40051340, v191
	v_add_f32_e32 v197, 0x40051340, v37
	v_max3_f32 v36, v36, v193, v197
	v_add_f32_e32 v193, 0x40051340, v192
	v_add_f32_e32 v197, 0x40051340, v194
	;; [unrolled: 3-line block ×3, first 2 shown]
	v_max3_f32 v36, v36, v193, v197
	ds_bpermute_b32 v193, v56, v36
	s_waitcnt lgkmcnt(0)
	v_max_f32_e32 v193, v193, v193
	v_max_f32_e32 v36, v36, v193
	ds_bpermute_b32 v193, v188, v36
	s_waitcnt lgkmcnt(0)
	v_max_f32_e32 v193, v193, v193
	v_max_f32_e32 v36, v36, v193
	v_sub_f32_e32 v189, v189, v36
	v_mul_f32_e32 v193, 0x3fb8aa3b, v189
	v_fma_f32 v197, v189, s15, -v193
	v_rndne_f32_e32 v198, v193
	v_fmac_f32_e32 v197, 0x32a5705f, v189
	v_sub_f32_e32 v193, v193, v198
	v_add_f32_e32 v193, v193, v197
	v_exp_f32_e32 v193, v193
	v_cvt_i32_f32_e32 v197, v198
	v_cmp_ngt_f32_e32 vcc, s67, v189
	v_sub_f32_e32 v190, v190, v36
	v_sub_f32_e32 v191, v191, v36
	v_ldexp_f32 v193, v193, v197
	v_cndmask_b32_e32 v193, 0, v193, vcc
	v_cmp_nlt_f32_e32 vcc, s66, v189
	v_sub_f32_e32 v37, v37, v36
	v_sub_f32_e32 v192, v192, v36
	v_cndmask_b32_e32 v189, v183, v193, vcc
	v_mul_f32_e32 v193, 0x3fb8aa3b, v190
	v_fma_f32 v197, v190, s15, -v193
	v_rndne_f32_e32 v198, v193
	v_fmac_f32_e32 v197, 0x32a5705f, v190
	v_sub_f32_e32 v193, v193, v198
	v_add_f32_e32 v193, v193, v197
	v_exp_f32_e32 v193, v193
	v_cvt_i32_f32_e32 v197, v198
	v_cmp_ngt_f32_e32 vcc, s67, v190
	v_sub_f32_e32 v194, v194, v36
	v_sub_f32_e32 v195, v195, v36
	v_ldexp_f32 v193, v193, v197
	v_mul_f32_e32 v197, 0x3fb8aa3b, v191
	v_fma_f32 v198, v191, s15, -v197
	v_rndne_f32_e32 v199, v197
	v_fmac_f32_e32 v198, 0x32a5705f, v191
	v_sub_f32_e32 v197, v197, v199
	v_add_f32_e32 v197, v197, v198
	v_exp_f32_e32 v197, v197
	v_cvt_i32_f32_e32 v198, v199
	v_cndmask_b32_e32 v193, 0, v193, vcc
	v_cmp_nlt_f32_e32 vcc, s66, v190
	v_sub_f32_e32 v196, v196, v36
	v_ldexp_f32 v197, v197, v198
	v_cndmask_b32_e32 v190, v183, v193, vcc
	v_cmp_ngt_f32_e32 vcc, s67, v191
	v_add_f32_e32 v193, v189, v190
	v_cvt_pk_f16_f32 v210, v189, v190
	v_cndmask_b32_e32 v197, 0, v197, vcc
	v_cmp_nlt_f32_e32 vcc, s66, v191
	s_nop 1
	v_cndmask_b32_e32 v191, v183, v197, vcc
	v_add_f32_e32 v197, v191, v193
	v_mul_f32_e32 v193, 0x3fb8aa3b, v37
	v_fma_f32 v198, v37, s15, -v193
	v_rndne_f32_e32 v199, v193
	v_fmac_f32_e32 v198, 0x32a5705f, v37
	v_sub_f32_e32 v193, v193, v199
	v_add_f32_e32 v193, v193, v198
	v_exp_f32_e32 v193, v193
	v_cvt_i32_f32_e32 v198, v199
	v_cmp_ngt_f32_e32 vcc, s67, v37
	v_ldexp_f32 v193, v193, v198
	s_nop 0
	v_cndmask_b32_e32 v193, 0, v193, vcc
	v_cmp_nlt_f32_e32 vcc, s66, v37
	s_nop 1
	v_cndmask_b32_e32 v193, v183, v193, vcc
	v_add_f32_e32 v37, v193, v197
	v_mul_f32_e32 v197, 0x3fb8aa3b, v192
	v_fma_f32 v198, v192, s15, -v197
	v_rndne_f32_e32 v199, v197
	v_fmac_f32_e32 v198, 0x32a5705f, v192
	v_sub_f32_e32 v197, v197, v199
	v_add_f32_e32 v197, v197, v198
	v_exp_f32_e32 v197, v197
	v_cvt_i32_f32_e32 v198, v199
	v_cmp_ngt_f32_e32 vcc, s67, v192
	v_cvt_pk_f16_f32 v211, v191, v193
	v_ldexp_f32 v197, v197, v198
	v_cndmask_b32_e32 v197, 0, v197, vcc
	v_cmp_nlt_f32_e32 vcc, s66, v192
	s_nop 1
	v_cndmask_b32_e32 v192, v183, v197, vcc
	v_mul_f32_e32 v197, 0x3fb8aa3b, v194
	v_fma_f32 v198, v194, s15, -v197
	v_rndne_f32_e32 v199, v197
	v_fmac_f32_e32 v198, 0x32a5705f, v194
	v_sub_f32_e32 v197, v197, v199
	v_add_f32_e32 v197, v197, v198
	v_exp_f32_e32 v197, v197
	v_cvt_i32_f32_e32 v198, v199
	v_cmp_ngt_f32_e32 vcc, s67, v194
	v_add_f32_e32 v37, v192, v37
	v_ldexp_f32 v197, v197, v198
	v_cndmask_b32_e32 v197, 0, v197, vcc
	v_cmp_nlt_f32_e32 vcc, s66, v194
	s_nop 1
	v_cndmask_b32_e32 v194, v183, v197, vcc
	v_mul_f32_e32 v197, 0x3fb8aa3b, v195
	v_fma_f32 v198, v195, s15, -v197
	v_rndne_f32_e32 v199, v197
	v_fmac_f32_e32 v198, 0x32a5705f, v195
	v_sub_f32_e32 v197, v197, v199
	v_add_f32_e32 v197, v197, v198
	v_exp_f32_e32 v197, v197
	v_cvt_i32_f32_e32 v198, v199
	v_cmp_ngt_f32_e32 vcc, s67, v195
	v_add_f32_e32 v37, v194, v37
	v_cvt_pk_f16_f32 v212, v192, v194
	v_ldexp_f32 v197, v197, v198
	v_cndmask_b32_e32 v197, 0, v197, vcc
	v_cmp_nlt_f32_e32 vcc, s66, v195
	s_nop 1
	v_cndmask_b32_e32 v195, v183, v197, vcc
	v_mul_f32_e32 v197, 0x3fb8aa3b, v196
	v_fma_f32 v198, v196, s15, -v197
	v_rndne_f32_e32 v199, v197
	v_fmac_f32_e32 v198, 0x32a5705f, v196
	v_sub_f32_e32 v197, v197, v199
	v_add_f32_e32 v197, v197, v198
	v_exp_f32_e32 v197, v197
	v_cvt_i32_f32_e32 v198, v199
	v_cmp_ngt_f32_e32 vcc, s67, v196
	v_add_f32_e32 v37, v195, v37
	v_ldexp_f32 v197, v197, v198
	v_cndmask_b32_e32 v197, 0, v197, vcc
	v_cmp_nlt_f32_e32 vcc, s66, v196
	s_nop 1
	v_cndmask_b32_e32 v196, v183, v197, vcc
	v_sub_f32_e32 v197, v202, v36
	v_mul_f32_e32 v198, 0x3fb8aa3b, v197
	v_fma_f32 v199, v197, s15, -v198
	v_rndne_f32_e32 v200, v198
	v_fmac_f32_e32 v199, 0x32a5705f, v197
	v_sub_f32_e32 v198, v198, v200
	v_add_f32_e32 v198, v198, v199
	v_exp_f32_e32 v198, v198
	v_cvt_i32_f32_e32 v199, v200
	v_cmp_ngt_f32_e32 vcc, s67, v197
	v_add_f32_e32 v37, v196, v37
	v_cvt_pk_f16_f32 v213, v195, v196
	v_ldexp_f32 v198, v198, v199
	v_cndmask_b32_e32 v198, 0, v198, vcc
	v_cmp_nlt_f32_e32 vcc, s66, v197
	s_nop 1
	v_cndmask_b32_e32 v198, v183, v198, vcc
	v_cmp_le_f32_e32 vcc, s33, v197
	s_nop 1
	v_cndmask_b32_e32 v197, 0, v198, vcc
	v_fmac_f32_e32 v37, v203, v197
	v_cvt_f16_f32_e32 v197, v197
	v_lshl_add_u64 v[202:203], v[22:23], 0, v[76:77]
	v_lshl_add_u64 v[22:23], v[22:23], 0, s[68:69]
	v_mul_u32_u24_e32 v198, 0x10001, v197
	v_pk_mul_f16 v197, v187, v198
	v_pk_mul_f16 v187, v186, v198
	;; [unrolled: 1-line block ×16, first 2 shown]
	v_lshl_add_u64 v[198:199], v[20:21], 0, v[76:77]
	global_load_dwordx4 v[198:201], v[198:199], off
	v_cvt_f32_f16_e32 v194, v186
	v_cvt_f32_f16_sdwa v195, v186 dst_sel:DWORD dst_unused:UNUSED_PAD src0_sel:WORD_1
	v_cvt_f32_f16_e32 v196, v185
	v_cvt_f32_f16_sdwa v209, v46 dst_sel:DWORD dst_unused:UNUSED_PAD src0_sel:WORD_1
	v_lshl_add_u64 v[20:21], v[20:21], 0, s[68:69]
	s_waitcnt vmcnt(0)
	ds_write_b128 v123, v[198:201]
	global_load_dwordx4 v[198:201], v[202:203], off
	s_waitcnt vmcnt(0)
	ds_write_b128 v160, v[198:201]
	global_load_dwordx4 v[198:201], v[204:205], off
	;; [unrolled: 3-line block ×3, first 2 shown]
	s_waitcnt vmcnt(0)
	ds_write_b128 v162, v[198:201]
	s_waitcnt lgkmcnt(0)
	s_barrier
	ds_read_u16 v44, v125 offset:272
	ds_read_u16 v202, v125 offset:544
	v_cvt_f32_f16_e32 v200, v187
	v_cvt_f32_f16_sdwa v201, v187 dst_sel:DWORD dst_unused:UNUSED_PAD src0_sel:WORD_1
	ds_read_u16 v187, v126
	ds_read_u16 v204, v126 offset:32
	v_cvt_f32_f16_e32 v198, v197
	v_cvt_f32_f16_sdwa v199, v197 dst_sel:DWORD dst_unused:UNUSED_PAD src0_sel:WORD_1
	s_waitcnt lgkmcnt(1)
	v_perm_b32 v203, v187, v202, s6
	ds_read_u16 v187, v125
	ds_read_u16 v205, v125 offset:32
	s_waitcnt lgkmcnt(1)
	v_perm_b32 v202, v44, v187, s6
	s_nop 1
	v_mfma_f32_16x16x16_f16 v[198:201], v[202:203], v[210:211], v[198:201]
	ds_read_u16 v193, v125 offset:8704
	ds_read_u16 v197, v125 offset:8976
	;; [unrolled: 1-line block ×4, first 2 shown]
	s_nop 3
	v_cvt_f16_f32_e32 v44, v198
	v_cvt_f16_f32_e32 v187, v199
	;; [unrolled: 1-line block ×4, first 2 shown]
	v_cvt_f32_f16_e32 v198, v44
	v_cvt_f32_f16_e32 v199, v187
	ds_read_u16 v44, v125 offset:304
	ds_read_u16 v187, v125 offset:576
	v_cvt_f32_f16_e32 v201, v190
	s_waitcnt lgkmcnt(4)
	v_perm_b32 v190, v197, v193, s6
	v_cvt_f32_f16_sdwa v197, v185 dst_sel:DWORD dst_unused:UNUSED_PAD src0_sel:WORD_1
	s_waitcnt lgkmcnt(1)
	v_perm_b32 v186, v44, v205, s6
	s_waitcnt lgkmcnt(0)
	v_perm_b32 v187, v204, v187, s6
	v_perm_b32 v191, v202, v191, s6
	v_cvt_f32_f16_e32 v200, v189
	v_mfma_f32_16x16x16_f16 v[194:197], v[186:187], v[210:211], v[194:197]
	v_cvt_f32_f16_sdwa v205, v97 dst_sel:DWORD dst_unused:UNUSED_PAD src0_sel:WORD_1
	v_mfma_f32_16x16x16_f16 v[190:193], v[190:191], v[212:213], v[198:201]
	ds_read_u16 v189, v125 offset:8736
	s_nop 1
	ds_read_u16 v198, v125 offset:9008
	ds_read_u16 v199, v125 offset:9280
	;; [unrolled: 1-line block ×3, first 2 shown]
	v_cvt_f16_f32_e32 v186, v196
	v_cvt_f16_f32_e32 v187, v197
	;; [unrolled: 1-line block ×4, first 2 shown]
	v_cvt_f32_f16_e32 v196, v186
	v_cvt_f32_f16_e32 v197, v187
	s_waitcnt lgkmcnt(0)
	v_perm_b32 v187, v200, v199, s6
	v_perm_b32 v186, v198, v189, s6
	v_cvt_f32_f16_e32 v194, v44
	v_cvt_f32_f16_e32 v195, v185
	;; [unrolled: 1-line block ×3, first 2 shown]
	v_cvt_f32_f16_sdwa v199, v184 dst_sel:DWORD dst_unused:UNUSED_PAD src0_sel:WORD_1
	v_mfma_f32_16x16x16_f16 v[194:197], v[186:187], v[212:213], v[194:197]
	ds_read_u16 v44, v125 offset:64
	ds_read_u16 v186, v125 offset:336
	;; [unrolled: 1-line block ×4, first 2 shown]
	v_cvt_f32_f16_e32 v200, v121
	v_cvt_f32_f16_sdwa v201, v121 dst_sel:DWORD dst_unused:UNUSED_PAD src0_sel:WORD_1
	s_waitcnt lgkmcnt(2)
	v_perm_b32 v184, v186, v44, s6
	s_waitcnt lgkmcnt(0)
	v_perm_b32 v185, v187, v185, s6
	s_nop 1
	v_mfma_f32_16x16x16_f16 v[184:187], v[184:185], v[210:211], v[198:201]
	ds_read_u16 v189, v125 offset:8768
	s_nop 1
	ds_read_u16 v198, v125 offset:9040
	ds_read_u16 v199, v125 offset:9312
	;; [unrolled: 1-line block ×3, first 2 shown]
	v_cvt_f32_f16_sdwa v201, v119 dst_sel:DWORD dst_unused:UNUSED_PAD src0_sel:WORD_1
	s_nop 0
	v_cvt_f16_f32_e32 v44, v184
	v_cvt_f16_f32_e32 v121, v185
	v_cvt_f16_f32_e32 v186, v186
	v_cvt_f16_f32_e32 v187, v187
	v_cvt_f32_f16_e32 v184, v44
	v_cvt_f32_f16_e32 v185, v121
	s_waitcnt lgkmcnt(0)
	v_perm_b32 v199, v200, v199, s6
	v_perm_b32 v198, v198, v189, s6
	ds_read_u16 v44, v125 offset:96
	ds_read_u16 v189, v125 offset:368
	;; [unrolled: 1-line block ×4, first 2 shown]
	v_cvt_f32_f16_e32 v186, v186
	v_cvt_f32_f16_e32 v187, v187
	;; [unrolled: 1-line block ×3, first 2 shown]
	s_waitcnt lgkmcnt(0)
	v_perm_b32 v121, v202, v121, s6
	v_mfma_f32_16x16x16_f16 v[184:187], v[198:199], v[212:213], v[184:187]
	v_cvt_f32_f16_e32 v198, v120
	v_cvt_f32_f16_sdwa v199, v120 dst_sel:DWORD dst_unused:UNUSED_PAD src0_sel:WORD_1
	v_perm_b32 v120, v189, v44, s6
	ds_read_u16 v189, v125 offset:8800
	ds_read_u16 v202, v125 offset:9072
	;; [unrolled: 1-line block ×4, first 2 shown]
	v_mfma_f32_16x16x16_f16 v[198:201], v[120:121], v[210:211], v[198:201]
	s_nop 7
	v_cvt_f16_f32_e32 v120, v200
	v_cvt_f16_f32_e32 v121, v201
	;; [unrolled: 1-line block ×4, first 2 shown]
	v_cvt_f32_f16_e32 v200, v120
	v_cvt_f32_f16_e32 v201, v121
	s_waitcnt lgkmcnt(0)
	v_perm_b32 v121, v204, v203, s6
	v_perm_b32 v120, v202, v189, s6
	v_cvt_f32_f16_e32 v198, v44
	v_cvt_f32_f16_e32 v199, v119
	;; [unrolled: 1-line block ×3, first 2 shown]
	v_cvt_f32_f16_sdwa v203, v118 dst_sel:DWORD dst_unused:UNUSED_PAD src0_sel:WORD_1
	v_mfma_f32_16x16x16_f16 v[198:201], v[120:121], v[212:213], v[198:201]
	ds_read_u16 v44, v125 offset:128
	ds_read_u16 v120, v125 offset:400
	;; [unrolled: 1-line block ×4, first 2 shown]
	v_cvt_f32_f16_e32 v204, v97
	s_waitcnt lgkmcnt(2)
	v_perm_b32 v118, v120, v44, s6
	s_waitcnt lgkmcnt(0)
	v_perm_b32 v119, v121, v119, s6
	s_nop 1
	v_mfma_f32_16x16x16_f16 v[118:121], v[118:119], v[210:211], v[202:205]
	ds_read_u16 v189, v125 offset:8832
	s_nop 1
	ds_read_u16 v202, v125 offset:9104
	ds_read_u16 v203, v125 offset:9376
	;; [unrolled: 1-line block ×3, first 2 shown]
	v_cvt_f32_f16_sdwa v205, v48 dst_sel:DWORD dst_unused:UNUSED_PAD src0_sel:WORD_1
	s_nop 0
	v_cvt_f16_f32_e32 v44, v118
	v_cvt_f16_f32_e32 v97, v119
	;; [unrolled: 1-line block ×4, first 2 shown]
	v_cvt_f32_f16_e32 v118, v44
	v_cvt_f32_f16_e32 v119, v97
	s_waitcnt lgkmcnt(0)
	v_perm_b32 v203, v204, v203, s6
	v_perm_b32 v202, v202, v189, s6
	ds_read_u16 v44, v125 offset:160
	ds_read_u16 v97, v125 offset:432
	ds_read_u16 v189, v125 offset:704
	ds_read_u16 v206, v126 offset:160
	v_cvt_f32_f16_e32 v120, v120
	v_cvt_f32_f16_e32 v121, v121
	;; [unrolled: 1-line block ×3, first 2 shown]
	s_waitcnt lgkmcnt(2)
	v_perm_b32 v48, v97, v44, s6
	v_mfma_f32_16x16x16_f16 v[118:121], v[202:203], v[212:213], v[118:121]
	v_cvt_f32_f16_e32 v202, v49
	v_cvt_f32_f16_sdwa v203, v49 dst_sel:DWORD dst_unused:UNUSED_PAD src0_sel:WORD_1
	s_waitcnt lgkmcnt(0)
	v_perm_b32 v49, v206, v189, s6
	ds_read_u16 v189, v125 offset:8864
	ds_read_u16 v206, v125 offset:9136
	;; [unrolled: 1-line block ×4, first 2 shown]
	v_mfma_f32_16x16x16_f16 v[202:205], v[48:49], v[210:211], v[202:205]
	s_nop 7
	v_cvt_f16_f32_e32 v48, v203
	v_cvt_f16_f32_e32 v49, v204
	;; [unrolled: 1-line block ×4, first 2 shown]
	v_cvt_f32_f16_e32 v203, v48
	v_cvt_f32_f16_e32 v204, v49
	s_waitcnt lgkmcnt(0)
	v_perm_b32 v49, v208, v207, s6
	v_perm_b32 v48, v206, v189, s6
	v_cvt_f32_f16_e32 v202, v44
	v_cvt_f32_f16_e32 v205, v97
	;; [unrolled: 1-line block ×3, first 2 shown]
	v_cvt_f32_f16_sdwa v207, v47 dst_sel:DWORD dst_unused:UNUSED_PAD src0_sel:WORD_1
	v_mfma_f32_16x16x16_f16 v[202:205], v[48:49], v[212:213], v[202:205]
	ds_read_u16 v44, v125 offset:192
	ds_read_u16 v48, v125 offset:464
	;; [unrolled: 1-line block ×4, first 2 shown]
	v_cvt_f32_f16_e32 v208, v46
	s_waitcnt lgkmcnt(2)
	v_perm_b32 v46, v48, v44, s6
	s_waitcnt lgkmcnt(0)
	v_perm_b32 v47, v97, v49, s6
	s_nop 1
	v_mfma_f32_16x16x16_f16 v[46:49], v[46:47], v[210:211], v[206:209]
	ds_read_u16 v97, v125 offset:8896
	ds_read_u16 v189, v125 offset:9168
	s_nop 0
	ds_read_u16 v206, v125 offset:9440
	ds_read_u16 v207, v126 offset:8896
	v_cvt_f32_f16_e32 v208, v42
	v_cvt_f32_f16_sdwa v209, v42 dst_sel:DWORD dst_unused:UNUSED_PAD src0_sel:WORD_1
	s_nop 0
	v_cvt_f16_f32_e32 v44, v46
	v_cvt_f16_f32_e32 v47, v47
	;; [unrolled: 1-line block ×4, first 2 shown]
	v_cvt_f32_f16_e32 v46, v44
	s_waitcnt lgkmcnt(0)
	v_perm_b32 v207, v207, v206, s6
	v_perm_b32 v206, v189, v97, s6
	ds_read_u16 v44, v125 offset:224
	ds_read_u16 v97, v125 offset:496
	;; [unrolled: 1-line block ×4, first 2 shown]
	v_cvt_f32_f16_e32 v47, v47
	v_cvt_f32_f16_e32 v48, v48
	;; [unrolled: 1-line block ×3, first 2 shown]
	s_waitcnt lgkmcnt(2)
	v_perm_b32 v44, v97, v44, s6
	v_mfma_f32_16x16x16_f16 v[46:49], v[206:207], v[212:213], v[46:49]
	v_cvt_f32_f16_e32 v206, v45
	v_cvt_f32_f16_sdwa v207, v45 dst_sel:DWORD dst_unused:UNUSED_PAD src0_sel:WORD_1
	s_waitcnt lgkmcnt(0)
	v_perm_b32 v45, v214, v189, s6
	s_nop 1
	v_mfma_f32_16x16x16_f16 v[206:209], v[44:45], v[210:211], v[206:209]
	ds_read_u16 v189, v125 offset:8928
	ds_read_u16 v210, v125 offset:9200
	;; [unrolled: 1-line block ×4, first 2 shown]
	v_cvt_pk_f16_f32 v46, v46, v47
	v_cvt_pk_f16_f32 v47, v204, v205
	s_nop 1
	v_cvt_f16_f32_e32 v44, v207
	v_cvt_f16_f32_e32 v45, v208
	;; [unrolled: 1-line block ×4, first 2 shown]
	v_cvt_f32_f16_e32 v207, v44
	v_cvt_f32_f16_e32 v208, v45
	s_waitcnt lgkmcnt(0)
	v_perm_b32 v45, v214, v211, s6
	v_perm_b32 v44, v210, v189, s6
	v_cvt_f32_f16_e32 v206, v42
	v_cvt_f32_f16_e32 v209, v97
	v_cvt_pk_f16_f32 v97, v118, v119
	v_cvt_pk_f16_f32 v119, v198, v199
	v_mfma_f32_16x16x16_f16 v[206:209], v[44:45], v[212:213], v[206:209]
	v_cvt_pk_f16_f32 v45, v48, v49
	v_cvt_pk_f16_f32 v48, v202, v203
	;; [unrolled: 1-line block ×4, first 2 shown]
	s_nop 3
	v_cvt_pk_f16_f32 v42, v206, v207
	v_cvt_pk_f16_f32 v44, v208, v209
	v_cvt_pk_f16_f32 v121, v184, v185
	v_cvt_pk_f16_f32 v120, v186, v187
	v_cvt_pk_f16_f32 v185, v194, v195
	v_cvt_pk_f16_f32 v184, v196, v197
	v_cvt_pk_f16_f32 v187, v190, v191
	v_cvt_pk_f16_f32 v186, v192, v193
	s_barrier
	s_cbranch_scc1 .LBB24_181
; %bb.182:                              ;   in Loop: Header=BB24_12 Depth=1
	s_lshl_b32 s60, s8, 6
	s_mov_b64 s[8:9], s[60:61]
	s_branch .LBB24_184
.LBB24_183:                             ;   in Loop: Header=BB24_12 Depth=1
	v_mov_b32_e32 v36, 0xfeffffff
	v_mov_b32_e32 v37, 0
	s_mov_b64 s[8:9], 0
	v_mov_b32_e32 v186, 0
	v_mov_b32_e32 v187, 0
	;; [unrolled: 1-line block ×16, first 2 shown]
.LBB24_184:                             ;   in Loop: Header=BB24_12 Depth=1
	v_mad_i64_i32 v[18:19], s[12:13], v43, s14, 0
	s_lshl_b64 s[12:13], s[8:9], 1
	s_add_u32 s12, s76, s12
	s_addc_u32 s13, s77, s13
	v_lshl_add_u64 v[18:19], v[18:19], 1, s[12:13]
	v_lshlrev_b32_e32 v56, 1, v52
	v_lshl_add_u64 v[18:19], v[18:19], 0, v[56:57]
	global_load_dword v18, v[18:19], off
	s_mul_i32 s9, s8, s35
	s_mul_hi_u32 s12, s8, s34
	s_add_i32 s13, s12, s9
	s_mul_i32 s12, s8, s34
	s_lshl_b64 s[12:13], s[12:13], 2
	s_add_u32 s12, s62, s12
	s_addc_u32 s13, s63, s13
	v_lshlrev_b32_e32 v56, 2, v54
	v_lshl_add_u64 v[20:21], v[60:61], 2, s[12:13]
	v_lshl_add_u64 v[22:23], v[20:21], 0, v[56:57]
	;; [unrolled: 1-line block ×6, first 2 shown]
	v_cmp_lt_i32_e32 vcc, v41, v39
	s_mul_i32 s9, s8, s39
	s_waitcnt vmcnt(0)
	ds_write_b32 v122, v18 offset:17408
	v_lshl_add_u64 v[18:19], v[58:59], 2, s[12:13]
	v_lshl_add_u64 v[18:19], v[18:19], 0, v[56:57]
	global_load_dwordx4 v[18:21], v[18:19], off
	s_mul_hi_u32 s12, s8, s38
	s_add_i32 s9, s12, s9
	s_mul_i32 s8, s8, s38
	s_lshl_b64 s[8:9], s[8:9], 2
	s_add_u32 s8, s2, s8
	s_addc_u32 s9, s86, s9
	s_cmp_lg_u64 s[74:75], 0
	s_waitcnt vmcnt(0)
	ds_write_b128 v123, v[18:21]
	global_load_dwordx4 v[18:21], v[22:23], off
	s_waitcnt vmcnt(0)
	ds_write_b128 v160, v[18:21]
	global_load_dwordx4 v[18:21], v[24:25], off
	;; [unrolled: 3-line block ×3, first 2 shown]
	v_add_u32_e32 v26, v158, v128
	v_add_u32_e32 v30, 0x2000, v26
	s_waitcnt vmcnt(0)
	ds_write_b128 v162, v[18:21]
	s_waitcnt lgkmcnt(0)
	s_barrier
	ds_read2_b64 v[18:21], v26 offset1:4
	s_waitcnt lgkmcnt(0)
	v_mfma_f32_16x16x16_f16 v[22:25], v[18:19], v[14:15], 0
	v_mfma_f32_16x16x16_f16 v[18:21], v[20:21], v[16:17], v[22:25]
	s_nop 6
	ds_read2_b64 v[22:25], v26 offset0:8 offset1:12
	s_waitcnt lgkmcnt(0)
	v_mfma_f32_16x16x16_f16 v[18:21], v[22:23], v[10:11], v[18:21]
	v_mfma_f32_16x16x16_f16 v[18:21], v[24:25], v[12:13], v[18:21]
	ds_read2_b64 v[22:25], v26 offset0:16 offset1:20
	s_waitcnt lgkmcnt(0)
	v_mfma_f32_16x16x16_f16 v[18:21], v[22:23], v[6:7], v[18:21]
	v_mfma_f32_16x16x16_f16 v[18:21], v[24:25], v[8:9], v[18:21]
	;; [unrolled: 4-line block ×5, first 2 shown]
	s_nop 6
	ds_read2_b64 v[14:17], v30 offset0:80 offset1:84
	s_waitcnt lgkmcnt(0)
	v_mfma_f32_16x16x16_f16 v[10:13], v[14:15], v[6:7], v[10:13]
	v_mfma_f32_16x16x16_f16 v[6:9], v[16:17], v[8:9], v[10:13]
	s_nop 6
	ds_read2_b64 v[10:13], v30 offset0:88 offset1:92
	s_waitcnt lgkmcnt(0)
	v_mfma_f32_16x16x16_f16 v[6:9], v[10:11], v[2:3], v[6:9]
	v_add_u32_e32 v2, 0x4400, v124
	s_barrier
	ds_read2_b32 v[2:3], v2 offset1:1
	v_mfma_f32_16x16x16_f16 v[10:13], v[12:13], v[4:5], v[6:9]
	s_waitcnt lgkmcnt(0)
	v_cvt_f32_f16_e32 v4, v2
	v_cvt_f32_f16_sdwa v2, v2 dst_sel:DWORD dst_unused:UNUSED_PAD src0_sel:WORD_1
	s_nop 0
	v_add_f32_e32 v6, v18, v4
	v_add_f32_e32 v7, v19, v2
	v_cvt_f32_f16_e32 v2, v3
	v_cvt_f32_f16_sdwa v3, v3 dst_sel:DWORD dst_unused:UNUSED_PAD src0_sel:WORD_1
	v_add_f32_e32 v8, v20, v2
	ds_read_b32 v2, v130 offset:17408
	v_add_f32_e32 v9, v21, v3
	s_waitcnt lgkmcnt(0)
	v_cvt_f32_f16_e32 v3, v2
	v_cvt_f32_f16_sdwa v2, v2 dst_sel:DWORD dst_unused:UNUSED_PAD src0_sel:WORD_1
	v_add_f32_e32 v5, v10, v3
	v_add_f32_e32 v4, v11, v2
	ds_read_b32 v2, v131 offset:17408
	v_add_f32_e32 v10, 0x40051340, v6
	v_add_f32_e32 v11, 0x40051340, v7
	v_max3_f32 v10, v36, v10, v11
	v_add_f32_e32 v11, 0x40051340, v8
	s_waitcnt lgkmcnt(0)
	v_cvt_f32_f16_e32 v3, v2
	v_cvt_f32_f16_sdwa v2, v2 dst_sel:DWORD dst_unused:UNUSED_PAD src0_sel:WORD_1
	v_add_f32_e32 v3, v12, v3
	v_add_f32_e32 v12, 0x40051340, v9
	;; [unrolled: 1-line block ×3, first 2 shown]
	v_max3_f32 v10, v10, v11, v12
	v_add_f32_e32 v11, 0x40051340, v5
	v_add_f32_e32 v12, 0x40051340, v4
	v_max3_f32 v10, v10, v11, v12
	v_add_f32_e32 v11, 0x40051340, v3
	v_add_f32_e32 v12, 0x40051340, v2
	v_max3_f32 v10, v10, v11, v12
	v_cndmask_b32_e32 v11, v38, v41, vcc
	v_lshlrev_b32_e32 v21, 2, v11
	ds_bpermute_b32 v11, v21, v10
	v_cmp_lt_i32_e32 vcc, v40, v39
	s_waitcnt lgkmcnt(0)
	v_max_f32_e32 v11, v11, v11
	v_max_f32_e32 v10, v10, v11
	v_cndmask_b32_e32 v11, v38, v40, vcc
	v_lshlrev_b32_e32 v24, 2, v11
	ds_bpermute_b32 v11, v24, v10
	s_waitcnt lgkmcnt(0)
	v_max_f32_e32 v11, v11, v11
	v_max_f32_e32 v20, v10, v11
	v_sub_f32_e32 v6, v6, v20
	v_mul_f32_e32 v10, 0x3fb8aa3b, v6
	v_fma_f32 v11, v6, s15, -v10
	v_rndne_f32_e32 v12, v10
	v_fmac_f32_e32 v11, 0x32a5705f, v6
	v_sub_f32_e32 v10, v10, v12
	v_add_f32_e32 v10, v10, v11
	v_exp_f32_e32 v10, v10
	v_cvt_i32_f32_e32 v11, v12
	v_cmp_ngt_f32_e32 vcc, s67, v6
	v_sub_f32_e32 v7, v7, v20
	v_sub_f32_e32 v8, v8, v20
	v_ldexp_f32 v10, v10, v11
	v_cndmask_b32_e32 v10, 0, v10, vcc
	v_cmp_nlt_f32_e32 vcc, s66, v6
	v_sub_f32_e32 v9, v9, v20
	v_sub_f32_e32 v5, v5, v20
	v_cndmask_b32_e32 v6, v183, v10, vcc
	v_mul_f32_e32 v10, 0x3fb8aa3b, v7
	v_fma_f32 v11, v7, s15, -v10
	v_rndne_f32_e32 v12, v10
	v_fmac_f32_e32 v11, 0x32a5705f, v7
	v_sub_f32_e32 v10, v10, v12
	v_add_f32_e32 v10, v10, v11
	v_exp_f32_e32 v10, v10
	v_cvt_i32_f32_e32 v11, v12
	v_cmp_ngt_f32_e32 vcc, s67, v7
	v_sub_f32_e32 v4, v4, v20
	v_sub_f32_e32 v3, v3, v20
	v_ldexp_f32 v10, v10, v11
	v_mul_f32_e32 v11, 0x3fb8aa3b, v8
	v_fma_f32 v12, v8, s15, -v11
	v_rndne_f32_e32 v13, v11
	v_fmac_f32_e32 v12, 0x32a5705f, v8
	v_sub_f32_e32 v11, v11, v13
	v_add_f32_e32 v11, v11, v12
	v_exp_f32_e32 v11, v11
	v_cvt_i32_f32_e32 v12, v13
	v_cndmask_b32_e32 v10, 0, v10, vcc
	v_cmp_nlt_f32_e32 vcc, s66, v7
	v_sub_f32_e32 v2, v2, v20
	v_ldexp_f32 v11, v11, v12
	v_cndmask_b32_e32 v7, v183, v10, vcc
	v_cmp_ngt_f32_e32 vcc, s67, v8
	v_add_f32_e32 v10, v6, v7
	s_nop 0
	v_cndmask_b32_e32 v11, 0, v11, vcc
	v_cmp_nlt_f32_e32 vcc, s66, v8
	s_nop 1
	v_cndmask_b32_e32 v8, v183, v11, vcc
	v_mul_f32_e32 v11, 0x3fb8aa3b, v9
	v_fma_f32 v12, v9, s15, -v11
	v_rndne_f32_e32 v13, v11
	v_fmac_f32_e32 v12, 0x32a5705f, v9
	v_sub_f32_e32 v11, v11, v13
	v_add_f32_e32 v11, v11, v12
	v_exp_f32_e32 v11, v11
	v_cvt_i32_f32_e32 v12, v13
	v_cmp_ngt_f32_e32 vcc, s67, v9
	v_add_f32_e32 v10, v8, v10
	v_ldexp_f32 v11, v11, v12
	v_cndmask_b32_e32 v11, 0, v11, vcc
	v_cmp_nlt_f32_e32 vcc, s66, v9
	s_nop 1
	v_cndmask_b32_e32 v18, v183, v11, vcc
	v_add_f32_e32 v9, v18, v10
	v_mul_f32_e32 v10, 0x3fb8aa3b, v5
	v_fma_f32 v11, v5, s15, -v10
	v_rndne_f32_e32 v12, v10
	v_fmac_f32_e32 v11, 0x32a5705f, v5
	v_sub_f32_e32 v10, v10, v12
	v_add_f32_e32 v10, v10, v11
	v_exp_f32_e32 v10, v10
	v_cvt_i32_f32_e32 v11, v12
	v_cmp_ngt_f32_e32 vcc, s67, v5
	v_ldexp_f32 v10, v10, v11
	s_nop 0
	v_cndmask_b32_e32 v10, 0, v10, vcc
	v_cmp_nlt_f32_e32 vcc, s66, v5
	s_nop 1
	v_cndmask_b32_e32 v26, v183, v10, vcc
	v_add_f32_e32 v5, v26, v9
	v_mul_f32_e32 v9, 0x3fb8aa3b, v4
	v_fma_f32 v10, v4, s15, -v9
	v_rndne_f32_e32 v11, v9
	v_fmac_f32_e32 v10, 0x32a5705f, v4
	v_sub_f32_e32 v9, v9, v11
	v_add_f32_e32 v9, v9, v10
	v_exp_f32_e32 v9, v9
	v_cvt_i32_f32_e32 v10, v11
	v_cmp_ngt_f32_e32 vcc, s67, v4
	v_ldexp_f32 v9, v9, v10
	s_nop 0
	;; [unrolled: 16-line block ×4, first 2 shown]
	v_cndmask_b32_e32 v4, 0, v4, vcc
	v_cmp_nlt_f32_e32 vcc, s66, v2
	v_sub_f32_e32 v2, v36, v20
	s_nop 0
	v_cndmask_b32_e32 v29, v183, v4, vcc
	v_add_f32_e32 v25, v29, v3
	v_mul_f32_e32 v3, 0x3fb8aa3b, v2
	v_fma_f32 v4, v2, s15, -v3
	v_rndne_f32_e32 v5, v3
	v_fmac_f32_e32 v4, 0x32a5705f, v2
	v_sub_f32_e32 v3, v3, v5
	v_add_f32_e32 v3, v3, v4
	v_exp_f32_e32 v3, v3
	v_cvt_i32_f32_e32 v4, v5
	v_cmp_ngt_f32_e32 vcc, s67, v2
	v_cvt_pk_f16_f32 v19, v19, v29
	v_ldexp_f32 v3, v3, v4
	v_cndmask_b32_e32 v3, 0, v3, vcc
	v_cmp_nlt_f32_e32 vcc, s66, v2
	v_lshl_add_u64 v[4:5], v[68:69], 2, s[8:9]
	v_lshl_add_u64 v[34:35], v[4:5], 0, v[56:57]
	v_cndmask_b32_e32 v3, v183, v3, vcc
	v_cmp_le_f32_e32 vcc, s33, v2
	v_lshl_add_u64 v[4:5], v[70:71], 2, s[8:9]
	s_nop 0
	v_cndmask_b32_e32 v2, 0, v3, vcc
	v_fmac_f32_e32 v25, v37, v2
	v_cvt_f16_f32_e32 v2, v2
	v_lshl_add_u64 v[36:37], v[4:5], 0, v[56:57]
	v_lshl_add_u64 v[4:5], v[72:73], 2, s[8:9]
	;; [unrolled: 1-line block ×3, first 2 shown]
	v_mul_u32_u24_e32 v2, 0x10001, v2
	v_pk_mul_f16 v23, v187, v2
	v_pk_mul_f16 v22, v186, v2
	;; [unrolled: 1-line block ×16, first 2 shown]
	v_lshl_add_u64 v[2:3], v[66:67], 2, s[8:9]
	v_lshl_add_u64 v[2:3], v[2:3], 0, v[56:57]
	global_load_dwordx4 v[2:5], v[2:3], off
	v_cvt_f32_f16_e32 v40, v10
	v_cvt_f32_f16_sdwa v41, v10 dst_sel:DWORD dst_unused:UNUSED_PAD src0_sel:WORD_1
	v_cvt_f32_f16_sdwa v43, v13 dst_sel:DWORD dst_unused:UNUSED_PAD src0_sel:WORD_1
	v_cvt_f32_f16_e32 v44, v12
	v_cvt_f32_f16_sdwa v45, v12 dst_sel:DWORD dst_unused:UNUSED_PAD src0_sel:WORD_1
	v_cvt_f32_f16_e32 v46, v14
	v_cvt_f32_f16_sdwa v47, v14 dst_sel:DWORD dst_unused:UNUSED_PAD src0_sel:WORD_1
	v_cvt_f32_f16_e32 v118, v17
	v_cvt_f32_f16_sdwa v119, v17 dst_sel:DWORD dst_unused:UNUSED_PAD src0_sel:WORD_1
	v_cvt_f32_f16_e32 v120, v16
	v_cvt_f32_f16_sdwa v121, v16 dst_sel:DWORD dst_unused:UNUSED_PAD src0_sel:WORD_1
	s_cselect_b64 s[8:9], -1, 0
	s_and_b64 s[12:13], s[0:1], s[8:9]
	s_waitcnt vmcnt(0)
	ds_write_b128 v123, v[2:5]
	global_load_dwordx4 v[2:5], v[34:35], off
	s_waitcnt vmcnt(0)
	ds_write_b128 v160, v[2:5]
	global_load_dwordx4 v[2:5], v[36:37], off
	;; [unrolled: 3-line block ×3, first 2 shown]
	v_cvt_f32_f16_sdwa v39, v11 dst_sel:DWORD dst_unused:UNUSED_PAD src0_sel:WORD_1
	s_waitcnt vmcnt(0)
	ds_write_b128 v162, v[2:5]
	s_waitcnt lgkmcnt(0)
	s_barrier
	ds_read_u16 v34, v125 offset:272
	ds_read_u16 v35, v125 offset:544
	v_cvt_f32_f16_e32 v4, v22
	v_cvt_f32_f16_sdwa v5, v22 dst_sel:DWORD dst_unused:UNUSED_PAD src0_sel:WORD_1
	ds_read_u16 v22, v126
	ds_read_u16 v36, v126 offset:32
	v_cvt_f32_f16_e32 v2, v23
	v_cvt_f32_f16_sdwa v3, v23 dst_sel:DWORD dst_unused:UNUSED_PAD src0_sel:WORD_1
	v_cvt_pk_f16_f32 v23, v8, v18
	s_waitcnt lgkmcnt(1)
	v_perm_b32 v35, v22, v35, s6
	ds_read_u16 v22, v125
	ds_read_u16 v37, v125 offset:32
	s_waitcnt lgkmcnt(1)
	v_perm_b32 v34, v34, v22, s6
	v_cvt_pk_f16_f32 v22, v6, v7
	ds_read_u16 v6, v125 offset:8704
	ds_read_u16 v8, v125 offset:8976
	ds_read_u16 v7, v125 offset:9248
	ds_read_u16 v18, v126 offset:8704
	v_mfma_f32_16x16x16_f16 v[2:5], v[34:35], v[22:23], v[2:5]
	s_waitcnt lgkmcnt(2)
	v_perm_b32 v6, v8, v6, s6
	s_waitcnt lgkmcnt(0)
	v_perm_b32 v7, v18, v7, s6
	v_cvt_pk_f16_f32 v18, v26, v28
	s_nop 2
	v_cvt_f16_f32_e32 v2, v2
	v_cvt_f16_f32_e32 v3, v3
	;; [unrolled: 1-line block ×4, first 2 shown]
	v_cvt_f32_f16_e32 v2, v2
	v_cvt_f32_f16_e32 v3, v3
	;; [unrolled: 1-line block ×4, first 2 shown]
	ds_read_u16 v8, v125 offset:304
	ds_read_u16 v34, v125 offset:576
	v_mfma_f32_16x16x16_f16 v[2:5], v[6:7], v[18:19], v[2:5]
	v_cvt_f32_f16_e32 v6, v27
	s_waitcnt lgkmcnt(0)
	v_perm_b32 v35, v36, v34, s6
	v_perm_b32 v34, v8, v37, s6
	s_nop 3
	v_cvt_f16_f32_e32 v4, v4
	v_cvt_f16_f32_e32 v5, v5
	v_cvt_f32_f16_sdwa v7, v27 dst_sel:DWORD dst_unused:UNUSED_PAD src0_sel:WORD_1
	v_cvt_f16_f32_e32 v28, v2
	v_cvt_f16_f32_e32 v29, v3
	v_perm_b32 v26, v5, v4, s6
	v_cvt_f32_f16_e32 v4, v33
	v_cvt_f32_f16_sdwa v5, v33 dst_sel:DWORD dst_unused:UNUSED_PAD src0_sel:WORD_1
	v_perm_b32 v28, v29, v28, s6
	s_nop 0
	v_mfma_f32_16x16x16_f16 v[4:7], v[34:35], v[22:23], v[4:7]
	ds_read_u16 v8, v125 offset:8736
	ds_read_u16 v27, v125 offset:9008
	;; [unrolled: 1-line block ×4, first 2 shown]
	s_nop 3
	v_cvt_f16_f32_e32 v4, v4
	v_cvt_f16_f32_e32 v5, v5
	;; [unrolled: 1-line block ×4, first 2 shown]
	s_waitcnt lgkmcnt(0)
	v_perm_b32 v35, v34, v33, s6
	v_perm_b32 v34, v27, v8, s6
	v_cvt_f32_f16_e32 v4, v4
	v_cvt_f32_f16_e32 v5, v5
	v_cvt_f32_f16_e32 v6, v6
	v_cvt_f32_f16_e32 v7, v7
	v_cvt_f32_f16_e32 v8, v9
	v_cvt_f32_f16_sdwa v9, v9 dst_sel:DWORD dst_unused:UNUSED_PAD src0_sel:WORD_1
	v_mfma_f32_16x16x16_f16 v[4:7], v[34:35], v[18:19], v[4:7]
	ds_read_u16 v35, v125 offset:64
	ds_read_u16 v36, v125 offset:336
	;; [unrolled: 1-line block ×4, first 2 shown]
	s_nop 3
	v_cvt_f16_f32_e32 v6, v6
	v_cvt_f16_f32_e32 v7, v7
	s_waitcnt lgkmcnt(0)
	v_perm_b32 v37, v38, v37, s6
	v_perm_b32 v36, v36, v35, s6
	v_cvt_f32_f16_e32 v38, v11
	v_perm_b32 v27, v7, v6, s6
	v_cvt_f32_f16_e32 v6, v30
	v_cvt_f32_f16_sdwa v7, v30 dst_sel:DWORD dst_unused:UNUSED_PAD src0_sel:WORD_1
	v_cvt_f16_f32_e32 v33, v4
	v_cvt_f16_f32_e32 v34, v5
	v_mfma_f32_16x16x16_f16 v[6:9], v[36:37], v[22:23], v[6:9]
	ds_read_u16 v30, v125 offset:8768
	ds_read_u16 v35, v125 offset:9040
	;; [unrolled: 1-line block ×4, first 2 shown]
	v_perm_b32 v33, v34, v33, s6
	s_nop 2
	v_cvt_f16_f32_e32 v6, v6
	v_cvt_f16_f32_e32 v7, v7
	;; [unrolled: 1-line block ×4, first 2 shown]
	s_waitcnt lgkmcnt(0)
	v_perm_b32 v37, v37, v36, s6
	v_perm_b32 v36, v35, v30, s6
	v_cvt_f32_f16_e32 v6, v6
	v_cvt_f32_f16_e32 v7, v7
	;; [unrolled: 1-line block ×4, first 2 shown]
	s_nop 1
	v_mfma_f32_16x16x16_f16 v[6:9], v[36:37], v[18:19], v[6:9]
	s_nop 7
	v_cvt_f16_f32_e32 v8, v8
	v_cvt_f16_f32_e32 v9, v9
	;; [unrolled: 1-line block ×4, first 2 shown]
	v_perm_b32 v30, v9, v8, s6
	ds_read_u16 v8, v125 offset:96
	ds_read_u16 v35, v125 offset:368
	;; [unrolled: 1-line block ×4, first 2 shown]
	s_waitcnt lgkmcnt(2)
	v_perm_b32 v8, v35, v8, s6
	s_waitcnt lgkmcnt(0)
	v_perm_b32 v9, v42, v9, s6
	v_cvt_f32_f16_e32 v42, v13
	s_nop 0
	v_mfma_f32_16x16x16_f16 v[8:11], v[8:9], v[22:23], v[38:41]
	ds_read_u16 v35, v125 offset:8800
	s_nop 1
	ds_read_u16 v38, v125 offset:9072
	ds_read_u16 v39, v125 offset:9344
	;; [unrolled: 1-line block ×3, first 2 shown]
	s_nop 1
	v_cvt_f16_f32_e32 v8, v8
	v_cvt_f16_f32_e32 v9, v9
	;; [unrolled: 1-line block ×4, first 2 shown]
	s_waitcnt lgkmcnt(0)
	v_perm_b32 v39, v40, v39, s6
	v_perm_b32 v38, v38, v35, s6
	v_cvt_f32_f16_e32 v8, v8
	v_cvt_f32_f16_e32 v9, v9
	;; [unrolled: 1-line block ×4, first 2 shown]
	s_nop 1
	v_mfma_f32_16x16x16_f16 v[8:11], v[38:39], v[18:19], v[8:11]
	s_nop 7
	v_cvt_f16_f32_e32 v10, v10
	v_cvt_f16_f32_e32 v11, v11
	;; [unrolled: 1-line block ×4, first 2 shown]
	v_perm_b32 v35, v11, v10, s6
	ds_read_u16 v10, v125 offset:128
	ds_read_u16 v38, v125 offset:400
	;; [unrolled: 1-line block ×4, first 2 shown]
	s_waitcnt lgkmcnt(2)
	v_perm_b32 v10, v38, v10, s6
	s_waitcnt lgkmcnt(0)
	v_perm_b32 v11, v41, v11, s6
	s_nop 1
	v_mfma_f32_16x16x16_f16 v[10:13], v[10:11], v[22:23], v[42:45]
	ds_read_u16 v38, v125 offset:8832
	ds_read_u16 v41, v125 offset:9104
	s_nop 0
	ds_read_u16 v42, v125 offset:9376
	ds_read_u16 v43, v126 offset:8832
	v_cvt_f32_f16_e32 v44, v15
	v_cvt_f32_f16_sdwa v45, v15 dst_sel:DWORD dst_unused:UNUSED_PAD src0_sel:WORD_1
	s_nop 0
	v_cvt_f16_f32_e32 v10, v10
	v_cvt_f16_f32_e32 v11, v11
	;; [unrolled: 1-line block ×4, first 2 shown]
	s_waitcnt lgkmcnt(0)
	v_perm_b32 v43, v43, v42, s6
	v_perm_b32 v42, v41, v38, s6
	v_cvt_f32_f16_e32 v10, v10
	v_cvt_f32_f16_e32 v11, v11
	;; [unrolled: 1-line block ×4, first 2 shown]
	s_nop 1
	v_mfma_f32_16x16x16_f16 v[10:13], v[42:43], v[18:19], v[10:13]
	s_nop 7
	v_cvt_f16_f32_e32 v12, v12
	v_cvt_f16_f32_e32 v13, v13
	;; [unrolled: 1-line block ×4, first 2 shown]
	v_perm_b32 v38, v13, v12, s6
	ds_read_u16 v12, v125 offset:160
	ds_read_u16 v41, v125 offset:432
	;; [unrolled: 1-line block ×4, first 2 shown]
	s_waitcnt lgkmcnt(2)
	v_perm_b32 v12, v41, v12, s6
	s_waitcnt lgkmcnt(0)
	v_perm_b32 v13, v48, v13, s6
	s_nop 1
	v_mfma_f32_16x16x16_f16 v[12:15], v[12:13], v[22:23], v[44:47]
	ds_read_u16 v41, v125 offset:8864
	s_nop 1
	ds_read_u16 v44, v125 offset:9136
	ds_read_u16 v45, v125 offset:9408
	;; [unrolled: 1-line block ×3, first 2 shown]
	s_nop 1
	v_cvt_f16_f32_e32 v12, v12
	v_cvt_f16_f32_e32 v13, v13
	;; [unrolled: 1-line block ×4, first 2 shown]
	s_waitcnt lgkmcnt(0)
	v_perm_b32 v45, v46, v45, s6
	v_perm_b32 v44, v44, v41, s6
	v_cvt_f32_f16_e32 v12, v12
	v_cvt_f32_f16_e32 v13, v13
	;; [unrolled: 1-line block ×4, first 2 shown]
	s_nop 1
	v_mfma_f32_16x16x16_f16 v[12:15], v[44:45], v[18:19], v[12:15]
	s_nop 7
	v_cvt_f16_f32_e32 v14, v14
	v_cvt_f16_f32_e32 v15, v15
	v_cvt_f16_f32_e32 v45, v12
	v_cvt_f16_f32_e32 v46, v13
	v_perm_b32 v41, v15, v14, s6
	ds_read_u16 v14, v125 offset:192
	ds_read_u16 v44, v125 offset:464
	;; [unrolled: 1-line block ×4, first 2 shown]
	s_waitcnt lgkmcnt(2)
	v_perm_b32 v14, v44, v14, s6
	s_waitcnt lgkmcnt(0)
	v_perm_b32 v15, v47, v15, s6
	ds_read_u16 v44, v125 offset:8896
	ds_read_u16 v47, v125 offset:9168
	;; [unrolled: 1-line block ×4, first 2 shown]
	v_mfma_f32_16x16x16_f16 v[14:17], v[14:15], v[22:23], v[118:121]
	s_waitcnt lgkmcnt(0)
	v_perm_b32 v49, v49, v48, s6
	v_perm_b32 v48, v47, v44, s6
	v_cvt_f32_f16_e32 v118, v32
	s_nop 3
	v_cvt_f16_f32_e32 v14, v14
	v_cvt_f16_f32_e32 v15, v15
	;; [unrolled: 1-line block ×4, first 2 shown]
	v_cvt_f32_f16_e32 v14, v14
	v_cvt_f32_f16_e32 v15, v15
	;; [unrolled: 1-line block ×4, first 2 shown]
	v_cvt_f32_f16_sdwa v119, v32 dst_sel:DWORD dst_unused:UNUSED_PAD src0_sel:WORD_1
	v_cvt_f32_f16_e32 v120, v31
	v_mfma_f32_16x16x16_f16 v[14:17], v[48:49], v[18:19], v[14:17]
	v_cvt_f32_f16_sdwa v121, v31 dst_sel:DWORD dst_unused:UNUSED_PAD src0_sel:WORD_1
	s_nop 6
	v_cvt_f16_f32_e32 v16, v16
	v_cvt_f16_f32_e32 v17, v17
	;; [unrolled: 1-line block ×4, first 2 shown]
	v_perm_b32 v44, v17, v16, s6
	ds_read_u16 v16, v125 offset:224
	ds_read_u16 v49, v125 offset:496
	;; [unrolled: 1-line block ×4, first 2 shown]
	s_waitcnt lgkmcnt(2)
	v_perm_b32 v16, v49, v16, s6
	s_waitcnt lgkmcnt(0)
	v_perm_b32 v17, v56, v17, s6
	s_nop 1
	v_mfma_f32_16x16x16_f16 v[118:121], v[16:17], v[22:23], v[118:121]
	ds_read_u16 v16, v125 offset:8928
	ds_read_u16 v17, v125 offset:9200
	;; [unrolled: 1-line block ×4, first 2 shown]
	s_waitcnt lgkmcnt(0)
	s_barrier
	s_nop 1
	v_cvt_f16_f32_e32 v22, v118
	v_cvt_f16_f32_e32 v23, v119
	;; [unrolled: 1-line block ×4, first 2 shown]
	v_cvt_f32_f16_e32 v118, v22
	v_cvt_f32_f16_e32 v119, v23
	v_perm_b32 v23, v56, v49, s6
	v_perm_b32 v22, v17, v16, s6
	v_cvt_f32_f16_e32 v120, v31
	v_cvt_f32_f16_e32 v121, v32
	v_perm_b32 v31, v40, v39, s6
	v_perm_b32 v32, v37, v36, s6
	v_mfma_f32_16x16x16_f16 v[16:19], v[22:23], v[18:19], v[118:121]
	s_nop 7
	v_cvt_f16_f32_e32 v18, v18
	v_cvt_f16_f32_e32 v19, v19
	;; [unrolled: 1-line block ×4, first 2 shown]
	v_perm_b32 v18, v19, v18, s6
	ds_bpermute_b32 v19, v21, v25
	s_waitcnt lgkmcnt(0)
	v_add_f32_e32 v19, v25, v19
	ds_bpermute_b32 v21, v24, v19
	v_perm_b32 v25, v43, v42, s6
	s_waitcnt lgkmcnt(0)
	v_add_f32_e32 v21, v19, v21
	v_perm_b32 v19, v23, v22, s6
	v_perm_b32 v22, v48, v47, s6
	;; [unrolled: 1-line block ×3, first 2 shown]
	s_and_saveexec_b64 s[8:9], s[12:13]
	s_cbranch_execz .LBB24_186
; %bb.185:                              ;   in Loop: Header=BB24_12 Depth=1
	v_lshlrev_b32_e32 v19, 2, v94
	global_load_dword v19, v19, s[74:75]
	v_cvt_pk_f16_f32 v22, v2, v3
	v_max_f32_e32 v2, v20, v20
	v_cvt_pk_f16_f32 v4, v4, v5
	v_cvt_pk_f16_f32 v5, v6, v7
	;; [unrolled: 1-line block ×5, first 2 shown]
	s_waitcnt vmcnt(0)
	v_max_f32_e32 v3, v19, v19
	v_max_f32_e32 v2, v2, v3
	v_sub_f32_e32 v3, v20, v2
	v_sub_f32_e32 v9, v19, v2
	v_mul_f32_e32 v10, 0x3fb8aa3b, v3
	v_mul_f32_e32 v11, 0x3fb8aa3b, v9
	v_fma_f32 v12, v3, s15, -v10
	v_rndne_f32_e32 v13, v10
	v_fma_f32 v19, v9, s15, -v11
	v_rndne_f32_e32 v20, v11
	v_fmac_f32_e32 v12, 0x32a5705f, v3
	v_sub_f32_e32 v10, v10, v13
	v_fmac_f32_e32 v19, 0x32a5705f, v9
	v_sub_f32_e32 v11, v11, v20
	v_add_f32_e32 v10, v10, v12
	v_cvt_i32_f32_e32 v13, v13
	v_add_f32_e32 v11, v11, v19
	v_exp_f32_e32 v10, v10
	v_cvt_i32_f32_e32 v20, v20
	v_exp_f32_e32 v11, v11
	v_cmp_ngt_f32_e32 vcc, s67, v3
	v_ldexp_f32 v10, v10, v13
	v_cvt_pk_f16_f32 v12, v14, v15
	v_ldexp_f32 v11, v11, v20
	v_cndmask_b32_e32 v10, 0, v10, vcc
	v_cmp_ngt_f32_e32 vcc, s67, v9
	v_cvt_pk_f16_f32 v14, v16, v17
	s_nop 0
	v_cndmask_b32_e32 v11, 0, v11, vcc
	v_cmp_nlt_f32_e32 vcc, s66, v3
	s_nop 1
	v_cndmask_b32_e32 v10, v183, v10, vcc
	v_cmp_le_f32_e32 vcc, s33, v3
	s_nop 1
	v_cndmask_b32_e32 v10, 0, v10, vcc
	v_cvt_f16_f32_e32 v13, v10
	v_cmp_nlt_f32_e32 vcc, s66, v9
	v_mul_u32_u24_e32 v9, 0x10001, v13
	s_nop 0
	v_cndmask_b32_e32 v3, v183, v11, vcc
	v_fmac_f32_e32 v3, v21, v10
	v_pk_mul_f16 v28, v22, v9
	v_pk_mul_f16 v26, v26, v9
	;; [unrolled: 1-line block ×16, first 2 shown]
	v_mov_b64_e32 v[20:21], v[2:3]
.LBB24_186:                             ;   in Loop: Header=BB24_12 Depth=1
	s_or_b64 exec, exec, s[8:9]
	s_and_saveexec_b64 s[8:9], s[4:5]
; %bb.187:                              ;   in Loop: Header=BB24_12 Depth=1
	v_add_u32_e32 v2, 0, v132
	ds_write2_b32 v2, v20, v21 offset0:64 offset1:65
; %bb.188:                              ;   in Loop: Header=BB24_12 Depth=1
	s_or_b64 exec, exec, s[8:9]
	s_waitcnt lgkmcnt(0)
	s_barrier
	s_and_saveexec_b64 s[8:9], s[10:11]
	s_xor_b64 s[8:9], exec, s[8:9]
	s_cbranch_execz .LBB24_190
; %bb.189:                              ;   in Loop: Header=BB24_12 Depth=1
	s_barrier
                                        ; implicit-def: $vgpr24
.LBB24_190:                             ;   in Loop: Header=BB24_12 Depth=1
	s_andn2_saveexec_b64 s[8:9], s[8:9]
	s_cbranch_execz .LBB24_194
; %bb.191:                              ;   in Loop: Header=BB24_12 Depth=1
	v_add_u32_e32 v4, 0, v133
	ds_read_b64 v[2:3], v4 offset:256
	s_waitcnt lgkmcnt(0)
	s_barrier
	ds_bpermute_b32 v5, v24, v2
	v_max_f32_e32 v6, v2, v2
	s_waitcnt lgkmcnt(0)
	v_max_f32_e32 v5, v5, v5
	v_max_f32_e32 v5, v6, v5
	v_sub_f32_e32 v2, v2, v5
	v_mul_f32_e32 v5, 0x3fb8aa3b, v2
	v_fma_f32 v6, v2, s15, -v5
	v_rndne_f32_e32 v7, v5
	v_fmac_f32_e32 v6, 0x32a5705f, v2
	v_sub_f32_e32 v5, v5, v7
	v_add_f32_e32 v5, v5, v6
	v_cvt_i32_f32_e32 v7, v7
	v_exp_f32_e32 v5, v5
	v_cmp_ngt_f32_e32 vcc, s67, v2
	v_ldexp_f32 v5, v5, v7
	s_nop 0
	v_cndmask_b32_e32 v5, 0, v5, vcc
	v_cmp_nlt_f32_e32 vcc, s66, v2
	s_nop 1
	v_cndmask_b32_e32 v2, v183, v5, vcc
	v_mul_f32_e32 v3, v3, v2
	ds_bpermute_b32 v5, v24, v3
	s_mov_b64 s[12:13], exec
	v_readlane_b32 s62, v215, 10
	v_readlane_b32 s63, v215, 11
	s_and_b64 s[62:63], s[12:13], s[62:63]
	s_mov_b64 exec, s[62:63]
	s_cbranch_execz .LBB24_193
; %bb.192:                              ;   in Loop: Header=BB24_12 Depth=1
	s_waitcnt lgkmcnt(0)
	v_add_f32_e32 v3, v3, v5
	ds_write_b64 v4, v[2:3] offset:256
.LBB24_193:                             ;   in Loop: Header=BB24_12 Depth=1
	s_or_b64 exec, exec, s[12:13]
.LBB24_194:                             ;   in Loop: Header=BB24_12 Depth=1
	s_or_b64 exec, exec, s[8:9]
	v_add_u32_e32 v2, v129, v134
	ds_write2_b32 v2, v28, v26 offset1:1
	ds_write2_b32 v2, v33, v27 offset0:8 offset1:9
	ds_write2_b32 v2, v32, v30 offset0:16 offset1:17
	;; [unrolled: 1-line block ×7, first 2 shown]
	s_waitcnt lgkmcnt(0)
	s_barrier
	s_and_saveexec_b64 s[74:75], s[0:1]
	s_cbranch_execz .LBB24_10
; %bb.195:                              ;   in Loop: Header=BB24_12 Depth=1
	v_add_u32_e32 v3, s65, v172
	v_or_b32_e32 v2, s7, v98
	v_cmp_gt_i32_e32 vcc, s36, v3
	v_cmp_gt_i32_e64 s[8:9], s3, v2
	s_and_b64 s[62:63], vcc, s[8:9]
	v_mov_b32_e32 v2, 0x47
	s_and_saveexec_b64 s[12:13], s[62:63]
	s_cbranch_execz .LBB24_197
; %bb.196:                              ;   in Loop: Header=BB24_12 Depth=1
	v_mad_u64_u32 v[2:3], s[62:63], v3, s37, v[98:99]
	v_add_u32_e32 v8, 0, v135
	v_add_u32_e32 v3, v127, v135
	ds_read2_b32 v[4:5], v8 offset0:64 offset1:65
	ds_read2st64_b32 v[6:7], v3 offset1:17
	ds_read_b32 v8, v8 offset:4608
	v_lshl_add_u32 v2, v2, 6, v50
	v_ashrrev_i32_e32 v3, 31, v2
	v_lshl_add_u64 v[2:3], v[2:3], 3, s[72:73]
	s_waitcnt lgkmcnt(1)
	v_cvt_f32_f16_e32 v10, v6
	v_cvt_f32_f16_sdwa v11, v6 dst_sel:DWORD dst_unused:UNUSED_PAD src0_sel:WORD_1
	v_cvt_f32_f16_e32 v6, v7
	v_cvt_f32_f16_sdwa v7, v7 dst_sel:DWORD dst_unused:UNUSED_PAD src0_sel:WORD_1
	v_pk_fma_f32 v[10:11], v[4:5], v[10:11], 0 op_sel_hi:[0,1,0]
	s_waitcnt lgkmcnt(0)
	v_pk_fma_f32 v[6:7], v[8:9], v[6:7], v[10:11] op_sel_hi:[0,1,1]
	v_div_scale_f32 v4, s[62:63], v5, v5, v7
	v_rcp_f32_e32 v8, v4
	s_nop 0
	v_fma_f32 v9, -v4, v8, 1.0
	v_fmac_f32_e32 v8, v9, v8
	v_div_scale_f32 v9, vcc, v7, v5, v7
	v_mul_f32_e32 v10, v9, v8
	v_fma_f32 v11, -v4, v10, v9
	v_fmac_f32_e32 v10, v11, v8
	v_fma_f32 v4, -v4, v10, v9
	v_div_fmas_f32 v4, v4, v8, v10
	v_div_fixup_f32 v7, v4, v5, v7
	v_div_scale_f32 v4, s[62:63], v5, v5, v6
	v_rcp_f32_e32 v8, v4
	s_nop 0
	v_fma_f32 v9, -v4, v8, 1.0
	v_fmac_f32_e32 v8, v9, v8
	v_div_scale_f32 v9, vcc, v6, v5, v6
	v_mul_f32_e32 v10, v9, v8
	v_fma_f32 v11, -v4, v10, v9
	v_fmac_f32_e32 v10, v11, v8
	v_fma_f32 v4, -v4, v10, v9
	v_div_fmas_f32 v4, v4, v8, v10
	v_div_fixup_f32 v6, v4, v5, v6
	global_store_dwordx2 v[2:3], v[6:7], off
	v_mov_b32_e32 v2, 0
.LBB24_197:                             ;   in Loop: Header=BB24_12 Depth=1
	s_or_b64 exec, exec, s[12:13]
	s_movk_i32 s2, 0x47
	v_cmp_gt_i32_e32 vcc, s2, v2
	s_mov_b64 s[12:13], -1
	s_and_saveexec_b64 s[76:77], vcc
; %bb.198:                              ;   in Loop: Header=BB24_12 Depth=1
	v_cmp_eq_u32_e32 vcc, 0, v2
	s_orn2_b64 s[12:13], vcc, exec
; %bb.199:                              ;   in Loop: Header=BB24_12 Depth=1
	s_or_b64 exec, exec, s[76:77]
	s_and_b64 exec, exec, s[12:13]
	s_cbranch_execz .LBB24_10
; %bb.200:                              ;   in Loop: Header=BB24_12 Depth=1
	v_add_u32_e32 v3, s65, v173
	v_or_b32_e32 v2, s7, v78
	v_cmp_gt_i32_e32 vcc, s36, v3
	v_cmp_gt_i32_e64 s[12:13], s3, v2
	s_and_b64 s[62:63], vcc, s[12:13]
	v_mov_b32_e32 v2, 0x47
	s_and_saveexec_b64 s[12:13], s[62:63]
	s_cbranch_execz .LBB24_202
; %bb.201:                              ;   in Loop: Header=BB24_12 Depth=1
	v_mad_u64_u32 v[2:3], s[62:63], v3, s37, v[78:79]
	v_add_u32_e32 v8, 0, v136
	v_add_u32_e32 v3, v127, v136
	ds_read2_b32 v[4:5], v8 offset0:64 offset1:65
	ds_read2st64_b32 v[6:7], v3 offset1:17
	ds_read_b32 v8, v8 offset:4608
	v_lshl_add_u32 v2, v2, 6, v50
	v_ashrrev_i32_e32 v3, 31, v2
	v_lshl_add_u64 v[2:3], v[2:3], 3, s[72:73]
	s_waitcnt lgkmcnt(1)
	v_cvt_f32_f16_e32 v10, v6
	v_cvt_f32_f16_sdwa v11, v6 dst_sel:DWORD dst_unused:UNUSED_PAD src0_sel:WORD_1
	v_cvt_f32_f16_e32 v6, v7
	v_cvt_f32_f16_sdwa v7, v7 dst_sel:DWORD dst_unused:UNUSED_PAD src0_sel:WORD_1
	v_pk_fma_f32 v[10:11], v[4:5], v[10:11], 0 op_sel_hi:[0,1,0]
	s_waitcnt lgkmcnt(0)
	v_pk_fma_f32 v[6:7], v[8:9], v[6:7], v[10:11] op_sel_hi:[0,1,1]
	v_div_scale_f32 v4, s[62:63], v5, v5, v7
	v_rcp_f32_e32 v8, v4
	s_nop 0
	v_fma_f32 v9, -v4, v8, 1.0
	v_fmac_f32_e32 v8, v9, v8
	v_div_scale_f32 v9, vcc, v7, v5, v7
	v_mul_f32_e32 v10, v9, v8
	v_fma_f32 v11, -v4, v10, v9
	v_fmac_f32_e32 v10, v11, v8
	v_fma_f32 v4, -v4, v10, v9
	v_div_fmas_f32 v4, v4, v8, v10
	v_div_fixup_f32 v7, v4, v5, v7
	v_div_scale_f32 v4, s[62:63], v5, v5, v6
	v_rcp_f32_e32 v8, v4
	s_nop 0
	v_fma_f32 v9, -v4, v8, 1.0
	v_fmac_f32_e32 v8, v9, v8
	v_div_scale_f32 v9, vcc, v6, v5, v6
	v_mul_f32_e32 v10, v9, v8
	v_fma_f32 v11, -v4, v10, v9
	v_fmac_f32_e32 v10, v11, v8
	v_fma_f32 v4, -v4, v10, v9
	v_div_fmas_f32 v4, v4, v8, v10
	v_div_fixup_f32 v6, v4, v5, v6
	global_store_dwordx2 v[2:3], v[6:7], off
	v_mov_b32_e32 v2, 0
.LBB24_202:                             ;   in Loop: Header=BB24_12 Depth=1
	s_or_b64 exec, exec, s[12:13]
	v_cmp_gt_i32_e32 vcc, s2, v2
	s_mov_b64 s[12:13], -1
	s_and_saveexec_b64 s[76:77], vcc
; %bb.203:                              ;   in Loop: Header=BB24_12 Depth=1
	v_cmp_eq_u32_e32 vcc, 0, v2
	s_orn2_b64 s[12:13], vcc, exec
; %bb.204:                              ;   in Loop: Header=BB24_12 Depth=1
	s_or_b64 exec, exec, s[76:77]
	s_and_b64 exec, exec, s[12:13]
	s_cbranch_execz .LBB24_10
; %bb.205:                              ;   in Loop: Header=BB24_12 Depth=1
	v_add_u32_e32 v3, s65, v137
	v_cmp_gt_i32_e32 vcc, s36, v3
	s_and_b64 s[62:63], vcc, s[8:9]
	v_mov_b32_e32 v2, 0x47
	s_and_saveexec_b64 s[12:13], s[62:63]
	s_cbranch_execz .LBB24_207
; %bb.206:                              ;   in Loop: Header=BB24_12 Depth=1
	v_mad_u64_u32 v[2:3], s[62:63], v3, s37, v[98:99]
	v_add_u32_e32 v8, 0, v138
	v_add_u32_e32 v3, v127, v138
	ds_read2_b32 v[4:5], v8 offset0:64 offset1:65
	ds_read2st64_b32 v[6:7], v3 offset1:17
	ds_read_b32 v8, v8 offset:4608
	v_lshl_add_u32 v2, v2, 6, v50
	v_ashrrev_i32_e32 v3, 31, v2
	v_lshl_add_u64 v[2:3], v[2:3], 3, s[72:73]
	s_waitcnt lgkmcnt(1)
	v_cvt_f32_f16_e32 v10, v6
	v_cvt_f32_f16_sdwa v11, v6 dst_sel:DWORD dst_unused:UNUSED_PAD src0_sel:WORD_1
	v_cvt_f32_f16_e32 v6, v7
	v_cvt_f32_f16_sdwa v7, v7 dst_sel:DWORD dst_unused:UNUSED_PAD src0_sel:WORD_1
	v_pk_fma_f32 v[10:11], v[4:5], v[10:11], 0 op_sel_hi:[0,1,0]
	s_waitcnt lgkmcnt(0)
	v_pk_fma_f32 v[6:7], v[8:9], v[6:7], v[10:11] op_sel_hi:[0,1,1]
	v_div_scale_f32 v4, s[62:63], v5, v5, v7
	v_rcp_f32_e32 v8, v4
	s_nop 0
	v_fma_f32 v9, -v4, v8, 1.0
	v_fmac_f32_e32 v8, v9, v8
	v_div_scale_f32 v9, vcc, v7, v5, v7
	v_mul_f32_e32 v10, v9, v8
	v_fma_f32 v11, -v4, v10, v9
	v_fmac_f32_e32 v10, v11, v8
	v_fma_f32 v4, -v4, v10, v9
	v_div_fmas_f32 v4, v4, v8, v10
	v_div_fixup_f32 v7, v4, v5, v7
	v_div_scale_f32 v4, s[62:63], v5, v5, v6
	v_rcp_f32_e32 v8, v4
	s_nop 0
	v_fma_f32 v9, -v4, v8, 1.0
	v_fmac_f32_e32 v8, v9, v8
	v_div_scale_f32 v9, vcc, v6, v5, v6
	v_mul_f32_e32 v10, v9, v8
	v_fma_f32 v11, -v4, v10, v9
	v_fmac_f32_e32 v10, v11, v8
	v_fma_f32 v4, -v4, v10, v9
	v_div_fmas_f32 v4, v4, v8, v10
	v_div_fixup_f32 v6, v4, v5, v6
	global_store_dwordx2 v[2:3], v[6:7], off
	v_mov_b32_e32 v2, 0
.LBB24_207:                             ;   in Loop: Header=BB24_12 Depth=1
	s_or_b64 exec, exec, s[12:13]
	v_cmp_gt_i32_e32 vcc, s2, v2
	s_mov_b64 s[12:13], -1
	s_and_saveexec_b64 s[76:77], vcc
; %bb.208:                              ;   in Loop: Header=BB24_12 Depth=1
	v_cmp_eq_u32_e32 vcc, 0, v2
	s_orn2_b64 s[12:13], vcc, exec
; %bb.209:                              ;   in Loop: Header=BB24_12 Depth=1
	s_or_b64 exec, exec, s[76:77]
	s_and_b64 exec, exec, s[12:13]
	s_cbranch_execz .LBB24_10
; %bb.210:                              ;   in Loop: Header=BB24_12 Depth=1
	v_add_u32_e32 v3, s65, v174
	v_or_b32_e32 v2, s7, v80
	v_cmp_gt_i32_e32 vcc, s36, v3
	v_cmp_gt_i32_e64 s[12:13], s3, v2
	s_and_b64 s[62:63], vcc, s[12:13]
	v_mov_b32_e32 v2, 0x47
	s_and_saveexec_b64 s[12:13], s[62:63]
	s_cbranch_execz .LBB24_212
; %bb.211:                              ;   in Loop: Header=BB24_12 Depth=1
	v_mad_u64_u32 v[2:3], s[62:63], v3, s37, v[80:81]
	v_add_u32_e32 v8, 0, v139
	v_add_u32_e32 v3, v127, v139
	ds_read2_b32 v[4:5], v8 offset0:64 offset1:65
	ds_read2st64_b32 v[6:7], v3 offset1:17
	ds_read_b32 v8, v8 offset:4608
	v_lshl_add_u32 v2, v2, 6, v50
	v_ashrrev_i32_e32 v3, 31, v2
	v_lshl_add_u64 v[2:3], v[2:3], 3, s[72:73]
	s_waitcnt lgkmcnt(1)
	v_cvt_f32_f16_e32 v10, v6
	v_cvt_f32_f16_sdwa v11, v6 dst_sel:DWORD dst_unused:UNUSED_PAD src0_sel:WORD_1
	v_cvt_f32_f16_e32 v6, v7
	v_cvt_f32_f16_sdwa v7, v7 dst_sel:DWORD dst_unused:UNUSED_PAD src0_sel:WORD_1
	v_pk_fma_f32 v[10:11], v[4:5], v[10:11], 0 op_sel_hi:[0,1,0]
	s_waitcnt lgkmcnt(0)
	v_pk_fma_f32 v[6:7], v[8:9], v[6:7], v[10:11] op_sel_hi:[0,1,1]
	v_div_scale_f32 v4, s[62:63], v5, v5, v7
	v_rcp_f32_e32 v8, v4
	s_nop 0
	v_fma_f32 v9, -v4, v8, 1.0
	v_fmac_f32_e32 v8, v9, v8
	v_div_scale_f32 v9, vcc, v7, v5, v7
	v_mul_f32_e32 v10, v9, v8
	v_fma_f32 v11, -v4, v10, v9
	v_fmac_f32_e32 v10, v11, v8
	v_fma_f32 v4, -v4, v10, v9
	v_div_fmas_f32 v4, v4, v8, v10
	v_div_fixup_f32 v7, v4, v5, v7
	v_div_scale_f32 v4, s[62:63], v5, v5, v6
	v_rcp_f32_e32 v8, v4
	s_nop 0
	v_fma_f32 v9, -v4, v8, 1.0
	v_fmac_f32_e32 v8, v9, v8
	v_div_scale_f32 v9, vcc, v6, v5, v6
	v_mul_f32_e32 v10, v9, v8
	v_fma_f32 v11, -v4, v10, v9
	v_fmac_f32_e32 v10, v11, v8
	v_fma_f32 v4, -v4, v10, v9
	v_div_fmas_f32 v4, v4, v8, v10
	v_div_fixup_f32 v6, v4, v5, v6
	global_store_dwordx2 v[2:3], v[6:7], off
	v_mov_b32_e32 v2, 0
.LBB24_212:                             ;   in Loop: Header=BB24_12 Depth=1
	s_or_b64 exec, exec, s[12:13]
	v_cmp_gt_i32_e32 vcc, s2, v2
	s_mov_b64 s[12:13], -1
	s_and_saveexec_b64 s[76:77], vcc
; %bb.213:                              ;   in Loop: Header=BB24_12 Depth=1
	v_cmp_eq_u32_e32 vcc, 0, v2
	s_orn2_b64 s[12:13], vcc, exec
; %bb.214:                              ;   in Loop: Header=BB24_12 Depth=1
	s_or_b64 exec, exec, s[76:77]
	s_and_b64 exec, exec, s[12:13]
	s_cbranch_execz .LBB24_10
; %bb.215:                              ;   in Loop: Header=BB24_12 Depth=1
	v_add_u32_e32 v3, s65, v140
	v_cmp_gt_i32_e32 vcc, s36, v3
	s_and_b64 s[62:63], vcc, s[8:9]
	v_mov_b32_e32 v2, 0x47
	s_and_saveexec_b64 s[12:13], s[62:63]
	s_cbranch_execz .LBB24_217
; %bb.216:                              ;   in Loop: Header=BB24_12 Depth=1
	v_mad_u64_u32 v[2:3], s[62:63], v3, s37, v[98:99]
	v_add_u32_e32 v8, 0, v141
	v_add_u32_e32 v3, v127, v141
	ds_read2_b32 v[4:5], v8 offset0:64 offset1:65
	ds_read2st64_b32 v[6:7], v3 offset1:17
	ds_read_b32 v8, v8 offset:4608
	v_lshl_add_u32 v2, v2, 6, v50
	v_ashrrev_i32_e32 v3, 31, v2
	v_lshl_add_u64 v[2:3], v[2:3], 3, s[72:73]
	s_waitcnt lgkmcnt(1)
	v_cvt_f32_f16_e32 v10, v6
	v_cvt_f32_f16_sdwa v11, v6 dst_sel:DWORD dst_unused:UNUSED_PAD src0_sel:WORD_1
	v_cvt_f32_f16_e32 v6, v7
	v_cvt_f32_f16_sdwa v7, v7 dst_sel:DWORD dst_unused:UNUSED_PAD src0_sel:WORD_1
	v_pk_fma_f32 v[10:11], v[4:5], v[10:11], 0 op_sel_hi:[0,1,0]
	s_waitcnt lgkmcnt(0)
	v_pk_fma_f32 v[6:7], v[8:9], v[6:7], v[10:11] op_sel_hi:[0,1,1]
	v_div_scale_f32 v4, s[62:63], v5, v5, v7
	v_rcp_f32_e32 v8, v4
	s_nop 0
	v_fma_f32 v9, -v4, v8, 1.0
	v_fmac_f32_e32 v8, v9, v8
	v_div_scale_f32 v9, vcc, v7, v5, v7
	v_mul_f32_e32 v10, v9, v8
	v_fma_f32 v11, -v4, v10, v9
	v_fmac_f32_e32 v10, v11, v8
	v_fma_f32 v4, -v4, v10, v9
	v_div_fmas_f32 v4, v4, v8, v10
	v_div_fixup_f32 v7, v4, v5, v7
	v_div_scale_f32 v4, s[62:63], v5, v5, v6
	v_rcp_f32_e32 v8, v4
	s_nop 0
	v_fma_f32 v9, -v4, v8, 1.0
	v_fmac_f32_e32 v8, v9, v8
	v_div_scale_f32 v9, vcc, v6, v5, v6
	v_mul_f32_e32 v10, v9, v8
	v_fma_f32 v11, -v4, v10, v9
	v_fmac_f32_e32 v10, v11, v8
	v_fma_f32 v4, -v4, v10, v9
	v_div_fmas_f32 v4, v4, v8, v10
	v_div_fixup_f32 v6, v4, v5, v6
	global_store_dwordx2 v[2:3], v[6:7], off
	v_mov_b32_e32 v2, 0
.LBB24_217:                             ;   in Loop: Header=BB24_12 Depth=1
	s_or_b64 exec, exec, s[12:13]
	v_cmp_gt_i32_e32 vcc, s2, v2
	s_mov_b64 s[12:13], -1
	s_and_saveexec_b64 s[76:77], vcc
; %bb.218:                              ;   in Loop: Header=BB24_12 Depth=1
	v_cmp_eq_u32_e32 vcc, 0, v2
	s_orn2_b64 s[12:13], vcc, exec
; %bb.219:                              ;   in Loop: Header=BB24_12 Depth=1
	s_or_b64 exec, exec, s[76:77]
	s_and_b64 exec, exec, s[12:13]
	s_cbranch_execz .LBB24_10
; %bb.220:                              ;   in Loop: Header=BB24_12 Depth=1
	v_add_u32_e32 v3, s65, v175
	v_or_b32_e32 v2, s7, v82
	v_cmp_gt_i32_e32 vcc, s36, v3
	v_cmp_gt_i32_e64 s[12:13], s3, v2
	s_and_b64 s[62:63], vcc, s[12:13]
	v_mov_b32_e32 v2, 0x47
	s_and_saveexec_b64 s[12:13], s[62:63]
	s_cbranch_execz .LBB24_222
; %bb.221:                              ;   in Loop: Header=BB24_12 Depth=1
	v_mad_u64_u32 v[2:3], s[62:63], v3, s37, v[82:83]
	v_add_u32_e32 v8, 0, v142
	v_add_u32_e32 v3, v127, v142
	ds_read2_b32 v[4:5], v8 offset0:64 offset1:65
	ds_read2st64_b32 v[6:7], v3 offset1:17
	ds_read_b32 v8, v8 offset:4608
	v_lshl_add_u32 v2, v2, 6, v50
	v_ashrrev_i32_e32 v3, 31, v2
	v_lshl_add_u64 v[2:3], v[2:3], 3, s[72:73]
	s_waitcnt lgkmcnt(1)
	v_cvt_f32_f16_e32 v10, v6
	v_cvt_f32_f16_sdwa v11, v6 dst_sel:DWORD dst_unused:UNUSED_PAD src0_sel:WORD_1
	v_cvt_f32_f16_e32 v6, v7
	v_cvt_f32_f16_sdwa v7, v7 dst_sel:DWORD dst_unused:UNUSED_PAD src0_sel:WORD_1
	v_pk_fma_f32 v[10:11], v[4:5], v[10:11], 0 op_sel_hi:[0,1,0]
	s_waitcnt lgkmcnt(0)
	v_pk_fma_f32 v[6:7], v[8:9], v[6:7], v[10:11] op_sel_hi:[0,1,1]
	v_div_scale_f32 v4, s[62:63], v5, v5, v7
	v_rcp_f32_e32 v8, v4
	s_nop 0
	v_fma_f32 v9, -v4, v8, 1.0
	v_fmac_f32_e32 v8, v9, v8
	v_div_scale_f32 v9, vcc, v7, v5, v7
	v_mul_f32_e32 v10, v9, v8
	v_fma_f32 v11, -v4, v10, v9
	v_fmac_f32_e32 v10, v11, v8
	v_fma_f32 v4, -v4, v10, v9
	v_div_fmas_f32 v4, v4, v8, v10
	v_div_fixup_f32 v7, v4, v5, v7
	v_div_scale_f32 v4, s[62:63], v5, v5, v6
	v_rcp_f32_e32 v8, v4
	s_nop 0
	v_fma_f32 v9, -v4, v8, 1.0
	v_fmac_f32_e32 v8, v9, v8
	v_div_scale_f32 v9, vcc, v6, v5, v6
	v_mul_f32_e32 v10, v9, v8
	v_fma_f32 v11, -v4, v10, v9
	v_fmac_f32_e32 v10, v11, v8
	v_fma_f32 v4, -v4, v10, v9
	v_div_fmas_f32 v4, v4, v8, v10
	v_div_fixup_f32 v6, v4, v5, v6
	global_store_dwordx2 v[2:3], v[6:7], off
	v_mov_b32_e32 v2, 0
.LBB24_222:                             ;   in Loop: Header=BB24_12 Depth=1
	s_or_b64 exec, exec, s[12:13]
	v_cmp_gt_i32_e32 vcc, s2, v2
	s_mov_b64 s[12:13], -1
	s_and_saveexec_b64 s[76:77], vcc
; %bb.223:                              ;   in Loop: Header=BB24_12 Depth=1
	v_cmp_eq_u32_e32 vcc, 0, v2
	s_orn2_b64 s[12:13], vcc, exec
; %bb.224:                              ;   in Loop: Header=BB24_12 Depth=1
	s_or_b64 exec, exec, s[76:77]
	s_and_b64 exec, exec, s[12:13]
	s_cbranch_execz .LBB24_10
; %bb.225:                              ;   in Loop: Header=BB24_12 Depth=1
	v_add_u32_e32 v3, s65, v143
	v_cmp_gt_i32_e32 vcc, s36, v3
	s_and_b64 s[62:63], vcc, s[8:9]
	v_mov_b32_e32 v2, 0x47
	s_and_saveexec_b64 s[12:13], s[62:63]
	s_cbranch_execz .LBB24_227
; %bb.226:                              ;   in Loop: Header=BB24_12 Depth=1
	v_mad_u64_u32 v[2:3], s[62:63], v3, s37, v[98:99]
	v_add_u32_e32 v8, 0, v144
	v_add_u32_e32 v3, v127, v144
	ds_read2_b32 v[4:5], v8 offset0:64 offset1:65
	ds_read2st64_b32 v[6:7], v3 offset1:17
	ds_read_b32 v8, v8 offset:4608
	v_lshl_add_u32 v2, v2, 6, v50
	v_ashrrev_i32_e32 v3, 31, v2
	v_lshl_add_u64 v[2:3], v[2:3], 3, s[72:73]
	s_waitcnt lgkmcnt(1)
	v_cvt_f32_f16_e32 v10, v6
	v_cvt_f32_f16_sdwa v11, v6 dst_sel:DWORD dst_unused:UNUSED_PAD src0_sel:WORD_1
	v_cvt_f32_f16_e32 v6, v7
	v_cvt_f32_f16_sdwa v7, v7 dst_sel:DWORD dst_unused:UNUSED_PAD src0_sel:WORD_1
	v_pk_fma_f32 v[10:11], v[4:5], v[10:11], 0 op_sel_hi:[0,1,0]
	s_waitcnt lgkmcnt(0)
	v_pk_fma_f32 v[6:7], v[8:9], v[6:7], v[10:11] op_sel_hi:[0,1,1]
	v_div_scale_f32 v4, s[62:63], v5, v5, v7
	v_rcp_f32_e32 v8, v4
	s_nop 0
	v_fma_f32 v9, -v4, v8, 1.0
	v_fmac_f32_e32 v8, v9, v8
	v_div_scale_f32 v9, vcc, v7, v5, v7
	v_mul_f32_e32 v10, v9, v8
	v_fma_f32 v11, -v4, v10, v9
	v_fmac_f32_e32 v10, v11, v8
	v_fma_f32 v4, -v4, v10, v9
	v_div_fmas_f32 v4, v4, v8, v10
	v_div_fixup_f32 v7, v4, v5, v7
	v_div_scale_f32 v4, s[62:63], v5, v5, v6
	v_rcp_f32_e32 v8, v4
	s_nop 0
	v_fma_f32 v9, -v4, v8, 1.0
	v_fmac_f32_e32 v8, v9, v8
	v_div_scale_f32 v9, vcc, v6, v5, v6
	v_mul_f32_e32 v10, v9, v8
	v_fma_f32 v11, -v4, v10, v9
	v_fmac_f32_e32 v10, v11, v8
	v_fma_f32 v4, -v4, v10, v9
	v_div_fmas_f32 v4, v4, v8, v10
	v_div_fixup_f32 v6, v4, v5, v6
	global_store_dwordx2 v[2:3], v[6:7], off
	v_mov_b32_e32 v2, 0
.LBB24_227:                             ;   in Loop: Header=BB24_12 Depth=1
	s_or_b64 exec, exec, s[12:13]
	v_cmp_gt_i32_e32 vcc, s2, v2
	s_mov_b64 s[12:13], -1
	s_and_saveexec_b64 s[76:77], vcc
; %bb.228:                              ;   in Loop: Header=BB24_12 Depth=1
	v_cmp_eq_u32_e32 vcc, 0, v2
	s_orn2_b64 s[12:13], vcc, exec
; %bb.229:                              ;   in Loop: Header=BB24_12 Depth=1
	s_or_b64 exec, exec, s[76:77]
	s_and_b64 exec, exec, s[12:13]
	s_cbranch_execz .LBB24_10
; %bb.230:                              ;   in Loop: Header=BB24_12 Depth=1
	v_add_u32_e32 v3, s65, v176
	v_or_b32_e32 v2, s7, v84
	v_cmp_gt_i32_e32 vcc, s36, v3
	v_cmp_gt_i32_e64 s[12:13], s3, v2
	s_and_b64 s[62:63], vcc, s[12:13]
	v_mov_b32_e32 v2, 0x47
	s_and_saveexec_b64 s[12:13], s[62:63]
	s_cbranch_execz .LBB24_232
; %bb.231:                              ;   in Loop: Header=BB24_12 Depth=1
	v_mad_u64_u32 v[2:3], s[62:63], v3, s37, v[84:85]
	v_add_u32_e32 v8, 0, v145
	v_add_u32_e32 v3, v127, v145
	ds_read2_b32 v[4:5], v8 offset0:64 offset1:65
	ds_read2st64_b32 v[6:7], v3 offset1:17
	ds_read_b32 v8, v8 offset:4608
	v_lshl_add_u32 v2, v2, 6, v50
	v_ashrrev_i32_e32 v3, 31, v2
	v_lshl_add_u64 v[2:3], v[2:3], 3, s[72:73]
	s_waitcnt lgkmcnt(1)
	v_cvt_f32_f16_e32 v10, v6
	v_cvt_f32_f16_sdwa v11, v6 dst_sel:DWORD dst_unused:UNUSED_PAD src0_sel:WORD_1
	v_cvt_f32_f16_e32 v6, v7
	v_cvt_f32_f16_sdwa v7, v7 dst_sel:DWORD dst_unused:UNUSED_PAD src0_sel:WORD_1
	v_pk_fma_f32 v[10:11], v[4:5], v[10:11], 0 op_sel_hi:[0,1,0]
	s_waitcnt lgkmcnt(0)
	v_pk_fma_f32 v[6:7], v[8:9], v[6:7], v[10:11] op_sel_hi:[0,1,1]
	v_div_scale_f32 v4, s[62:63], v5, v5, v7
	v_rcp_f32_e32 v8, v4
	s_nop 0
	v_fma_f32 v9, -v4, v8, 1.0
	v_fmac_f32_e32 v8, v9, v8
	v_div_scale_f32 v9, vcc, v7, v5, v7
	v_mul_f32_e32 v10, v9, v8
	v_fma_f32 v11, -v4, v10, v9
	v_fmac_f32_e32 v10, v11, v8
	v_fma_f32 v4, -v4, v10, v9
	v_div_fmas_f32 v4, v4, v8, v10
	v_div_fixup_f32 v7, v4, v5, v7
	v_div_scale_f32 v4, s[62:63], v5, v5, v6
	v_rcp_f32_e32 v8, v4
	s_nop 0
	v_fma_f32 v9, -v4, v8, 1.0
	v_fmac_f32_e32 v8, v9, v8
	v_div_scale_f32 v9, vcc, v6, v5, v6
	v_mul_f32_e32 v10, v9, v8
	v_fma_f32 v11, -v4, v10, v9
	v_fmac_f32_e32 v10, v11, v8
	v_fma_f32 v4, -v4, v10, v9
	v_div_fmas_f32 v4, v4, v8, v10
	v_div_fixup_f32 v6, v4, v5, v6
	global_store_dwordx2 v[2:3], v[6:7], off
	v_mov_b32_e32 v2, 0
.LBB24_232:                             ;   in Loop: Header=BB24_12 Depth=1
	s_or_b64 exec, exec, s[12:13]
	v_cmp_gt_i32_e32 vcc, s2, v2
	s_mov_b64 s[12:13], -1
	s_and_saveexec_b64 s[76:77], vcc
; %bb.233:                              ;   in Loop: Header=BB24_12 Depth=1
	v_cmp_eq_u32_e32 vcc, 0, v2
	s_orn2_b64 s[12:13], vcc, exec
; %bb.234:                              ;   in Loop: Header=BB24_12 Depth=1
	s_or_b64 exec, exec, s[76:77]
	s_and_b64 exec, exec, s[12:13]
	s_cbranch_execz .LBB24_10
; %bb.235:                              ;   in Loop: Header=BB24_12 Depth=1
	v_add_u32_e32 v3, s65, v146
	v_cmp_gt_i32_e32 vcc, s36, v3
	s_and_b64 s[62:63], vcc, s[8:9]
	v_mov_b32_e32 v2, 0x47
	s_and_saveexec_b64 s[12:13], s[62:63]
	s_cbranch_execz .LBB24_237
; %bb.236:                              ;   in Loop: Header=BB24_12 Depth=1
	v_mad_u64_u32 v[2:3], s[62:63], v3, s37, v[98:99]
	v_add_u32_e32 v8, 0, v147
	v_add_u32_e32 v3, v127, v147
	ds_read2_b32 v[4:5], v8 offset0:64 offset1:65
	ds_read2st64_b32 v[6:7], v3 offset1:17
	ds_read_b32 v8, v8 offset:4608
	v_lshl_add_u32 v2, v2, 6, v50
	v_ashrrev_i32_e32 v3, 31, v2
	v_lshl_add_u64 v[2:3], v[2:3], 3, s[72:73]
	s_waitcnt lgkmcnt(1)
	v_cvt_f32_f16_e32 v10, v6
	v_cvt_f32_f16_sdwa v11, v6 dst_sel:DWORD dst_unused:UNUSED_PAD src0_sel:WORD_1
	v_cvt_f32_f16_e32 v6, v7
	v_cvt_f32_f16_sdwa v7, v7 dst_sel:DWORD dst_unused:UNUSED_PAD src0_sel:WORD_1
	v_pk_fma_f32 v[10:11], v[4:5], v[10:11], 0 op_sel_hi:[0,1,0]
	s_waitcnt lgkmcnt(0)
	v_pk_fma_f32 v[6:7], v[8:9], v[6:7], v[10:11] op_sel_hi:[0,1,1]
	v_div_scale_f32 v4, s[62:63], v5, v5, v7
	v_rcp_f32_e32 v8, v4
	s_nop 0
	v_fma_f32 v9, -v4, v8, 1.0
	v_fmac_f32_e32 v8, v9, v8
	v_div_scale_f32 v9, vcc, v7, v5, v7
	v_mul_f32_e32 v10, v9, v8
	v_fma_f32 v11, -v4, v10, v9
	v_fmac_f32_e32 v10, v11, v8
	v_fma_f32 v4, -v4, v10, v9
	v_div_fmas_f32 v4, v4, v8, v10
	v_div_fixup_f32 v7, v4, v5, v7
	v_div_scale_f32 v4, s[62:63], v5, v5, v6
	v_rcp_f32_e32 v8, v4
	s_nop 0
	v_fma_f32 v9, -v4, v8, 1.0
	v_fmac_f32_e32 v8, v9, v8
	v_div_scale_f32 v9, vcc, v6, v5, v6
	v_mul_f32_e32 v10, v9, v8
	v_fma_f32 v11, -v4, v10, v9
	v_fmac_f32_e32 v10, v11, v8
	v_fma_f32 v4, -v4, v10, v9
	v_div_fmas_f32 v4, v4, v8, v10
	v_div_fixup_f32 v6, v4, v5, v6
	global_store_dwordx2 v[2:3], v[6:7], off
	v_mov_b32_e32 v2, 0
.LBB24_237:                             ;   in Loop: Header=BB24_12 Depth=1
	s_or_b64 exec, exec, s[12:13]
	v_cmp_gt_i32_e32 vcc, s2, v2
	s_mov_b64 s[12:13], -1
	s_and_saveexec_b64 s[76:77], vcc
; %bb.238:                              ;   in Loop: Header=BB24_12 Depth=1
	v_cmp_eq_u32_e32 vcc, 0, v2
	s_orn2_b64 s[12:13], vcc, exec
; %bb.239:                              ;   in Loop: Header=BB24_12 Depth=1
	s_or_b64 exec, exec, s[76:77]
	s_and_b64 exec, exec, s[12:13]
	s_cbranch_execz .LBB24_10
; %bb.240:                              ;   in Loop: Header=BB24_12 Depth=1
	v_add_u32_e32 v3, s65, v177
	v_or_b32_e32 v2, s7, v86
	v_cmp_gt_i32_e32 vcc, s36, v3
	v_cmp_gt_i32_e64 s[12:13], s3, v2
	s_and_b64 s[62:63], vcc, s[12:13]
	v_mov_b32_e32 v2, 0x47
	s_and_saveexec_b64 s[12:13], s[62:63]
	s_cbranch_execz .LBB24_242
; %bb.241:                              ;   in Loop: Header=BB24_12 Depth=1
	v_mad_u64_u32 v[2:3], s[62:63], v3, s37, v[86:87]
	v_add_u32_e32 v8, 0, v148
	v_add_u32_e32 v3, v127, v148
	ds_read2_b32 v[4:5], v8 offset0:64 offset1:65
	ds_read2st64_b32 v[6:7], v3 offset1:17
	ds_read_b32 v8, v8 offset:4608
	v_lshl_add_u32 v2, v2, 6, v50
	v_ashrrev_i32_e32 v3, 31, v2
	v_lshl_add_u64 v[2:3], v[2:3], 3, s[72:73]
	s_waitcnt lgkmcnt(1)
	v_cvt_f32_f16_e32 v10, v6
	v_cvt_f32_f16_sdwa v11, v6 dst_sel:DWORD dst_unused:UNUSED_PAD src0_sel:WORD_1
	v_cvt_f32_f16_e32 v6, v7
	v_cvt_f32_f16_sdwa v7, v7 dst_sel:DWORD dst_unused:UNUSED_PAD src0_sel:WORD_1
	v_pk_fma_f32 v[10:11], v[4:5], v[10:11], 0 op_sel_hi:[0,1,0]
	s_waitcnt lgkmcnt(0)
	v_pk_fma_f32 v[6:7], v[8:9], v[6:7], v[10:11] op_sel_hi:[0,1,1]
	v_div_scale_f32 v4, s[62:63], v5, v5, v7
	v_rcp_f32_e32 v8, v4
	s_nop 0
	v_fma_f32 v9, -v4, v8, 1.0
	v_fmac_f32_e32 v8, v9, v8
	v_div_scale_f32 v9, vcc, v7, v5, v7
	v_mul_f32_e32 v10, v9, v8
	v_fma_f32 v11, -v4, v10, v9
	v_fmac_f32_e32 v10, v11, v8
	v_fma_f32 v4, -v4, v10, v9
	v_div_fmas_f32 v4, v4, v8, v10
	v_div_fixup_f32 v7, v4, v5, v7
	v_div_scale_f32 v4, s[62:63], v5, v5, v6
	v_rcp_f32_e32 v8, v4
	s_nop 0
	v_fma_f32 v9, -v4, v8, 1.0
	v_fmac_f32_e32 v8, v9, v8
	v_div_scale_f32 v9, vcc, v6, v5, v6
	v_mul_f32_e32 v10, v9, v8
	v_fma_f32 v11, -v4, v10, v9
	v_fmac_f32_e32 v10, v11, v8
	v_fma_f32 v4, -v4, v10, v9
	v_div_fmas_f32 v4, v4, v8, v10
	v_div_fixup_f32 v6, v4, v5, v6
	global_store_dwordx2 v[2:3], v[6:7], off
	v_mov_b32_e32 v2, 0
.LBB24_242:                             ;   in Loop: Header=BB24_12 Depth=1
	s_or_b64 exec, exec, s[12:13]
	v_cmp_gt_i32_e32 vcc, s2, v2
	s_mov_b64 s[12:13], -1
	s_and_saveexec_b64 s[76:77], vcc
; %bb.243:                              ;   in Loop: Header=BB24_12 Depth=1
	v_cmp_eq_u32_e32 vcc, 0, v2
	s_orn2_b64 s[12:13], vcc, exec
; %bb.244:                              ;   in Loop: Header=BB24_12 Depth=1
	s_or_b64 exec, exec, s[76:77]
	s_and_b64 exec, exec, s[12:13]
	s_cbranch_execz .LBB24_10
; %bb.245:                              ;   in Loop: Header=BB24_12 Depth=1
	v_add_u32_e32 v3, s65, v149
	v_cmp_gt_i32_e32 vcc, s36, v3
	s_and_b64 s[62:63], vcc, s[8:9]
	v_mov_b32_e32 v2, 0x47
	s_and_saveexec_b64 s[12:13], s[62:63]
	s_cbranch_execz .LBB24_247
; %bb.246:                              ;   in Loop: Header=BB24_12 Depth=1
	v_mad_u64_u32 v[2:3], s[62:63], v3, s37, v[98:99]
	v_add_u32_e32 v8, 0, v150
	v_add_u32_e32 v3, v127, v150
	ds_read2_b32 v[4:5], v8 offset0:64 offset1:65
	ds_read2st64_b32 v[6:7], v3 offset1:17
	ds_read_b32 v8, v8 offset:4608
	v_lshl_add_u32 v2, v2, 6, v50
	v_ashrrev_i32_e32 v3, 31, v2
	v_lshl_add_u64 v[2:3], v[2:3], 3, s[72:73]
	s_waitcnt lgkmcnt(1)
	v_cvt_f32_f16_e32 v10, v6
	v_cvt_f32_f16_sdwa v11, v6 dst_sel:DWORD dst_unused:UNUSED_PAD src0_sel:WORD_1
	v_cvt_f32_f16_e32 v6, v7
	v_cvt_f32_f16_sdwa v7, v7 dst_sel:DWORD dst_unused:UNUSED_PAD src0_sel:WORD_1
	v_pk_fma_f32 v[10:11], v[4:5], v[10:11], 0 op_sel_hi:[0,1,0]
	s_waitcnt lgkmcnt(0)
	v_pk_fma_f32 v[6:7], v[8:9], v[6:7], v[10:11] op_sel_hi:[0,1,1]
	v_div_scale_f32 v4, s[62:63], v5, v5, v7
	v_rcp_f32_e32 v8, v4
	s_nop 0
	v_fma_f32 v9, -v4, v8, 1.0
	v_fmac_f32_e32 v8, v9, v8
	v_div_scale_f32 v9, vcc, v7, v5, v7
	v_mul_f32_e32 v10, v9, v8
	v_fma_f32 v11, -v4, v10, v9
	v_fmac_f32_e32 v10, v11, v8
	v_fma_f32 v4, -v4, v10, v9
	v_div_fmas_f32 v4, v4, v8, v10
	v_div_fixup_f32 v7, v4, v5, v7
	v_div_scale_f32 v4, s[62:63], v5, v5, v6
	v_rcp_f32_e32 v8, v4
	s_nop 0
	v_fma_f32 v9, -v4, v8, 1.0
	v_fmac_f32_e32 v8, v9, v8
	v_div_scale_f32 v9, vcc, v6, v5, v6
	v_mul_f32_e32 v10, v9, v8
	v_fma_f32 v11, -v4, v10, v9
	v_fmac_f32_e32 v10, v11, v8
	v_fma_f32 v4, -v4, v10, v9
	v_div_fmas_f32 v4, v4, v8, v10
	v_div_fixup_f32 v6, v4, v5, v6
	global_store_dwordx2 v[2:3], v[6:7], off
	v_mov_b32_e32 v2, 0
.LBB24_247:                             ;   in Loop: Header=BB24_12 Depth=1
	s_or_b64 exec, exec, s[12:13]
	v_cmp_gt_i32_e32 vcc, s2, v2
	s_mov_b64 s[12:13], -1
	s_and_saveexec_b64 s[76:77], vcc
; %bb.248:                              ;   in Loop: Header=BB24_12 Depth=1
	v_cmp_eq_u32_e32 vcc, 0, v2
	s_orn2_b64 s[12:13], vcc, exec
; %bb.249:                              ;   in Loop: Header=BB24_12 Depth=1
	s_or_b64 exec, exec, s[76:77]
	s_and_b64 exec, exec, s[12:13]
	s_cbranch_execz .LBB24_10
; %bb.250:                              ;   in Loop: Header=BB24_12 Depth=1
	v_add_u32_e32 v3, s65, v178
	v_or_b32_e32 v2, s7, v88
	v_cmp_gt_i32_e32 vcc, s36, v3
	v_cmp_gt_i32_e64 s[12:13], s3, v2
	s_and_b64 s[62:63], vcc, s[12:13]
	v_mov_b32_e32 v2, 0x47
	s_and_saveexec_b64 s[12:13], s[62:63]
	s_cbranch_execz .LBB24_252
; %bb.251:                              ;   in Loop: Header=BB24_12 Depth=1
	v_mad_u64_u32 v[2:3], s[62:63], v3, s37, v[88:89]
	v_add_u32_e32 v8, 0, v151
	v_add_u32_e32 v3, v127, v151
	ds_read2_b32 v[4:5], v8 offset0:64 offset1:65
	ds_read2st64_b32 v[6:7], v3 offset1:17
	ds_read_b32 v8, v8 offset:4608
	v_lshl_add_u32 v2, v2, 6, v50
	v_ashrrev_i32_e32 v3, 31, v2
	v_lshl_add_u64 v[2:3], v[2:3], 3, s[72:73]
	s_waitcnt lgkmcnt(1)
	v_cvt_f32_f16_e32 v10, v6
	v_cvt_f32_f16_sdwa v11, v6 dst_sel:DWORD dst_unused:UNUSED_PAD src0_sel:WORD_1
	v_cvt_f32_f16_e32 v6, v7
	v_cvt_f32_f16_sdwa v7, v7 dst_sel:DWORD dst_unused:UNUSED_PAD src0_sel:WORD_1
	v_pk_fma_f32 v[10:11], v[4:5], v[10:11], 0 op_sel_hi:[0,1,0]
	s_waitcnt lgkmcnt(0)
	v_pk_fma_f32 v[6:7], v[8:9], v[6:7], v[10:11] op_sel_hi:[0,1,1]
	v_div_scale_f32 v4, s[62:63], v5, v5, v7
	v_rcp_f32_e32 v8, v4
	s_nop 0
	v_fma_f32 v9, -v4, v8, 1.0
	v_fmac_f32_e32 v8, v9, v8
	v_div_scale_f32 v9, vcc, v7, v5, v7
	v_mul_f32_e32 v10, v9, v8
	v_fma_f32 v11, -v4, v10, v9
	v_fmac_f32_e32 v10, v11, v8
	v_fma_f32 v4, -v4, v10, v9
	v_div_fmas_f32 v4, v4, v8, v10
	v_div_fixup_f32 v7, v4, v5, v7
	v_div_scale_f32 v4, s[62:63], v5, v5, v6
	v_rcp_f32_e32 v8, v4
	s_nop 0
	v_fma_f32 v9, -v4, v8, 1.0
	v_fmac_f32_e32 v8, v9, v8
	v_div_scale_f32 v9, vcc, v6, v5, v6
	v_mul_f32_e32 v10, v9, v8
	v_fma_f32 v11, -v4, v10, v9
	v_fmac_f32_e32 v10, v11, v8
	v_fma_f32 v4, -v4, v10, v9
	v_div_fmas_f32 v4, v4, v8, v10
	v_div_fixup_f32 v6, v4, v5, v6
	global_store_dwordx2 v[2:3], v[6:7], off
	v_mov_b32_e32 v2, 0
.LBB24_252:                             ;   in Loop: Header=BB24_12 Depth=1
	s_or_b64 exec, exec, s[12:13]
	v_cmp_gt_i32_e32 vcc, s2, v2
	s_mov_b64 s[12:13], -1
	s_and_saveexec_b64 s[76:77], vcc
; %bb.253:                              ;   in Loop: Header=BB24_12 Depth=1
	v_cmp_eq_u32_e32 vcc, 0, v2
	s_orn2_b64 s[12:13], vcc, exec
; %bb.254:                              ;   in Loop: Header=BB24_12 Depth=1
	s_or_b64 exec, exec, s[76:77]
	s_and_b64 exec, exec, s[12:13]
	s_cbranch_execz .LBB24_10
; %bb.255:                              ;   in Loop: Header=BB24_12 Depth=1
	v_add_u32_e32 v3, s65, v152
	v_cmp_gt_i32_e32 vcc, s36, v3
	s_and_b64 s[62:63], vcc, s[8:9]
	v_mov_b32_e32 v2, 0x47
	s_and_saveexec_b64 s[12:13], s[62:63]
	s_cbranch_execz .LBB24_257
; %bb.256:                              ;   in Loop: Header=BB24_12 Depth=1
	v_mad_u64_u32 v[2:3], s[62:63], v3, s37, v[98:99]
	v_add_u32_e32 v8, 0, v153
	v_add_u32_e32 v3, v127, v153
	ds_read2_b32 v[4:5], v8 offset0:64 offset1:65
	ds_read2st64_b32 v[6:7], v3 offset1:17
	ds_read_b32 v8, v8 offset:4608
	v_lshl_add_u32 v2, v2, 6, v50
	v_ashrrev_i32_e32 v3, 31, v2
	v_lshl_add_u64 v[2:3], v[2:3], 3, s[72:73]
	s_waitcnt lgkmcnt(1)
	v_cvt_f32_f16_e32 v10, v6
	v_cvt_f32_f16_sdwa v11, v6 dst_sel:DWORD dst_unused:UNUSED_PAD src0_sel:WORD_1
	v_cvt_f32_f16_e32 v6, v7
	v_cvt_f32_f16_sdwa v7, v7 dst_sel:DWORD dst_unused:UNUSED_PAD src0_sel:WORD_1
	v_pk_fma_f32 v[10:11], v[4:5], v[10:11], 0 op_sel_hi:[0,1,0]
	s_waitcnt lgkmcnt(0)
	v_pk_fma_f32 v[6:7], v[8:9], v[6:7], v[10:11] op_sel_hi:[0,1,1]
	v_div_scale_f32 v4, s[62:63], v5, v5, v7
	v_rcp_f32_e32 v8, v4
	s_nop 0
	v_fma_f32 v9, -v4, v8, 1.0
	v_fmac_f32_e32 v8, v9, v8
	v_div_scale_f32 v9, vcc, v7, v5, v7
	v_mul_f32_e32 v10, v9, v8
	v_fma_f32 v11, -v4, v10, v9
	v_fmac_f32_e32 v10, v11, v8
	v_fma_f32 v4, -v4, v10, v9
	v_div_fmas_f32 v4, v4, v8, v10
	v_div_fixup_f32 v7, v4, v5, v7
	v_div_scale_f32 v4, s[62:63], v5, v5, v6
	v_rcp_f32_e32 v8, v4
	s_nop 0
	v_fma_f32 v9, -v4, v8, 1.0
	v_fmac_f32_e32 v8, v9, v8
	v_div_scale_f32 v9, vcc, v6, v5, v6
	v_mul_f32_e32 v10, v9, v8
	v_fma_f32 v11, -v4, v10, v9
	v_fmac_f32_e32 v10, v11, v8
	v_fma_f32 v4, -v4, v10, v9
	v_div_fmas_f32 v4, v4, v8, v10
	v_div_fixup_f32 v6, v4, v5, v6
	global_store_dwordx2 v[2:3], v[6:7], off
	v_mov_b32_e32 v2, 0
.LBB24_257:                             ;   in Loop: Header=BB24_12 Depth=1
	s_or_b64 exec, exec, s[12:13]
	v_cmp_gt_i32_e32 vcc, s2, v2
	s_mov_b64 s[12:13], -1
	s_and_saveexec_b64 s[76:77], vcc
; %bb.258:                              ;   in Loop: Header=BB24_12 Depth=1
	v_cmp_eq_u32_e32 vcc, 0, v2
	s_orn2_b64 s[12:13], vcc, exec
; %bb.259:                              ;   in Loop: Header=BB24_12 Depth=1
	s_or_b64 exec, exec, s[76:77]
	s_and_b64 exec, exec, s[12:13]
	s_cbranch_execz .LBB24_10
; %bb.260:                              ;   in Loop: Header=BB24_12 Depth=1
	v_add_u32_e32 v3, s65, v179
	v_or_b32_e32 v2, s7, v90
	v_cmp_gt_i32_e32 vcc, s36, v3
	v_cmp_gt_i32_e64 s[12:13], s3, v2
	s_and_b64 s[62:63], vcc, s[12:13]
	v_mov_b32_e32 v2, 0x47
	s_and_saveexec_b64 s[12:13], s[62:63]
	s_cbranch_execz .LBB24_262
; %bb.261:                              ;   in Loop: Header=BB24_12 Depth=1
	v_mad_u64_u32 v[2:3], s[62:63], v3, s37, v[90:91]
	v_add_u32_e32 v8, 0, v154
	v_add_u32_e32 v3, v127, v154
	ds_read2_b32 v[4:5], v8 offset0:64 offset1:65
	ds_read2st64_b32 v[6:7], v3 offset1:17
	ds_read_b32 v8, v8 offset:4608
	v_lshl_add_u32 v2, v2, 6, v50
	v_ashrrev_i32_e32 v3, 31, v2
	v_lshl_add_u64 v[2:3], v[2:3], 3, s[72:73]
	s_waitcnt lgkmcnt(1)
	v_cvt_f32_f16_e32 v10, v6
	v_cvt_f32_f16_sdwa v11, v6 dst_sel:DWORD dst_unused:UNUSED_PAD src0_sel:WORD_1
	v_cvt_f32_f16_e32 v6, v7
	v_cvt_f32_f16_sdwa v7, v7 dst_sel:DWORD dst_unused:UNUSED_PAD src0_sel:WORD_1
	v_pk_fma_f32 v[10:11], v[4:5], v[10:11], 0 op_sel_hi:[0,1,0]
	s_waitcnt lgkmcnt(0)
	v_pk_fma_f32 v[6:7], v[8:9], v[6:7], v[10:11] op_sel_hi:[0,1,1]
	v_div_scale_f32 v4, s[62:63], v5, v5, v7
	v_rcp_f32_e32 v8, v4
	s_nop 0
	v_fma_f32 v9, -v4, v8, 1.0
	v_fmac_f32_e32 v8, v9, v8
	v_div_scale_f32 v9, vcc, v7, v5, v7
	v_mul_f32_e32 v10, v9, v8
	v_fma_f32 v11, -v4, v10, v9
	v_fmac_f32_e32 v10, v11, v8
	v_fma_f32 v4, -v4, v10, v9
	v_div_fmas_f32 v4, v4, v8, v10
	v_div_fixup_f32 v7, v4, v5, v7
	v_div_scale_f32 v4, s[62:63], v5, v5, v6
	v_rcp_f32_e32 v8, v4
	s_nop 0
	v_fma_f32 v9, -v4, v8, 1.0
	v_fmac_f32_e32 v8, v9, v8
	v_div_scale_f32 v9, vcc, v6, v5, v6
	v_mul_f32_e32 v10, v9, v8
	v_fma_f32 v11, -v4, v10, v9
	v_fmac_f32_e32 v10, v11, v8
	v_fma_f32 v4, -v4, v10, v9
	v_div_fmas_f32 v4, v4, v8, v10
	v_div_fixup_f32 v6, v4, v5, v6
	global_store_dwordx2 v[2:3], v[6:7], off
	v_mov_b32_e32 v2, 0
.LBB24_262:                             ;   in Loop: Header=BB24_12 Depth=1
	s_or_b64 exec, exec, s[12:13]
	v_cmp_gt_i32_e32 vcc, s2, v2
	s_mov_b64 s[12:13], -1
	s_and_saveexec_b64 s[76:77], vcc
; %bb.263:                              ;   in Loop: Header=BB24_12 Depth=1
	v_cmp_eq_u32_e32 vcc, 0, v2
	s_orn2_b64 s[12:13], vcc, exec
; %bb.264:                              ;   in Loop: Header=BB24_12 Depth=1
	s_or_b64 exec, exec, s[76:77]
	s_and_b64 exec, exec, s[12:13]
	s_cbranch_execz .LBB24_10
; %bb.265:                              ;   in Loop: Header=BB24_12 Depth=1
	v_add_u32_e32 v2, s65, v155
	v_cmp_gt_i32_e32 vcc, s36, v2
	s_and_b64 s[12:13], vcc, s[8:9]
	v_mov_b32_e32 v3, 0x47
	s_and_saveexec_b64 s[8:9], s[12:13]
	s_cbranch_execz .LBB24_267
; %bb.266:                              ;   in Loop: Header=BB24_12 Depth=1
	v_add_u32_e32 v3, v127, v156
	ds_read2st64_b32 v[4:5], v3 offset1:17
	v_add_u32_e32 v3, 0, v156
	ds_read2_b32 v[6:7], v3 offset0:64 offset1:65
	ds_read_b32 v8, v3 offset:4608
	v_mad_u64_u32 v[2:3], s[12:13], v2, s37, v[98:99]
	s_waitcnt lgkmcnt(2)
	v_cvt_f32_f16_e32 v10, v4
	v_cvt_f32_f16_sdwa v11, v4 dst_sel:DWORD dst_unused:UNUSED_PAD src0_sel:WORD_1
	v_cvt_f32_f16_e32 v4, v5
	v_cvt_f32_f16_sdwa v5, v5 dst_sel:DWORD dst_unused:UNUSED_PAD src0_sel:WORD_1
	v_lshl_add_u32 v2, v2, 6, v50
	s_waitcnt lgkmcnt(1)
	v_pk_fma_f32 v[10:11], v[6:7], v[10:11], 0 op_sel_hi:[0,1,0]
	v_ashrrev_i32_e32 v3, 31, v2
	s_waitcnt lgkmcnt(0)
	v_pk_fma_f32 v[4:5], v[8:9], v[4:5], v[10:11] op_sel_hi:[0,1,1]
	v_div_scale_f32 v6, s[12:13], v7, v7, v5
	v_rcp_f32_e32 v8, v6
	v_lshl_add_u64 v[2:3], v[2:3], 3, s[72:73]
	v_fma_f32 v9, -v6, v8, 1.0
	v_fmac_f32_e32 v8, v9, v8
	v_div_scale_f32 v9, vcc, v5, v7, v5
	v_mul_f32_e32 v10, v9, v8
	v_fma_f32 v11, -v6, v10, v9
	v_fmac_f32_e32 v10, v11, v8
	v_fma_f32 v6, -v6, v10, v9
	v_div_scale_f32 v9, s[12:13], v7, v7, v4
	v_rcp_f32_e32 v11, v9
	v_div_fmas_f32 v6, v6, v8, v10
	v_div_fixup_f32 v5, v6, v7, v5
	v_fma_f32 v6, -v9, v11, 1.0
	v_fmac_f32_e32 v11, v6, v11
	v_div_scale_f32 v6, vcc, v4, v7, v4
	v_mul_f32_e32 v8, v6, v11
	v_fma_f32 v10, -v9, v8, v6
	v_fmac_f32_e32 v8, v10, v11
	v_fma_f32 v6, -v9, v8, v6
	v_div_fmas_f32 v6, v6, v11, v8
	v_div_fixup_f32 v4, v6, v7, v4
	global_store_dwordx2 v[2:3], v[4:5], off
	v_mov_b32_e32 v3, 0
.LBB24_267:                             ;   in Loop: Header=BB24_12 Depth=1
	s_or_b64 exec, exec, s[8:9]
	v_cmp_gt_i32_e32 vcc, s2, v3
	s_mov_b64 s[8:9], -1
	s_and_saveexec_b64 s[12:13], vcc
; %bb.268:                              ;   in Loop: Header=BB24_12 Depth=1
	v_cmp_eq_u32_e32 vcc, 0, v3
	s_orn2_b64 s[8:9], vcc, exec
; %bb.269:                              ;   in Loop: Header=BB24_12 Depth=1
	s_or_b64 exec, exec, s[12:13]
	s_and_b64 exec, exec, s[8:9]
	s_cbranch_execz .LBB24_10
; %bb.270:                              ;   in Loop: Header=BB24_12 Depth=1
	v_add_u32_e32 v2, s65, v180
	v_or_b32_e32 v3, s7, v92
	v_cmp_gt_i32_e32 vcc, s36, v2
	v_cmp_gt_i32_e64 s[8:9], s3, v3
	s_and_b64 s[8:9], vcc, s[8:9]
	s_and_b64 exec, exec, s[8:9]
	s_cbranch_execz .LBB24_10
; %bb.271:                              ;   in Loop: Header=BB24_12 Depth=1
	v_add_u32_e32 v3, v127, v157
	ds_read2st64_b32 v[4:5], v3 offset1:17
	v_add_u32_e32 v3, 0, v157
	ds_read2_b32 v[6:7], v3 offset0:64 offset1:65
	ds_read_b32 v8, v3 offset:4608
	v_mad_u64_u32 v[2:3], s[8:9], v2, s37, v[92:93]
	s_waitcnt lgkmcnt(2)
	v_cvt_f32_f16_e32 v10, v4
	v_cvt_f32_f16_sdwa v11, v4 dst_sel:DWORD dst_unused:UNUSED_PAD src0_sel:WORD_1
	v_cvt_f32_f16_e32 v4, v5
	v_cvt_f32_f16_sdwa v5, v5 dst_sel:DWORD dst_unused:UNUSED_PAD src0_sel:WORD_1
	v_lshl_add_u32 v2, v2, 6, v50
	s_waitcnt lgkmcnt(1)
	v_pk_fma_f32 v[10:11], v[6:7], v[10:11], 0 op_sel_hi:[0,1,0]
	v_ashrrev_i32_e32 v3, 31, v2
	s_waitcnt lgkmcnt(0)
	v_pk_fma_f32 v[4:5], v[8:9], v[4:5], v[10:11] op_sel_hi:[0,1,1]
	v_div_scale_f32 v6, s[8:9], v7, v7, v5
	v_rcp_f32_e32 v8, v6
	v_lshl_add_u64 v[2:3], v[2:3], 3, s[72:73]
	v_fma_f32 v9, -v6, v8, 1.0
	v_fmac_f32_e32 v8, v9, v8
	v_div_scale_f32 v9, vcc, v5, v7, v5
	v_mul_f32_e32 v10, v9, v8
	v_fma_f32 v11, -v6, v10, v9
	v_fmac_f32_e32 v10, v11, v8
	v_fma_f32 v6, -v6, v10, v9
	v_div_scale_f32 v9, s[8:9], v7, v7, v4
	v_rcp_f32_e32 v11, v9
	v_div_fmas_f32 v6, v6, v8, v10
	v_div_fixup_f32 v5, v6, v7, v5
	v_fma_f32 v6, -v9, v11, 1.0
	v_fmac_f32_e32 v11, v6, v11
	v_div_scale_f32 v6, vcc, v4, v7, v4
	v_mul_f32_e32 v8, v6, v11
	v_fma_f32 v10, -v9, v8, v6
	v_fmac_f32_e32 v8, v10, v11
	v_fma_f32 v6, -v9, v8, v6
	v_div_fmas_f32 v6, v6, v11, v8
	v_div_fixup_f32 v4, v6, v7, v4
	global_store_dwordx2 v[2:3], v[4:5], off
	s_branch .LBB24_10
.LBB24_272:
	v_readlane_b32 s56, v215, 7
	v_readlane_b32 s57, v215, 2
	;; [unrolled: 1-line block ×5, first 2 shown]
	s_andn2_b64 vcc, exec, s[8:9]
	s_cbranch_vccnz .LBB24_8
.LBB24_273:
	s_abs_i32 s0, s89
	v_cvt_f32_u32_e32 v2, s0
	s_sub_i32 s4, 0, s0
	s_abs_i32 s2, s54
	s_xor_b32 s1, s54, s89
	v_rcp_iflag_f32_e32 v2, v2
	s_ashr_i32 s1, s1, 31
	v_mov_b32_e32 v16, s64
	v_mul_f32_e32 v2, 0x4f7ffffe, v2
	v_cvt_u32_f32_e32 v2, v2
	s_nop 0
	v_readfirstlane_b32 s5, v2
	s_mul_i32 s4, s4, s5
	s_mul_hi_u32 s4, s5, s4
	s_add_i32 s5, s5, s4
	s_mul_hi_u32 s4, s2, s5
	s_mul_i32 s5, s4, s0
	s_sub_i32 s2, s2, s5
	s_add_i32 s6, s4, 1
	s_sub_i32 s5, s2, s0
	s_cmp_ge_u32 s2, s0
	s_cselect_b32 s4, s6, s4
	s_cselect_b32 s2, s5, s2
	s_add_i32 s5, s4, 1
	s_cmp_ge_u32 s2, s0
	s_cselect_b32 s0, s5, s4
	s_abs_i32 s4, s88
	v_cvt_f32_u32_e32 v2, s4
	s_xor_b32 s0, s0, s1
	s_sub_i32 s5, 0, s4
	s_sub_i32 s2, s0, s1
	v_rcp_iflag_f32_e32 v2, v2
	s_mul_i32 s0, s2, s89
	s_sub_i32 s0, s54, s0
	s_abs_i32 s6, s0
	v_mul_f32_e32 v2, 0x4f7ffffe, v2
	v_cvt_u32_f32_e32 v2, v2
	s_xor_b32 s1, s0, s88
	s_ashr_i32 s1, s1, 31
	v_readfirstlane_b32 s7, v2
	s_mul_i32 s5, s5, s7
	s_mul_hi_u32 s5, s7, s5
	s_add_i32 s7, s7, s5
	s_mul_hi_u32 s5, s6, s7
	s_mul_i32 s7, s5, s4
	s_sub_i32 s6, s6, s7
	s_add_i32 s8, s5, 1
	s_sub_i32 s7, s6, s4
	s_cmp_ge_u32 s6, s4
	s_cselect_b32 s5, s8, s5
	s_cselect_b32 s6, s7, s6
	s_add_i32 s7, s5, 1
	s_cmp_ge_u32 s6, s4
	s_cselect_b32 s4, s7, s5
	s_abs_i32 s5, s87
	v_cvt_f32_u32_e32 v2, s5
	s_xor_b32 s4, s4, s1
	s_sub_i32 s6, 0, s5
	s_sub_i32 s8, s4, s1
	v_rcp_iflag_f32_e32 v2, v2
	s_mul_i32 s1, s8, s88
	s_sub_i32 s1, s0, s1
	s_abs_i32 s4, s1
	v_mul_f32_e32 v2, 0x4f7ffffe, v2
	v_cvt_u32_f32_e32 v2, v2
	s_xor_b32 s0, s1, s87
	s_ashr_i32 s0, s0, 31
	v_readfirstlane_b32 s7, v2
	s_mul_i32 s6, s6, s7
	s_mul_hi_u32 s6, s7, s6
	s_add_i32 s7, s7, s6
	s_mul_hi_u32 s6, s4, s7
	s_mul_i32 s7, s6, s5
	s_sub_i32 s4, s4, s7
	s_add_i32 s9, s6, 1
	s_sub_i32 s7, s4, s5
	s_cmp_ge_u32 s4, s5
	s_cselect_b32 s6, s9, s6
	s_cselect_b32 s4, s7, s4
	s_add_i32 s7, s6, 1
	s_cmp_ge_u32 s4, s5
	s_cselect_b32 s4, s7, s6
	s_xor_b32 s4, s4, s0
	s_sub_i32 s0, s4, s0
	s_mul_i32 s4, s0, s87
	s_sub_i32 s1, s1, s4
	s_ashr_i32 s4, s1, 31
	v_readlane_b32 s5, v215, 1
	s_abs_i32 s1, s1
	s_xor_b32 s4, s4, s5
	s_mul_hi_u32 s5, s1, s50
	s_mul_i32 s6, s5, s91
	s_sub_i32 s1, s1, s6
	s_add_i32 s6, s5, 1
	s_sub_i32 s7, s1, s91
	s_cmp_ge_u32 s1, s91
	s_cselect_b32 s5, s6, s5
	s_cselect_b32 s1, s7, s1
	s_add_i32 s6, s5, 1
	s_cmp_ge_u32 s1, s91
	s_cselect_b32 s1, s6, s5
	s_abs_i32 s9, s66
	v_cvt_f32_u32_e32 v2, s9
	s_xor_b32 s1, s1, s4
	s_sub_i32 s1, s1, s4
	s_cmp_eq_u64 s[26:27], 0
	v_rcp_iflag_f32_e32 v2, v2
	s_nop 0
	v_mul_f32_e32 v2, 0x4f7ffffe, v2
	v_cvt_u32_f32_e32 v2, v2
	s_nop 0
	v_readfirstlane_b32 s11, v2
	s_cbranch_scc1 .LBB24_275
; %bb.274:
	v_readlane_b32 s4, v215, 0
	s_mul_i32 s4, s2, s4
	s_add_i32 s4, s1, s4
	s_ashr_i32 s5, s4, 31
	s_lshl_b64 s[4:5], s[4:5], 2
	s_add_u32 s4, s26, s4
	s_addc_u32 s5, s27, s5
	v_mov_b32_e32 v2, 0
	global_load_dword v2, v2, s[4:5]
	s_waitcnt vmcnt(0)
	v_ashrrev_i32_e32 v3, 31, v2
	v_lshrrev_b32_e32 v3, 26, v3
	v_add_u32_e32 v2, v2, v3
	v_ashrrev_i32_e32 v2, 6, v2
	v_min_i32_e32 v16, s64, v2
.LBB24_275:
	s_mul_i32 s4, s8, s3
	s_lshl_b32 s5, s0, 2
	s_add_i32 s0, s5, s4
	s_mul_i32 s4, s2, s53
	s_ashr_i32 s6, s4, 31
	s_add_u32 s4, s16, s4
	s_mul_i32 s0, s0, s52
	s_addc_u32 s7, s17, s6
	s_ashr_i32 s10, s0, 31
	s_add_u32 s6, s4, s0
	s_addc_u32 s7, s7, s10
	v_and_b32_e32 v56, 0x3ff, v0
	s_lshl_b32 s10, s1, 3
	v_bfe_u32 v0, v93, 2, 8
	v_add_u32_e32 v2, s10, v0
	v_or_b32_e32 v0, s5, v51
	v_cmp_le_i32_e64 s[0:1], s36, v2
	v_cmp_le_i32_e64 s[4:5], s3, v0
	s_mov_b32 s12, 0x10001
	v_lshl_add_u32 v57, v56, 2, 0
	v_cmp_gt_i32_e32 vcc, s3, v0
	s_or_b64 s[0:1], s[0:1], s[4:5]
	s_and_saveexec_b64 s[4:5], s[0:1]
	s_xor_b64 s[0:1], exec, s[4:5]
; %bb.276:
	s_movk_i32 s3, 0x110
	v_mad_u32_u24 v0, v79, s3, v57
	v_mov_b32_e32 v2, 0
	ds_write_b32 v0, v2
                                        ; implicit-def: $vgpr2
; %bb.277:
	s_or_saveexec_b64 s[0:1], s[0:1]
	v_mul_lo_u32 v0, v91, s12
	s_xor_b64 exec, exec, s[0:1]
	s_cbranch_execz .LBB24_279
; %bb.278:
	v_mul_lo_u32 v2, v2, s55
	v_mul_lo_u32 v3, v51, s62
	v_add3_u32 v2, v3, v56, v2
	v_ashrrev_i32_e32 v3, 31, v2
	v_lshl_add_u64 v[2:3], v[2:3], 3, s[6:7]
	global_load_dwordx2 v[2:3], v[2:3], off
	s_movk_i32 s3, 0x110
	s_waitcnt vmcnt(0)
	v_cvt_pk_f16_f32 v2, v2, v3
	v_pk_mul_f16 v2, v2, v0
	v_mad_u32_u24 v3, v79, s3, v57
	ds_write_b32 v3, v2
.LBB24_279:
	s_or_b64 exec, exec, s[0:1]
	v_lshrrev_b32_e32 v2, 2, v89
	v_add_u32_e32 v2, s10, v2
	v_cmp_le_i32_e64 s[0:1], s36, v2
	s_xor_b64 s[4:5], vcc, -1
	s_or_b64 s[0:1], s[0:1], s[4:5]
	s_and_saveexec_b64 s[12:13], s[0:1]
	s_xor_b64 s[0:1], exec, s[12:13]
; %bb.280:
	s_movk_i32 s3, 0x110
	v_mad_u32_u24 v2, v89, s3, v57
	v_mov_b32_e32 v3, 0
	ds_write_b32 v2, v3
                                        ; implicit-def: $vgpr2
                                        ; implicit-def: $vgpr89
; %bb.281:
	s_andn2_saveexec_b64 s[0:1], s[0:1]
	s_cbranch_execz .LBB24_283
; %bb.282:
	v_mul_lo_u32 v2, v2, s55
	v_mul_lo_u32 v3, v51, s62
	v_add3_u32 v2, v3, v56, v2
	v_ashrrev_i32_e32 v3, 31, v2
	v_lshl_add_u64 v[2:3], v[2:3], 3, s[6:7]
	global_load_dwordx2 v[2:3], v[2:3], off
	s_movk_i32 s3, 0x110
	s_waitcnt vmcnt(0)
	v_cvt_pk_f16_f32 v2, v2, v3
	v_pk_mul_f16 v2, v2, v0
	v_mad_u32_u24 v3, v89, s3, v57
	ds_write_b32 v3, v2
.LBB24_283:
	s_or_b64 exec, exec, s[0:1]
	v_lshrrev_b32_e32 v2, 2, v87
	v_add_u32_e32 v2, s10, v2
	v_cmp_le_i32_e32 vcc, s36, v2
	s_or_b64 s[0:1], vcc, s[4:5]
	s_and_saveexec_b64 s[12:13], s[0:1]
	s_xor_b64 s[0:1], exec, s[12:13]
; %bb.284:
	s_movk_i32 s3, 0x110
	v_mad_u32_u24 v2, v87, s3, v57
	v_mov_b32_e32 v3, 0
	ds_write_b32 v2, v3
                                        ; implicit-def: $vgpr2
                                        ; implicit-def: $vgpr87
; %bb.285:
	s_andn2_saveexec_b64 s[0:1], s[0:1]
	s_cbranch_execz .LBB24_287
; %bb.286:
	v_mul_lo_u32 v2, v2, s55
	v_mul_lo_u32 v3, v51, s62
	v_add3_u32 v2, v3, v56, v2
	v_ashrrev_i32_e32 v3, 31, v2
	v_lshl_add_u64 v[2:3], v[2:3], 3, s[6:7]
	global_load_dwordx2 v[2:3], v[2:3], off
	s_movk_i32 s3, 0x110
	s_waitcnt vmcnt(0)
	v_cvt_pk_f16_f32 v2, v2, v3
	v_pk_mul_f16 v2, v2, v0
	v_mad_u32_u24 v3, v87, s3, v57
	ds_write_b32 v3, v2
.LBB24_287:
	s_or_b64 exec, exec, s[0:1]
	v_lshrrev_b32_e32 v2, 2, v85
	v_add_u32_e32 v2, s10, v2
	v_cmp_le_i32_e32 vcc, s36, v2
	s_or_b64 s[0:1], vcc, s[4:5]
	s_and_saveexec_b64 s[12:13], s[0:1]
	s_xor_b64 s[0:1], exec, s[12:13]
; %bb.288:
	s_movk_i32 s3, 0x110
	v_mad_u32_u24 v2, v85, s3, v57
	v_mov_b32_e32 v3, 0
	ds_write_b32 v2, v3
                                        ; implicit-def: $vgpr2
                                        ; implicit-def: $vgpr85
; %bb.289:
	s_andn2_saveexec_b64 s[0:1], s[0:1]
	s_cbranch_execz .LBB24_291
; %bb.290:
	v_mul_lo_u32 v2, v2, s55
	v_mul_lo_u32 v3, v51, s62
	v_add3_u32 v2, v3, v56, v2
	v_ashrrev_i32_e32 v3, 31, v2
	v_lshl_add_u64 v[2:3], v[2:3], 3, s[6:7]
	global_load_dwordx2 v[2:3], v[2:3], off
	s_movk_i32 s3, 0x110
	s_waitcnt vmcnt(0)
	v_cvt_pk_f16_f32 v2, v2, v3
	v_pk_mul_f16 v2, v2, v0
	v_mad_u32_u24 v3, v85, s3, v57
	ds_write_b32 v3, v2
.LBB24_291:
	s_or_b64 exec, exec, s[0:1]
	v_lshrrev_b32_e32 v2, 2, v83
	v_add_u32_e32 v2, s10, v2
	v_cmp_le_i32_e32 vcc, s36, v2
	s_or_b64 s[0:1], vcc, s[4:5]
	s_and_saveexec_b64 s[12:13], s[0:1]
	s_xor_b64 s[0:1], exec, s[12:13]
; %bb.292:
	s_movk_i32 s3, 0x110
	v_mad_u32_u24 v2, v83, s3, v57
	v_mov_b32_e32 v3, 0
	ds_write_b32 v2, v3
                                        ; implicit-def: $vgpr2
                                        ; implicit-def: $vgpr83
; %bb.293:
	s_andn2_saveexec_b64 s[0:1], s[0:1]
	s_cbranch_execz .LBB24_295
; %bb.294:
	v_mul_lo_u32 v2, v2, s55
	v_mul_lo_u32 v3, v51, s62
	v_add3_u32 v2, v3, v56, v2
	v_ashrrev_i32_e32 v3, 31, v2
	v_lshl_add_u64 v[2:3], v[2:3], 3, s[6:7]
	global_load_dwordx2 v[2:3], v[2:3], off
	s_movk_i32 s3, 0x110
	s_waitcnt vmcnt(0)
	v_cvt_pk_f16_f32 v2, v2, v3
	v_pk_mul_f16 v2, v2, v0
	v_mad_u32_u24 v3, v83, s3, v57
	ds_write_b32 v3, v2
.LBB24_295:
	s_or_b64 exec, exec, s[0:1]
	v_lshrrev_b32_e32 v2, 2, v55
	v_add_u32_e32 v2, s10, v2
	v_cmp_le_i32_e32 vcc, s36, v2
	s_sub_i32 s3, 0, s9
	s_or_b64 s[0:1], vcc, s[4:5]
	s_and_saveexec_b64 s[12:13], s[0:1]
	s_xor_b64 s[0:1], exec, s[12:13]
; %bb.296:
	s_movk_i32 s12, 0x110
	v_mad_u32_u24 v2, v55, s12, v57
	v_mov_b32_e32 v3, 0
	ds_write_b32 v2, v3
                                        ; implicit-def: $vgpr2
                                        ; implicit-def: $vgpr55
; %bb.297:
	s_or_saveexec_b64 s[0:1], s[0:1]
	s_mul_i32 s3, s3, s11
	s_xor_b64 exec, exec, s[0:1]
	s_cbranch_execz .LBB24_299
; %bb.298:
	v_mul_lo_u32 v2, v2, s55
	v_mul_lo_u32 v3, v51, s62
	v_add3_u32 v2, v3, v56, v2
	v_ashrrev_i32_e32 v3, 31, v2
	v_lshl_add_u64 v[2:3], v[2:3], 3, s[6:7]
	global_load_dwordx2 v[2:3], v[2:3], off
	s_movk_i32 s12, 0x110
	s_waitcnt vmcnt(0)
	v_cvt_pk_f16_f32 v2, v2, v3
	v_pk_mul_f16 v2, v2, v0
	v_mad_u32_u24 v3, v55, s12, v57
	ds_write_b32 v3, v2
.LBB24_299:
	s_or_b64 exec, exec, s[0:1]
	v_lshrrev_b32_e32 v2, 2, v53
	v_add_u32_e32 v2, s10, v2
	v_cmp_le_i32_e32 vcc, s36, v2
	s_mul_hi_u32 s12, s11, s3
	s_or_b64 s[0:1], vcc, s[4:5]
	s_and_saveexec_b64 s[16:17], s[0:1]
	s_xor_b64 s[0:1], exec, s[16:17]
; %bb.300:
	s_movk_i32 s3, 0x110
	v_mad_u32_u24 v2, v53, s3, v57
	v_mov_b32_e32 v3, 0
	ds_write_b32 v2, v3
                                        ; implicit-def: $vgpr2
                                        ; implicit-def: $vgpr53
; %bb.301:
	s_or_saveexec_b64 s[0:1], s[0:1]
	s_abs_i32 s3, s2
	s_add_i32 s11, s11, s12
	s_xor_b64 exec, exec, s[0:1]
	s_cbranch_execz .LBB24_303
; %bb.302:
	v_mul_lo_u32 v2, v2, s55
	v_mul_lo_u32 v3, v51, s62
	v_add3_u32 v2, v3, v56, v2
	v_ashrrev_i32_e32 v3, 31, v2
	v_lshl_add_u64 v[2:3], v[2:3], 3, s[6:7]
	global_load_dwordx2 v[2:3], v[2:3], off
	s_movk_i32 s12, 0x110
	s_waitcnt vmcnt(0)
	v_cvt_pk_f16_f32 v2, v2, v3
	v_pk_mul_f16 v2, v2, v0
	v_mad_u32_u24 v3, v53, s12, v57
	ds_write_b32 v3, v2
.LBB24_303:
	s_or_b64 exec, exec, s[0:1]
	v_lshrrev_b32_e32 v2, 2, v1
	v_add_u32_e32 v2, s10, v2
	v_cmp_le_i32_e32 vcc, s36, v2
	s_mul_hi_u32 s11, s3, s11
	s_or_b64 s[0:1], vcc, s[4:5]
	s_and_saveexec_b64 s[4:5], s[0:1]
	s_xor_b64 s[0:1], exec, s[4:5]
; %bb.304:
	s_movk_i32 s4, 0x110
	v_mad_u32_u24 v0, v1, s4, v57
	v_mov_b32_e32 v1, 0
	ds_write_b32 v0, v1
                                        ; implicit-def: $vgpr2
                                        ; implicit-def: $vgpr51
                                        ; implicit-def: $vgpr0
                                        ; implicit-def: $vgpr1
; %bb.305:
	s_or_saveexec_b64 s[0:1], s[0:1]
	s_ashr_i32 s4, s2, 31
	s_xor_b64 exec, exec, s[0:1]
	s_cbranch_execz .LBB24_307
; %bb.306:
	v_mul_lo_u32 v2, v2, s55
	v_mul_lo_u32 v3, v51, s62
	v_add3_u32 v2, v3, v56, v2
	v_ashrrev_i32_e32 v3, 31, v2
	v_lshl_add_u64 v[2:3], v[2:3], 3, s[6:7]
	global_load_dwordx2 v[2:3], v[2:3], off
	s_movk_i32 s5, 0x110
	v_mad_u32_u24 v1, v1, s5, v57
	s_waitcnt vmcnt(0)
	v_cvt_pk_f16_f32 v2, v2, v3
	v_pk_mul_f16 v0, v2, v0
	ds_write_b32 v1, v0
.LBB24_307:
	s_or_b64 exec, exec, s[0:1]
	s_mul_hi_u32 s0, s40, s2
	s_mul_i32 s1, s40, s4
	s_add_i32 s0, s0, s1
	s_mul_i32 s1, s41, s2
	s_add_i32 s0, s0, s1
	s_mul_i32 s1, s40, s2
	s_add_u32 s1, s18, s1
	s_mul_i32 s5, s8, s51
	s_addc_u32 s0, s19, s0
	s_ashr_i32 s6, s5, 31
	s_add_u32 s24, s1, s5
	s_mul_i32 s11, s11, s9
	s_addc_u32 s25, s0, s6
	s_sub_i32 s0, s3, s11
	s_sub_i32 s1, s0, s9
	s_cmp_ge_u32 s0, s9
	s_cselect_b32 s0, s1, s0
	s_sub_i32 s1, s0, s9
	s_cmp_ge_u32 s0, s9
	s_cselect_b32 s0, s1, s0
	s_xor_b32 s0, s0, s4
	s_sub_i32 s0, s0, s4
	s_ashr_i32 s1, s0, 31
	s_mul_i32 s1, s48, s1
	s_mul_hi_u32 s3, s48, s0
	s_add_i32 s1, s3, s1
	s_mul_i32 s3, s49, s0
	s_add_i32 s1, s1, s3
	s_mul_i32 s0, s48, s0
	s_add_u32 s22, s22, s0
	s_addc_u32 s23, s23, s1
	s_mul_hi_u32 s0, s46, s2
	s_mul_i32 s1, s46, s4
	s_add_i32 s0, s0, s1
	s_mul_i32 s1, s47, s2
	s_add_i32 s0, s0, s1
	s_mul_i32 s1, s46, s2
	s_add_u32 s1, s20, s1
	s_mul_i32 s8, s8, s43
	s_addc_u32 s0, s21, s0
	s_ashr_i32 s2, s8, 31
	s_add_u32 s20, s1, s8
	v_lshrrev_b32_e32 v1, 3, v56
	s_addc_u32 s21, s0, s2
	v_and_b32_e32 v20, 0x1ff0, v81
	s_movk_i32 s0, 0x110
	v_and_b32_e32 v58, 15, v56
	v_and_b32_e32 v1, 0x7e, v1
	v_mad_u32_u24 v0, v20, s0, 0
	v_mul_u32_u24_e32 v82, 0x110, v58
	v_lshlrev_b32_e32 v59, 2, v1
	v_add3_u32 v0, v0, v82, v59
	v_add_u32_e32 v98, -1, v16
	v_lshrrev_b32_e32 v16, 5, v56
	s_waitcnt lgkmcnt(0)
	s_barrier
	ds_read2_b64 v[12:15], v0 offset1:4
	ds_read2_b64 v[8:11], v0 offset0:8 offset1:12
	ds_read2_b64 v[4:7], v0 offset0:16 offset1:20
	;; [unrolled: 1-line block ×3, first 2 shown]
	v_lshl_add_u32 v22, v79, 1, v16
	v_add_u32_e32 v16, s10, v22
	v_mul_hi_u32 v17, s44, v16
	v_add_u32_e32 v17, v16, v17
	v_lshrrev_b32_e32 v17, s45, v17
	v_cmp_lt_i32_e32 vcc, s82, v98
	v_mul_lo_u32 v17, v17, s36
	v_sub_u32_e32 v21, v16, v17
	s_waitcnt lgkmcnt(0)
	s_barrier
	s_cbranch_vccnz .LBB24_312
; %bb.308:
	v_lshlrev_b32_e32 v16, 1, v56
	v_and_b32_e32 v38, 62, v16
	v_lshrrev_b32_e32 v16, 4, v56
	v_lshl_add_u32 v16, v79, 2, v16
	v_mov_b32_e32 v18, 0x3300
	v_lshlrev_b32_e32 v60, 4, v79
	v_lshrrev_b32_e32 v19, 2, v56
	v_mad_u32_u24 v92, v16, s0, v18
	v_and_b32_e32 v18, 16, v60
	v_and_b32_e32 v23, 0xfc, v19
	v_lshlrev_b32_e32 v17, 2, v56
	v_mul_u32_u24_e32 v95, 0x110, v18
	v_add_u32_e32 v24, v23, v18
	v_add_u16_e32 v18, v23, v18
	v_and_b32_e32 v40, 60, v17
	v_mov_b32_e32 v17, 0x1100
	v_lshrrev_b16_e32 v94, 1, v18
	v_add_u32_e32 v18, 32, v24
	v_mad_u32_u24 v87, v16, s0, v17
	v_mov_b32_e32 v17, 0x2200
	v_lshrrev_b32_e32 v88, 1, v18
	v_add_u32_e32 v18, 34, v24
	v_mul_lo_u32 v44, s34, v16
	s_lshl_b32 s1, s34, 4
	v_mad_u32_u24 v90, v16, s0, v17
	v_lshrrev_b32_e32 v89, 1, v18
	v_mbcnt_lo_u32_b32 v18, -1, 0
	v_mul_lo_u32 v30, s38, v16
	s_lshl_b32 s0, s38, 4
	v_add_u32_e32 v46, s1, v44
	v_mbcnt_hi_u32_b32 v83, -1, v18
	v_add_u32_e32 v32, s0, v30
	v_add_u32_e32 v48, s1, v46
	v_and_or_b32 v25, v56, 12, v20
	v_and_b32_e32 v18, 64, v83
	v_add_u32_e32 v34, s0, v32
	v_mov_b32_e32 v39, 0
	s_ashr_i32 s35, s34, 31
	v_mul_u32_u24_e32 v84, 0x110, v16
	v_add_u32_e32 v50, s1, v48
	v_lshrrev_b32_e32 v25, 2, v25
	v_add_u32_e32 v85, 64, v18
	s_ashr_i32 s39, s38, 31
	v_add_u32_e32 v36, s0, v34
	v_and_b32_e32 v16, 8, v81
	v_or_b32_e32 v18, 3, v19
	s_movk_i32 s0, 0x220
	v_mad_i64_i32 v[42:43], s[2:3], v21, s14, 0
	v_mov_b32_e32 v41, v39
	v_ashrrev_i32_e32 v45, 31, v44
	v_ashrrev_i32_e32 v47, 31, v46
	v_ashrrev_i32_e32 v49, 31, v48
	v_ashrrev_i32_e32 v51, 31, v50
	v_mul_u32_u24_e32 v93, 0x90, v25
	v_xor_b32_e32 v91, 32, v83
	v_xor_b32_e32 v86, 16, v83
	v_ashrrev_i32_e32 v31, 31, v30
	v_ashrrev_i32_e32 v33, 31, v32
	;; [unrolled: 1-line block ×4, first 2 shown]
	v_mul_u32_u24_e32 v62, 0x110, v23
	v_mul_u32_u24_e32 v63, 0x110, v18
	;; [unrolled: 1-line block ×3, first 2 shown]
	v_mad_u32_u24 v64, v16, s0, v17
	v_mov_b64_e32 v[16:17], s[38:39]
	v_mov_b64_e32 v[18:19], s[34:35]
	v_mul_u32_u24_e32 v99, 0x90, v22
	v_lshlrev_b32_e32 v61, 1, v58
	s_cbranch_execz .LBB24_313
; %bb.309:
	v_mov_b32_e32 v20, 0xfeffffff
	v_mov_b32_e32 v28, 0
	;; [unrolled: 1-line block ×18, first 2 shown]
	s_branch .LBB24_316
.LBB24_310:
                                        ; implicit-def: $sgpr54_sgpr55
	s_load_dwordx2 s[52:53], s[0:1], 0x74
	v_cvt_f32_u32_e32 v1, s57
	s_branch .LBB24_2
.LBB24_311:
                                        ; implicit-def: $sgpr58_sgpr59
	s_load_dwordx2 s[44:45], s[0:1], 0x5c
	s_branch .LBB24_5
.LBB24_312:
                                        ; implicit-def: $vgpr38
                                        ; implicit-def: $vgpr42_vgpr43
                                        ; implicit-def: $vgpr18_vgpr19
                                        ; implicit-def: $vgpr84
                                        ; implicit-def: $vgpr40
                                        ; implicit-def: $vgpr44_vgpr45
                                        ; implicit-def: $vgpr87
                                        ; implicit-def: $vgpr46_vgpr47
                                        ; implicit-def: $vgpr90
                                        ; implicit-def: $vgpr48_vgpr49
                                        ; implicit-def: $vgpr92
                                        ; implicit-def: $vgpr50_vgpr51
                                        ; implicit-def: $vgpr60
                                        ; implicit-def: $vgpr95
                                        ; implicit-def: $vgpr93
                                        ; implicit-def: $vgpr94
                                        ; implicit-def: $vgpr88
                                        ; implicit-def: $vgpr89
                                        ; implicit-def: $vgpr83
                                        ; implicit-def: $vgpr85
                                        ; implicit-def: $vgpr91
                                        ; implicit-def: $vgpr86
                                        ; implicit-def: $vgpr16_vgpr17
                                        ; implicit-def: $vgpr30_vgpr31
                                        ; implicit-def: $vgpr32_vgpr33
                                        ; implicit-def: $vgpr34_vgpr35
                                        ; implicit-def: $vgpr36_vgpr37
                                        ; implicit-def: $vgpr62
                                        ; implicit-def: $vgpr63
                                        ; implicit-def: $vgpr77
                                        ; implicit-def: $vgpr64
	v_mul_u32_u24_e32 v99, 0x90, v22
	v_lshlrev_b32_e32 v61, 1, v58
.LBB24_313:
	v_lshlrev_b32_e32 v16, 1, v56
	v_and_b32_e32 v38, 62, v16
	v_mad_i64_i32 v[42:43], s[0:1], v21, s14, 0
	v_mov_b32_e32 v53, 0
	v_lshlrev_b32_e32 v52, 1, v38
	v_lshl_add_u64 v[16:17], v[42:43], 1, s[22:23]
	v_lshl_add_u64 v[54:55], v[16:17], 0, v[52:53]
	v_lshrrev_b32_e32 v16, 4, v56
	v_lshlrev_b32_e32 v17, 2, v56
	v_lshl_add_u32 v16, v79, 2, v16
	v_and_b32_e32 v40, 60, v17
	v_mul_u32_u24_e32 v84, 0x110, v16
	v_lshlrev_b32_e32 v17, 2, v40
	s_movk_i32 s0, 0x110
	v_add3_u32 v101, 0, v84, v17
	v_mov_b32_e32 v17, 0x1100
	v_mov_b32_e32 v18, 0x3300
	v_lshlrev_b32_e32 v60, 4, v79
	v_lshrrev_b32_e32 v21, 2, v56
	v_mad_u32_u24 v87, v16, s0, v17
	v_mov_b32_e32 v17, 0x2200
	v_mad_u32_u24 v92, v16, s0, v18
	v_and_b32_e32 v18, 16, v60
	v_and_b32_e32 v22, 0xfc, v21
	v_and_or_b32 v20, v56, 12, v20
	v_mad_u32_u24 v90, v16, s0, v17
	v_mul_u32_u24_e32 v95, 0x110, v18
	v_add_u32_e32 v23, v22, v18
	v_lshrrev_b32_e32 v20, 2, v20
	s_movk_i32 s0, 0x90
	v_add_u16_e32 v18, v22, v18
	v_mul_u32_u24_e32 v93, 0x90, v20
	v_mad_u32_u24 v20, v20, s0, 0
	v_lshrrev_b16_e32 v94, 1, v18
	v_add_u32_e32 v24, 32, v23
	v_add_u32_e32 v23, 34, v23
	v_lshl_add_u32 v18, v94, 2, v20
	v_lshl_add_u32 v105, v24, 1, v20
	;; [unrolled: 1-line block ×3, first 2 shown]
	v_mbcnt_lo_u32_b32 v20, -1, 0
	v_mbcnt_hi_u32_b32 v83, -1, v20
	v_and_b32_e32 v20, 64, v83
	v_add_u32_e32 v85, 64, v20
	v_xor_b32_e32 v91, 32, v83
	v_cmp_lt_i32_e32 vcc, v91, v85
	v_xor_b32_e32 v86, 16, v83
	v_mul_lo_u32 v30, s38, v16
	s_lshl_b32 s0, s38, 4
	v_mul_lo_u32 v44, s34, v16
	s_lshl_b32 s1, s34, 4
	v_cndmask_b32_e32 v20, v83, v91, vcc
	v_cmp_lt_i32_e32 vcc, v86, v85
	v_add_u32_e32 v32, s0, v30
	v_add_u32_e32 v46, s1, v44
	v_lshlrev_b32_e32 v107, 2, v20
	v_cndmask_b32_e32 v20, v83, v86, vcc
	v_add_u32_e32 v34, s0, v32
	v_add_u32_e32 v48, s1, v46
	v_lshlrev_b32_e32 v108, 2, v20
	v_add_u32_e32 v36, s0, v34
	v_and_b32_e32 v16, 8, v81
	v_or_b32_e32 v20, 3, v21
	s_movk_i32 s0, 0x220
	v_add_u32_e32 v50, s1, v48
	v_add3_u32 v19, 0, v82, v59
	v_mul_u32_u24_e32 v62, 0x110, v22
	v_mul_u32_u24_e32 v63, 0x110, v20
	v_mad_u32_u24 v20, v16, s0, 0
	v_mov_b32_e32 v39, v53
	v_add3_u32 v100, 0, v99, v52
	s_ashr_i32 s35, s34, 31
	v_mov_b32_e32 v41, v53
	v_ashrrev_i32_e32 v45, 31, v44
	v_add_u32_e32 v102, 0x1100, v101
	v_ashrrev_i32_e32 v47, 31, v46
	v_add_u32_e32 v103, 0x2200, v101
	v_ashrrev_i32_e32 v49, 31, v48
	v_add_u32_e32 v104, 0x3300, v101
	v_ashrrev_i32_e32 v51, 31, v50
	v_lshrrev_b32_e32 v88, 1, v24
	v_lshrrev_b32_e32 v89, 1, v23
	s_ashr_i32 s39, s38, 31
	v_ashrrev_i32_e32 v31, 31, v30
	v_ashrrev_i32_e32 v33, 31, v32
	;; [unrolled: 1-line block ×4, first 2 shown]
	v_mul_u32_u24_e32 v77, 0x220, v16
	v_add3_u32 v109, v20, v62, v61
	v_add3_u32 v110, v20, v63, v61
	v_mad_u32_u24 v64, v16, s0, v17
	s_lshl_b32 s26, s82, 6
	v_mov_b32_e32 v20, 0xfeffffff
	v_lshlrev_b32_e32 v52, 2, v40
	v_add_u32_e32 v111, v19, v95
	v_add_u32_e32 v112, 0x4400, v18
	s_mov_b32 s2, 0x3fb8aa3b
	s_mov_b32 s3, 0xc2ce8ed0
	;; [unrolled: 1-line block ×5, first 2 shown]
	v_mov_b32_e32 v113, 0x7f800000
	v_mov_b32_e32 v28, v53
	;; [unrolled: 1-line block ×18, first 2 shown]
.LBB24_314:                             ; =>This Inner Loop Header: Depth=1
	s_mul_hi_i32 s1, s26, s34
	s_mul_i32 s0, s26, s34
	s_ashr_i32 s27, s26, 31
	s_lshl_b64 s[0:1], s[0:1], 2
	s_add_u32 s0, s24, s0
	v_lshl_add_u64 v[16:17], s[26:27], 1, v[54:55]
	s_addc_u32 s1, s25, s1
	global_load_dword v117, v[16:17], off
	v_lshl_add_u64 v[16:17], v[44:45], 2, s[0:1]
	v_mov_b32_e32 v115, v20
	v_mov_b32_e32 v114, v28
	v_lshl_add_u64 v[18:19], v[46:47], 2, s[0:1]
	v_lshl_add_u64 v[20:21], v[48:49], 2, s[0:1]
	;; [unrolled: 1-line block ×7, first 2 shown]
	global_load_dwordx4 v[16:19], v[28:29], off
	global_load_dwordx4 v[20:23], v[122:123], off
	;; [unrolled: 1-line block ×4, first 2 shown]
	v_add_u32_e32 v116, 0x2000, v111
	s_mul_hi_i32 s5, s26, s38
	s_mul_i32 s4, s26, s38
	s_lshl_b64 s[4:5], s[4:5], 2
	s_add_u32 s0, s20, s4
	s_addc_u32 s1, s21, s5
	v_lshl_add_u64 v[122:123], v[30:31], 2, s[0:1]
	v_lshl_add_u64 v[124:125], v[34:35], 2, s[0:1]
	v_lshl_add_u64 v[126:127], v[36:37], 2, s[0:1]
	v_lshl_add_u64 v[130:131], v[122:123], 0, v[52:53]
	v_lshl_add_u64 v[132:133], v[124:125], 0, v[52:53]
	v_lshl_add_u64 v[134:135], v[126:127], 0, v[52:53]
	s_add_i32 s82, s82, 1
	v_cmp_lt_i32_e32 vcc, s82, v98
	s_add_i32 s26, s26, 64
	s_and_b64 vcc, exec, vcc
	s_waitcnt vmcnt(4)
	ds_write_b32 v100, v117 offset:17408
	s_waitcnt vmcnt(3)
	ds_write_b128 v101, v[16:19]
	s_waitcnt vmcnt(2)
	ds_write_b128 v102, v[20:23]
	;; [unrolled: 2-line block ×4, first 2 shown]
	s_waitcnt lgkmcnt(0)
	s_barrier
	ds_read2_b64 v[22:25], v111 offset1:4
	ds_read2_b64 v[16:19], v116 offset0:64 offset1:68
	s_waitcnt lgkmcnt(1)
	v_mfma_f32_16x16x16_f16 v[26:29], v[22:23], v[12:13], 0
	ds_read2_b64 v[118:121], v116 offset0:72 offset1:76
	s_waitcnt lgkmcnt(1)
	v_mfma_f32_16x16x16_f16 v[20:23], v[16:17], v[12:13], 0
	v_mfma_f32_16x16x16_f16 v[16:19], v[18:19], v[14:15], v[20:23]
	v_mfma_f32_16x16x16_f16 v[24:27], v[24:25], v[14:15], v[26:29]
	s_nop 5
	ds_read2_b64 v[20:23], v111 offset0:8 offset1:12
	s_waitcnt lgkmcnt(0)
	v_mfma_f32_16x16x16_f16 v[24:27], v[20:21], v[8:9], v[24:27]
	v_lshl_add_u64 v[28:29], v[32:33], 2, s[0:1]
	v_lshl_add_u64 v[28:29], v[28:29], 0, v[52:53]
	v_mfma_f32_16x16x16_f16 v[20:23], v[22:23], v[10:11], v[24:27]
	s_nop 4
	ds_read2_b64 v[24:27], v111 offset0:16 offset1:20
	v_mfma_f32_16x16x16_f16 v[16:19], v[118:119], v[8:9], v[16:19]
	v_mfma_f32_16x16x16_f16 v[16:19], v[120:121], v[10:11], v[16:19]
	ds_read2_b64 v[118:121], v116 offset0:80 offset1:84
	ds_read2_b64 v[122:125], v111 offset0:24 offset1:28
	;; [unrolled: 1-line block ×3, first 2 shown]
	s_waitcnt lgkmcnt(0)
	s_barrier
	v_mfma_f32_16x16x16_f16 v[20:23], v[24:25], v[4:5], v[20:23]
	ds_read2_b32 v[136:137], v112 offset1:1
	ds_read_b32 v138, v105 offset:17408
	ds_read_b32 v139, v106 offset:17408
	v_mfma_f32_16x16x16_f16 v[16:19], v[118:119], v[4:5], v[16:19]
	v_mfma_f32_16x16x16_f16 v[20:23], v[26:27], v[6:7], v[20:23]
	global_load_dwordx4 v[24:27], v[130:131], off
	global_load_dwordx4 v[116:119], v[28:29], off
	s_nop 0
	global_load_dwordx4 v[130:133], v[132:133], off
	s_waitcnt lgkmcnt(2)
	v_cvt_f32_f16_e32 v28, v136
	v_cvt_f32_f16_sdwa v29, v136 dst_sel:DWORD dst_unused:UNUSED_PAD src0_sel:WORD_1
	v_mfma_f32_16x16x16_f16 v[16:19], v[120:121], v[6:7], v[16:19]
	v_mfma_f32_16x16x16_f16 v[20:23], v[122:123], v[0:1], v[20:23]
	global_load_dwordx4 v[120:123], v[134:135], off
	s_waitcnt lgkmcnt(1)
	v_cvt_f32_f16_e32 v134, v138
	s_waitcnt lgkmcnt(0)
	v_cvt_f32_f16_sdwa v135, v139 dst_sel:DWORD dst_unused:UNUSED_PAD src0_sel:WORD_1
	v_mfma_f32_16x16x16_f16 v[16:19], v[126:127], v[0:1], v[16:19]
	v_cvt_f32_f16_e32 v126, v137
	v_cvt_f32_f16_sdwa v127, v137 dst_sel:DWORD dst_unused:UNUSED_PAD src0_sel:WORD_1
	s_waitcnt vmcnt(3)
	ds_write_b128 v101, v[24:27]
	s_waitcnt vmcnt(2)
	ds_write_b128 v102, v[116:119]
	;; [unrolled: 2-line block ×4, first 2 shown]
	v_mfma_f32_16x16x16_f16 v[20:23], v[124:125], v[2:3], v[20:23]
	v_cvt_f32_f16_sdwa v124, v138 dst_sel:DWORD dst_unused:UNUSED_PAD src0_sel:WORD_1
	v_cvt_f32_f16_e32 v125, v139
	s_waitcnt lgkmcnt(0)
	v_mfma_f32_16x16x16_f16 v[16:19], v[128:129], v[2:3], v[16:19]
	s_barrier
	s_nop 2
	v_add_f32_e32 v28, v20, v28
	v_add_f32_e32 v21, v21, v29
	;; [unrolled: 1-line block ×11, first 2 shown]
	v_max3_f32 v20, v115, v20, v29
	v_add_f32_e32 v19, v19, v135
	v_add_f32_e32 v126, 0x40051340, v16
	;; [unrolled: 1-line block ×3, first 2 shown]
	v_max3_f32 v20, v20, v124, v125
	v_add_f32_e32 v128, 0x40051340, v18
	v_add_f32_e32 v129, 0x40051340, v19
	v_max3_f32 v20, v20, v126, v127
	v_max3_f32 v20, v20, v128, v129
	ds_bpermute_b32 v29, v107, v20
	s_waitcnt lgkmcnt(0)
	v_max_f32_e32 v29, v29, v29
	v_max_f32_e32 v20, v20, v29
	ds_bpermute_b32 v29, v108, v20
	s_waitcnt lgkmcnt(0)
	v_max_f32_e32 v29, v29, v29
	v_max_f32_e32 v20, v20, v29
	v_sub_f32_e32 v28, v28, v20
	v_sub_f32_e32 v21, v21, v20
	;; [unrolled: 1-line block ×9, first 2 shown]
	v_mul_f32_e32 v115, 0x3fb8aa3b, v28
	v_mul_f32_e32 v124, 0x3fb8aa3b, v21
	;; [unrolled: 1-line block ×9, first 2 shown]
	v_fma_f32 v136, v28, s2, -v115
	v_rndne_f32_e32 v137, v115
	v_fma_f32 v138, v21, s2, -v124
	v_rndne_f32_e32 v139, v124
	v_fma_f32 v140, v22, s2, -v125
	v_rndne_f32_e32 v141, v125
	v_fma_f32 v142, v23, s2, -v126
	v_rndne_f32_e32 v143, v126
	v_fma_f32 v144, v16, s2, -v127
	v_rndne_f32_e32 v145, v127
	v_fma_f32 v146, v17, s2, -v128
	v_rndne_f32_e32 v147, v128
	v_fma_f32 v148, v18, s2, -v129
	v_rndne_f32_e32 v149, v129
	v_fma_f32 v150, v19, s2, -v134
	v_rndne_f32_e32 v151, v134
	v_fma_f32 v152, v29, s2, -v135
	v_rndne_f32_e32 v153, v135
	v_fmac_f32_e32 v136, 0x32a5705f, v28
	v_sub_f32_e32 v115, v115, v137
	v_fmac_f32_e32 v138, 0x32a5705f, v21
	v_sub_f32_e32 v124, v124, v139
	;; [unrolled: 2-line block ×9, first 2 shown]
	v_add_f32_e32 v115, v115, v136
	v_add_f32_e32 v124, v124, v138
	;; [unrolled: 1-line block ×9, first 2 shown]
	v_cvt_i32_f32_e32 v137, v137
	v_cvt_i32_f32_e32 v139, v139
	;; [unrolled: 1-line block ×9, first 2 shown]
	v_exp_f32_e32 v115, v115
	v_exp_f32_e32 v124, v124
	;; [unrolled: 1-line block ×9, first 2 shown]
	v_ldexp_f32 v115, v115, v137
	v_ldexp_f32 v124, v124, v139
	v_cmp_ngt_f32_e64 s[0:1], s3, v21
	v_ldexp_f32 v125, v125, v141
	v_cmp_ngt_f32_e64 s[4:5], s3, v22
	;; [unrolled: 2-line block ×8, first 2 shown]
	v_cmp_ngt_f32_e64 s[18:19], s3, v28
	v_cndmask_b32_e64 v124, 0, v124, s[0:1]
	v_cmp_nlt_f32_e64 s[0:1], s28, v21
	v_cndmask_b32_e64 v115, 0, v115, s[18:19]
	v_cndmask_b32_e64 v21, 0, v125, s[4:5]
	v_cmp_nlt_f32_e64 s[4:5], s28, v22
	v_cndmask_b32_e64 v22, 0, v126, s[6:7]
	v_cmp_nlt_f32_e64 s[6:7], s28, v23
	;; [unrolled: 2-line block ×7, first 2 shown]
	v_cmp_nlt_f32_e64 s[18:19], s28, v28
	v_cndmask_b32_e64 v21, v113, v21, s[4:5]
	v_cndmask_b32_e64 v19, v113, v19, s[16:17]
	;; [unrolled: 1-line block ×4, first 2 shown]
	v_cmp_le_f32_e64 s[0:1], s29, v29
	v_cndmask_b32_e64 v22, v113, v22, s[6:7]
	v_add_f32_e32 v29, v28, v115
	v_cndmask_b32_e64 v19, 0, v19, s[0:1]
	v_cvt_pk_f16_f32 v135, v21, v22
	v_cvt_pk_f16_f32 v134, v28, v115
	v_add_f32_e32 v21, v21, v29
	v_cvt_f16_f32_e32 v28, v19
	v_cndmask_b32_e64 v23, v113, v23, s[8:9]
	v_add_f32_e32 v21, v22, v21
	v_cndmask_b32_e64 v16, v113, v16, s[10:11]
	v_add_f32_e32 v21, v23, v21
	v_cndmask_b32_e64 v17, v113, v17, s[12:13]
	v_cndmask_b32_e64 v18, v113, v18, s[14:15]
	v_cvt_pk_f16_f32 v136, v23, v16
	v_add_f32_e32 v16, v16, v21
	v_cvt_pk_f16_f32 v137, v17, v18
	v_add_f32_e32 v16, v17, v16
	v_mul_u32_u24_e32 v17, 0x10001, v28
	v_add_f32_e32 v28, v18, v16
	v_pk_mul_f16 v18, v97, v17
	v_pk_mul_f16 v21, v96, v17
	;; [unrolled: 1-line block ×16, first 2 shown]
	v_fmac_f32_e32 v28, v114, v19
	v_cvt_f32_f16_e32 v16, v18
	v_cvt_f32_f16_sdwa v17, v18 dst_sel:DWORD dst_unused:UNUSED_PAD src0_sel:WORD_1
	v_cvt_f32_f16_e32 v18, v21
	v_cvt_f32_f16_sdwa v19, v21 dst_sel:DWORD dst_unused:UNUSED_PAD src0_sel:WORD_1
	;; [unrolled: 2-line block ×9, first 2 shown]
	ds_read_u16 v21, v109
	ds_read_u16 v29, v109 offset:32
	ds_read_u16 v76, v109 offset:64
	;; [unrolled: 1-line block ×23, first 2 shown]
	ds_read_u16 v74, v110
	ds_read_u16 v130, v110 offset:32
	ds_read_u16 v138, v110 offset:64
	;; [unrolled: 1-line block ×7, first 2 shown]
	s_waitcnt lgkmcnt(7)
	v_perm_b32 v27, v74, v27, s33
	v_perm_b32 v26, v26, v21, s33
	v_cvt_f32_f16_e32 v72, v73
	v_cvt_f32_f16_sdwa v73, v73 dst_sel:DWORD dst_unused:UNUSED_PAD src0_sel:WORD_1
	v_mfma_f32_16x16x16_f16 v[16:19], v[26:27], v[134:135], v[16:19]
	s_waitcnt lgkmcnt(4)
	v_perm_b32 v27, v153, v141, s33
	v_perm_b32 v26, v140, v78, s33
	;; [unrolled: 1-line block ×4, first 2 shown]
	v_cvt_f32_f16_e32 v68, v75
	v_cvt_f32_f16_sdwa v69, v75 dst_sel:DWORD dst_unused:UNUSED_PAD src0_sel:WORD_1
	s_waitcnt lgkmcnt(3)
	v_perm_b32 v141, v154, v149, s33
	v_perm_b32 v140, v143, v80, s33
	v_mfma_f32_16x16x16_f16 v[70:73], v[26:27], v[134:135], v[70:73]
	s_waitcnt lgkmcnt(2)
	v_perm_b32 v27, v155, v150, s33
	v_perm_b32 v26, v145, v142, s33
	v_cvt_f32_f16_e32 v128, v65
	v_mfma_f32_16x16x16_f16 v[66:69], v[132:133], v[134:135], v[66:69]
	v_cvt_f32_f16_sdwa v129, v65 dst_sel:DWORD dst_unused:UNUSED_PAD src0_sel:WORD_1
	ds_read_u16 v65, v109 offset:8704
	ds_read_u16 v139, v109 offset:8736
	;; [unrolled: 1-line block ×32, first 2 shown]
	v_perm_b32 v97, v130, v97, s33
	v_perm_b32 v96, v96, v29, s33
	v_mfma_f32_16x16x16_f16 v[114:117], v[140:141], v[134:135], v[114:117]
	s_waitcnt lgkmcnt(14)
	v_perm_b32 v141, v156, v151, s33
	v_perm_b32 v140, v147, v144, s33
	;; [unrolled: 1-line block ×4, first 2 shown]
	v_cvt_f32_f16_e32 v22, v23
	v_cvt_f32_f16_sdwa v23, v23 dst_sel:DWORD dst_unused:UNUSED_PAD src0_sel:WORD_1
	v_cvt_f32_f16_e32 v122, v124
	v_cvt_f32_f16_sdwa v123, v124 dst_sel:DWORD dst_unused:UNUSED_PAD src0_sel:WORD_1
	;; [unrolled: 2-line block ×4, first 2 shown]
	v_perm_b32 v74, v131, v65, s33
	v_mfma_f32_16x16x16_f16 v[118:121], v[26:27], v[134:135], v[118:121]
	v_cvt_f16_f32_e32 v29, v66
	v_cvt_f16_f32_e32 v65, v67
	v_cvt_f16_f32_e32 v68, v68
	v_cvt_f16_f32_e32 v69, v69
	v_perm_b32 v130, v164, v139, s33
	s_waitcnt lgkmcnt(5)
	v_perm_b32 v139, v180, v172, s33
	v_perm_b32 v138, v165, v158, s33
	v_mfma_f32_16x16x16_f16 v[22:25], v[96:97], v[134:135], v[22:25]
	v_cvt_f16_f32_e32 v70, v70
	v_cvt_f16_f32_e32 v71, v71
	;; [unrolled: 1-line block ×3, first 2 shown]
	v_mfma_f32_16x16x16_f16 v[122:125], v[140:141], v[134:135], v[122:125]
	v_cvt_f16_f32_e32 v73, v73
	v_cvt_f32_f16_e32 v66, v29
	v_cvt_f32_f16_e32 v67, v65
	v_mfma_f32_16x16x16_f16 v[126:129], v[144:145], v[134:135], v[126:129]
	v_cvt_f16_f32_e32 v134, v118
	v_cvt_f16_f32_e32 v135, v119
	;; [unrolled: 1-line block ×4, first 2 shown]
	v_cvt_f32_f16_e32 v68, v68
	v_cvt_f32_f16_e32 v69, v69
	s_waitcnt lgkmcnt(4)
	v_perm_b32 v97, v181, v173, s33
	v_perm_b32 v96, v166, v159, s33
	s_waitcnt lgkmcnt(2)
	v_perm_b32 v143, v183, v175, s33
	v_perm_b32 v142, v168, v161, s33
	v_cvt_f16_f32_e32 v16, v16
	v_cvt_f16_f32_e32 v17, v17
	;; [unrolled: 1-line block ×20, first 2 shown]
	v_cvt_f32_f16_e32 v70, v70
	v_cvt_f32_f16_e32 v71, v71
	;; [unrolled: 1-line block ×4, first 2 shown]
	v_mfma_f32_16x16x16_f16 v[118:121], v[138:139], v[136:137], v[66:69]
	v_perm_b32 v75, v178, v75, s33
	v_perm_b32 v131, v179, v171, s33
	;; [unrolled: 1-line block ×3, first 2 shown]
	v_cvt_f32_f16_e32 v66, v134
	v_cvt_f32_f16_e32 v67, v135
	;; [unrolled: 1-line block ×4, first 2 shown]
	v_perm_b32 v132, v167, v160, s33
	s_waitcnt lgkmcnt(1)
	v_perm_b32 v27, v184, v176, s33
	v_perm_b32 v26, v169, v162, s33
	s_waitcnt lgkmcnt(0)
	v_perm_b32 v141, v185, v177, s33
	v_perm_b32 v140, v170, v163, s33
	v_cvt_f32_f16_e32 v16, v16
	v_cvt_f32_f16_e32 v17, v17
	;; [unrolled: 1-line block ×12, first 2 shown]
	v_mfma_f32_16x16x16_f16 v[122:125], v[96:97], v[136:137], v[70:73]
	v_cvt_pk_f16_f32 v76, v118, v119
	s_barrier
	s_nop 0
	v_cvt_f32_f16_e32 v70, v146
	v_cvt_f32_f16_e32 v71, v147
	;; [unrolled: 1-line block ×4, first 2 shown]
	v_mfma_f32_16x16x16_f16 v[126:129], v[142:143], v[136:137], v[66:69]
	s_nop 2
	v_cvt_f32_f16_e32 v66, v150
	v_cvt_f32_f16_e32 v67, v151
	;; [unrolled: 1-line block ×4, first 2 shown]
	v_mfma_f32_16x16x16_f16 v[16:19], v[74:75], v[136:137], v[16:19]
	v_cvt_pk_f16_f32 v74, v122, v123
	v_cvt_pk_f16_f32 v75, v120, v121
	v_mfma_f32_16x16x16_f16 v[22:25], v[130:131], v[136:137], v[22:25]
	v_mfma_f32_16x16x16_f16 v[114:117], v[132:133], v[136:137], v[114:117]
	s_nop 3
	v_cvt_pk_f16_f32 v97, v16, v17
	s_nop 1
	v_cvt_pk_f16_f32 v80, v22, v23
	v_cvt_pk_f16_f32 v78, v24, v25
	v_mfma_f32_16x16x16_f16 v[70:73], v[26:27], v[136:137], v[70:73]
	v_cvt_pk_f16_f32 v96, v18, v19
	v_mfma_f32_16x16x16_f16 v[66:69], v[140:141], v[136:137], v[66:69]
	s_nop 7
	v_cvt_pk_f16_f32 v66, v66, v67
	v_cvt_pk_f16_f32 v65, v68, v69
	;; [unrolled: 1-line block ×9, first 2 shown]
	s_cbranch_vccnz .LBB24_314
; %bb.315:
	v_mov_b64_e32 v[16:17], s[38:39]
	v_mov_b64_e32 v[18:19], s[34:35]
.LBB24_316:
	s_lshl_b32 s0, s82, 6
	s_ashr_i32 s1, s0, 31
	s_lshl_b64 s[2:3], s[0:1], 1
	s_add_u32 s2, s22, s2
	s_addc_u32 s3, s23, s3
	v_lshl_add_u64 v[22:23], v[42:43], 1, s[2:3]
	v_lshl_add_u64 v[22:23], v[38:39], 1, v[22:23]
	global_load_dword v21, v[22:23], off
	v_mul_lo_u32 v22, v18, s1
	v_mul_hi_u32 v23, v18, s0
	v_add_u32_e32 v22, v23, v22
	v_mul_lo_u32 v19, v19, s0
	v_add_u32_e32 v19, v22, v19
	v_mul_lo_u32 v18, v18, s0
	v_lshlrev_b64 v[18:19], 2, v[18:19]
	v_lshl_add_u64 v[22:23], s[24:25], 0, v[18:19]
	v_lshl_add_u64 v[24:25], v[44:45], 2, v[22:23]
	v_lshlrev_b64 v[18:19], 2, v[40:41]
	v_lshl_add_u64 v[26:27], v[24:25], 0, v[18:19]
	v_lshl_add_u64 v[24:25], v[46:47], 2, v[22:23]
	;; [unrolled: 1-line block ×7, first 2 shown]
	global_load_dwordx4 v[22:25], v[26:27], off
	global_load_dwordx4 v[42:45], v[54:55], off
	;; [unrolled: 1-line block ×4, first 2 shown]
	v_lshlrev_b32_e32 v26, 1, v38
	v_lshlrev_b32_e32 v27, 2, v40
	v_add_u32_e32 v29, 0, v82
	v_add3_u32 v26, 0, v99, v26
	v_add3_u32 v54, 0, v84, v27
	;; [unrolled: 1-line block ×6, first 2 shown]
	v_lshlrev_b32_e32 v29, 2, v94
	s_movk_i32 s2, 0x4400
	v_cmp_lt_i32_e32 vcc, v91, v85
	s_mov_b32 s4, 0x3fb8aa3b
	s_mov_b32 s3, 0x42b17218
	s_waitcnt vmcnt(4)
	ds_write_b32 v26, v21 offset:17408
	s_waitcnt vmcnt(3)
	ds_write_b128 v54, v[22:25]
	s_waitcnt vmcnt(2)
	ds_write_b128 v55, v[42:45]
	;; [unrolled: 2-line block ×4, first 2 shown]
	s_waitcnt lgkmcnt(0)
	s_barrier
	ds_read2_b64 v[22:25], v27 offset1:4
	v_add_u32_e32 v21, 0x2000, v27
	ds_read2_b64 v[42:45], v21 offset0:64 offset1:68
	s_waitcnt lgkmcnt(1)
	v_mfma_f32_16x16x16_f16 v[38:41], v[22:23], v[12:13], 0
	v_add_u32_e32 v26, 0, v93
	v_add3_u32 v29, v26, v29, s2
	s_mov_b32 s2, 0xc2ce8ed0
	s_waitcnt lgkmcnt(0)
	v_mfma_f32_16x16x16_f16 v[46:49], v[42:43], v[12:13], 0
	v_mfma_f32_16x16x16_f16 v[22:25], v[24:25], v[14:15], v[38:41]
	s_nop 2
	ds_read2_b64 v[38:41], v27 offset0:8 offset1:12
	v_mfma_f32_16x16x16_f16 v[12:15], v[44:45], v[14:15], v[46:49]
	ds_read2_b64 v[42:45], v21 offset0:72 offset1:76
	s_waitcnt lgkmcnt(1)
	v_mfma_f32_16x16x16_f16 v[22:25], v[38:39], v[8:9], v[22:25]
	s_waitcnt lgkmcnt(0)
	v_mfma_f32_16x16x16_f16 v[12:15], v[42:43], v[8:9], v[12:15]
	v_lshl_add_u32 v43, v88, 2, v26
	v_cndmask_b32_e32 v42, v83, v91, vcc
	v_cmp_lt_i32_e32 vcc, v86, v85
	v_mfma_f32_16x16x16_f16 v[22:25], v[40:41], v[10:11], v[22:25]
	ds_read2_b64 v[38:41], v27 offset0:16 offset1:20
	ds_read2_b64 v[46:49], v21 offset0:80 offset1:84
	v_mfma_f32_16x16x16_f16 v[8:11], v[44:45], v[10:11], v[12:15]
	v_lshl_add_u32 v44, v89, 2, v26
	s_waitcnt lgkmcnt(1)
	v_mfma_f32_16x16x16_f16 v[12:15], v[38:39], v[4:5], v[22:25]
	s_nop 2
	ds_read2_b64 v[22:25], v27 offset0:24 offset1:28
	v_mfma_f32_16x16x16_f16 v[12:15], v[40:41], v[6:7], v[12:15]
	ds_read2_b64 v[38:41], v21 offset0:88 offset1:92
	s_waitcnt lgkmcnt(0)
	s_barrier
	v_mfma_f32_16x16x16_f16 v[8:11], v[46:47], v[4:5], v[8:11]
	ds_read2_b32 v[26:27], v29 offset1:1
	v_lshlrev_b32_e32 v29, 2, v42
	v_mfma_f32_16x16x16_f16 v[4:7], v[48:49], v[6:7], v[8:11]
	v_mov_b32_e32 v42, 0x7f800000
	s_waitcnt lgkmcnt(0)
	v_cvt_f32_f16_e32 v21, v27
	v_mfma_f32_16x16x16_f16 v[8:11], v[22:23], v[0:1], v[12:15]
	s_nop 2
	ds_read_b32 v12, v43 offset:17408
	ds_read_b32 v13, v44 offset:17408
	v_cvt_f32_f16_e32 v14, v26
	v_cvt_f32_f16_sdwa v15, v26 dst_sel:DWORD dst_unused:UNUSED_PAD src0_sel:WORD_1
	v_mfma_f32_16x16x16_f16 v[4:7], v[38:39], v[0:1], v[4:7]
	v_cvt_f32_f16_sdwa v22, v27 dst_sel:DWORD dst_unused:UNUSED_PAD src0_sel:WORD_1
	s_waitcnt lgkmcnt(1)
	v_cvt_f32_f16_e32 v23, v12
	v_cvt_f32_f16_sdwa v12, v12 dst_sel:DWORD dst_unused:UNUSED_PAD src0_sel:WORD_1
	v_mfma_f32_16x16x16_f16 v[8:11], v[24:25], v[2:3], v[8:11]
	s_waitcnt lgkmcnt(0)
	v_cvt_f32_f16_e32 v24, v13
	v_cvt_f32_f16_sdwa v13, v13 dst_sel:DWORD dst_unused:UNUSED_PAD src0_sel:WORD_1
	v_mfma_f32_16x16x16_f16 v[0:3], v[40:41], v[2:3], v[4:7]
	s_nop 3
	v_add_f32_e32 v4, v8, v14
	v_add_f32_e32 v5, v9, v15
	v_add_f32_e32 v6, v10, v21
	v_add_f32_e32 v7, v11, v22
	v_add_f32_e32 v0, v0, v23
	v_add_f32_e32 v23, v1, v12
	v_add_f32_e32 v40, v2, v24
	v_add_f32_e32 v1, 0x40051340, v4
	v_add_f32_e32 v2, 0x40051340, v5
	v_add_f32_e32 v41, v3, v13
	v_add_f32_e32 v3, 0x40051340, v6
	v_add_f32_e32 v8, 0x40051340, v7
	v_max3_f32 v1, v20, v1, v2
	v_add_f32_e32 v9, 0x40051340, v0
	v_add_f32_e32 v10, 0x40051340, v23
	v_max3_f32 v1, v1, v3, v8
	v_add_f32_e32 v11, 0x40051340, v40
	v_add_f32_e32 v12, 0x40051340, v41
	v_max3_f32 v1, v1, v9, v10
	v_max3_f32 v1, v1, v11, v12
	ds_bpermute_b32 v2, v29, v1
	v_cndmask_b32_e32 v3, v83, v86, vcc
	v_lshlrev_b32_e32 v38, 2, v3
	s_waitcnt lgkmcnt(0)
	v_max_f32_e32 v2, v2, v2
	v_max_f32_e32 v1, v1, v2
	ds_bpermute_b32 v2, v38, v1
	s_waitcnt lgkmcnt(0)
	v_max_f32_e32 v2, v2, v2
	v_max_f32_e32 v39, v1, v2
	v_sub_f32_e32 v1, v4, v39
	v_sub_f32_e32 v2, v5, v39
	v_mul_f32_e32 v4, 0x3fb8aa3b, v1
	v_mul_f32_e32 v5, 0x3fb8aa3b, v2
	v_fma_f32 v8, v1, s4, -v4
	v_rndne_f32_e32 v9, v4
	v_fma_f32 v10, v2, s4, -v5
	v_rndne_f32_e32 v11, v5
	v_fmac_f32_e32 v8, 0x32a5705f, v1
	v_sub_f32_e32 v4, v4, v9
	v_sub_f32_e32 v3, v6, v39
	v_fmac_f32_e32 v10, 0x32a5705f, v2
	v_sub_f32_e32 v5, v5, v11
	v_add_f32_e32 v4, v4, v8
	v_mul_f32_e32 v6, 0x3fb8aa3b, v3
	v_cvt_i32_f32_e32 v9, v9
	v_add_f32_e32 v5, v5, v10
	v_exp_f32_e32 v4, v4
	v_fma_f32 v12, v3, s4, -v6
	v_rndne_f32_e32 v13, v6
	v_cvt_i32_f32_e32 v11, v11
	v_exp_f32_e32 v5, v5
	v_fmac_f32_e32 v12, 0x32a5705f, v3
	v_sub_f32_e32 v6, v6, v13
	v_add_f32_e32 v6, v6, v12
	v_cvt_i32_f32_e32 v13, v13
	v_exp_f32_e32 v6, v6
	v_ldexp_f32 v4, v4, v9
	v_cmp_ngt_f32_e32 vcc, s2, v1
	v_ldexp_f32 v5, v5, v11
	v_sub_f32_e32 v25, v7, v39
	v_cndmask_b32_e32 v4, 0, v4, vcc
	v_cmp_ngt_f32_e32 vcc, s2, v2
	v_sub_f32_e32 v44, v0, v39
	v_mul_lo_u32 v0, v16, s1
	v_cndmask_b32_e32 v5, 0, v5, vcc
	v_cmp_nlt_f32_e32 vcc, s3, v1
	v_ldexp_f32 v1, v6, v13
	v_mul_f32_e32 v45, 0x3fb8aa3b, v44
	v_cndmask_b32_e32 v21, v42, v4, vcc
	v_cmp_nlt_f32_e32 vcc, s3, v2
	v_mul_f32_e32 v2, 0x3fb8aa3b, v25
	v_fma_f32 v4, v25, s4, -v2
	v_cndmask_b32_e32 v22, v42, v5, vcc
	v_rndne_f32_e32 v5, v2
	v_cmp_ngt_f32_e32 vcc, s2, v3
	v_fmac_f32_e32 v4, 0x32a5705f, v25
	v_sub_f32_e32 v2, v2, v5
	v_cndmask_b32_e32 v1, 0, v1, vcc
	v_cmp_nlt_f32_e32 vcc, s3, v3
	v_add_f32_e32 v2, v2, v4
	v_exp_f32_e32 v2, v2
	v_cndmask_b32_e32 v24, v42, v1, vcc
	v_mul_hi_u32 v1, v16, s0
	v_cvt_i32_f32_e32 v4, v5
	v_add_u32_e32 v0, v1, v0
	v_mul_lo_u32 v1, v17, s0
	v_add_u32_e32 v1, v0, v1
	v_mul_lo_u32 v0, v16, s0
	v_lshlrev_b64 v[0:1], 2, v[0:1]
	v_lshl_add_u64 v[0:1], s[20:21], 0, v[0:1]
	v_ldexp_f32 v43, v2, v4
	v_lshl_add_u64 v[2:3], v[30:31], 2, v[0:1]
	v_lshl_add_u64 v[16:17], v[2:3], 0, v[18:19]
	;; [unrolled: 1-line block ×8, first 2 shown]
	global_load_dwordx4 v[0:3], v[16:17], off
	global_load_dwordx4 v[4:7], v[26:27], off
	;; [unrolled: 1-line block ×4, first 2 shown]
	v_fma_f32 v46, v44, s4, -v45
	v_rndne_f32_e32 v47, v45
	v_fmac_f32_e32 v46, 0x32a5705f, v44
	v_sub_f32_e32 v16, v45, v47
	v_add_f32_e32 v16, v16, v46
	v_exp_f32_e32 v16, v16
	v_cvt_i32_f32_e32 v17, v47
	v_cmp_ngt_f32_e32 vcc, s2, v25
	v_sub_f32_e32 v20, v20, v39
	s_mov_b32 s0, 0xc1a00000
	v_cndmask_b32_e32 v18, 0, v43, vcc
	v_cmp_nlt_f32_e32 vcc, s3, v25
	v_ldexp_f32 v16, v16, v17
	v_sub_f32_e32 v17, v23, v39
	v_cndmask_b32_e32 v25, v42, v18, vcc
	v_mul_f32_e32 v18, 0x3fb8aa3b, v17
	v_fma_f32 v19, v17, s4, -v18
	v_rndne_f32_e32 v23, v18
	v_fmac_f32_e32 v19, 0x32a5705f, v17
	v_sub_f32_e32 v18, v18, v23
	v_add_f32_e32 v18, v18, v19
	v_exp_f32_e32 v18, v18
	v_cvt_i32_f32_e32 v19, v23
	v_cmp_ngt_f32_e32 vcc, s2, v44
	s_waitcnt vmcnt(3)
	ds_write_b128 v54, v[0:3]
	s_waitcnt vmcnt(2)
	ds_write_b128 v55, v[4:7]
	;; [unrolled: 2-line block ×4, first 2 shown]
	v_cndmask_b32_e32 v16, 0, v16, vcc
	v_cmp_nlt_f32_e32 vcc, s3, v44
	v_add_u32_e32 v0, 0, v77
	v_add3_u32 v3, v0, v62, v61
	v_cndmask_b32_e32 v26, v42, v16, vcc
	v_ldexp_f32 v16, v18, v19
	v_sub_f32_e32 v18, v40, v39
	v_mul_f32_e32 v19, 0x3fb8aa3b, v18
	v_fma_f32 v23, v18, s4, -v19
	v_rndne_f32_e32 v27, v19
	v_fmac_f32_e32 v23, 0x32a5705f, v18
	v_sub_f32_e32 v19, v19, v27
	v_add_f32_e32 v19, v19, v23
	v_exp_f32_e32 v19, v19
	v_cvt_i32_f32_e32 v23, v27
	v_cmp_ngt_f32_e32 vcc, s2, v17
	s_waitcnt lgkmcnt(0)
	s_barrier
	v_cndmask_b32_e32 v16, 0, v16, vcc
	v_cmp_nlt_f32_e32 vcc, s3, v17
	v_sub_f32_e32 v17, v41, v39
	s_nop 0
	v_cndmask_b32_e32 v27, v42, v16, vcc
	v_ldexp_f32 v16, v19, v23
	v_mul_f32_e32 v19, 0x3fb8aa3b, v17
	v_fma_f32 v23, v17, s4, -v19
	v_rndne_f32_e32 v30, v19
	v_fmac_f32_e32 v23, 0x32a5705f, v17
	v_sub_f32_e32 v19, v19, v30
	v_add_f32_e32 v19, v19, v23
	v_cvt_i32_f32_e32 v23, v30
	v_mul_f32_e32 v30, 0x3fb8aa3b, v20
	v_fma_f32 v31, v20, s4, -v30
	v_rndne_f32_e32 v32, v30
	v_fmac_f32_e32 v31, 0x32a5705f, v20
	v_sub_f32_e32 v30, v30, v32
	v_add_f32_e32 v30, v30, v31
	v_exp_f32_e32 v31, v30
	v_cvt_i32_f32_e32 v32, v32
	v_cmp_ngt_f32_e32 vcc, s2, v18
	v_exp_f32_e32 v19, v19
	v_add3_u32 v4, v0, v63, v61
	v_cndmask_b32_e32 v16, 0, v16, vcc
	v_cmp_nlt_f32_e32 vcc, s3, v18
	v_ldexp_f32 v18, v31, v32
	v_cvt_pk_f16_f32 v41, v24, v25
	v_cndmask_b32_e32 v30, v42, v16, vcc
	v_cmp_ngt_f32_e32 vcc, s2, v20
	v_ldexp_f32 v16, v19, v23
	v_cvt_pk_f16_f32 v40, v21, v22
	v_cndmask_b32_e32 v18, 0, v18, vcc
	v_cmp_nlt_f32_e32 vcc, s3, v20
	s_nop 1
	v_cndmask_b32_e32 v18, v42, v18, vcc
	v_cmp_le_f32_e32 vcc, s0, v20
	s_mov_b32 s0, 0x5040100
	s_nop 0
	v_cndmask_b32_e32 v31, 0, v18, vcc
	v_cvt_f16_f32_e32 v18, v31
	v_cmp_ngt_f32_e32 vcc, s2, v17
	v_mul_u32_u24_e32 v33, 0x10001, v18
	s_nop 0
	v_cndmask_b32_e32 v16, 0, v16, vcc
	v_cmp_nlt_f32_e32 vcc, s3, v17
	v_pk_mul_f16 v17, v96, v33
	v_pk_mul_f16 v78, v78, v33
	v_cndmask_b32_e32 v32, v42, v16, vcc
	v_pk_mul_f16 v16, v97, v33
	v_cvt_f32_f16_e32 v2, v17
	v_cvt_f32_f16_e32 v0, v16
	v_cvt_f32_f16_sdwa v1, v16 dst_sel:DWORD dst_unused:UNUSED_PAD src0_sel:WORD_1
	ds_read_u16 v5, v3 offset:544
	ds_read_u16 v7, v3 offset:576
	;; [unrolled: 1-line block ×8, first 2 shown]
	ds_read_u16 v6, v4
	ds_read_u16 v8, v4 offset:32
	ds_read_u16 v12, v4 offset:64
	;; [unrolled: 1-line block ×7, first 2 shown]
	s_waitcnt lgkmcnt(7)
	v_perm_b32 v5, v6, v5, s0
	ds_read_u16 v4, v3
	ds_read_u16 v10, v3 offset:32
	ds_read_u16 v14, v3 offset:64
	;; [unrolled: 1-line block ×15, first 2 shown]
	s_waitcnt lgkmcnt(7)
	v_perm_b32 v4, v6, v4, s0
	v_cvt_f32_f16_sdwa v3, v17 dst_sel:DWORD dst_unused:UNUSED_PAD src0_sel:WORD_1
	v_pk_mul_f16 v6, v80, v33
	v_cvt_pk_f16_f32 v43, v30, v32
	v_mfma_f32_16x16x16_f16 v[0:3], v[4:5], v[40:41], v[0:3]
	v_add_u32_e32 v4, 0, v64
	v_add3_u32 v9, v4, v62, v61
	v_add3_u32 v4, v4, v63, v61
	ds_read_u16 v5, v9 offset:544
	ds_read_u16 v17, v9 offset:576
	;; [unrolled: 1-line block ×8, first 2 shown]
	ds_read_u16 v42, v4
	ds_read_u16 v80, v4 offset:32
	ds_read_u16 v82, v4 offset:64
	;; [unrolled: 1-line block ×7, first 2 shown]
	v_cvt_f16_f32_e32 v0, v0
	v_cvt_f16_f32_e32 v1, v1
	;; [unrolled: 1-line block ×4, first 2 shown]
	s_waitcnt lgkmcnt(7)
	v_perm_b32 v5, v42, v5, s0
	ds_read_u16 v4, v9
	ds_read_u16 v88, v9 offset:32
	ds_read_u16 v89, v9 offset:64
	ds_read_u16 v90, v9 offset:96
	ds_read_u16 v91, v9 offset:128
	ds_read_u16 v92, v9 offset:160
	ds_read_u16 v93, v9 offset:192
	ds_read_u16 v94, v9 offset:224
	ds_read_u16 v42, v9 offset:272
	ds_read_u16 v95, v9 offset:304
	ds_read_u16 v96, v9 offset:336
	ds_read_u16 v97, v9 offset:368
	ds_read_u16 v98, v9 offset:400
	ds_read_u16 v99, v9 offset:432
	ds_read_u16 v100, v9 offset:464
	ds_read_u16 v101, v9 offset:496
	s_waitcnt lgkmcnt(7)
	v_perm_b32 v4, v42, v4, s0
	v_cvt_f32_f16_e32 v0, v0
	v_cvt_f32_f16_e32 v1, v1
	;; [unrolled: 1-line block ×4, first 2 shown]
	v_cvt_pk_f16_f32 v42, v26, v27
	v_perm_b32 v9, v8, v7, s0
	v_perm_b32 v8, v13, v10, s0
	v_mfma_f32_16x16x16_f16 v[0:3], v[4:5], v[42:43], v[0:3]
	v_cvt_f32_f16_e32 v4, v6
	v_cvt_f32_f16_sdwa v5, v6 dst_sel:DWORD dst_unused:UNUSED_PAD src0_sel:WORD_1
	v_cvt_f32_f16_e32 v6, v78
	v_cvt_f32_f16_sdwa v7, v78 dst_sel:DWORD dst_unused:UNUSED_PAD src0_sel:WORD_1
	v_pk_mul_f16 v10, v76, v33
	v_perm_b32 v13, v12, v11, s0
	v_mfma_f32_16x16x16_f16 v[4:7], v[8:9], v[40:41], v[4:7]
	v_perm_b32 v9, v80, v17, s0
	s_waitcnt lgkmcnt(6)
	v_perm_b32 v8, v95, v88, s0
	v_pk_mul_f16 v17, v75, v33
	v_perm_b32 v12, v35, v14, s0
	s_nop 2
	v_cvt_f16_f32_e32 v4, v4
	v_cvt_f16_f32_e32 v5, v5
	;; [unrolled: 1-line block ×4, first 2 shown]
	v_cvt_f32_f16_e32 v4, v4
	v_cvt_f32_f16_e32 v5, v5
	;; [unrolled: 1-line block ×4, first 2 shown]
	v_cvt_f32_f16_sdwa v11, v17 dst_sel:DWORD dst_unused:UNUSED_PAD src0_sel:WORD_1
	v_pk_mul_f16 v14, v74, v33
	v_mfma_f32_16x16x16_f16 v[4:7], v[8:9], v[42:43], v[4:7]
	v_cvt_f32_f16_e32 v8, v10
	v_cvt_f32_f16_sdwa v9, v10 dst_sel:DWORD dst_unused:UNUSED_PAD src0_sel:WORD_1
	v_cvt_f32_f16_e32 v10, v17
	v_pk_mul_f16 v35, v73, v33
	v_perm_b32 v17, v16, v15, s0
	v_mfma_f32_16x16x16_f16 v[8:11], v[12:13], v[40:41], v[8:11]
	v_perm_b32 v13, v82, v55, s0
	s_waitcnt lgkmcnt(5)
	v_perm_b32 v12, v96, v89, s0
	v_perm_b32 v16, v36, v18, s0
	v_cvt_f32_f16_sdwa v15, v35 dst_sel:DWORD dst_unused:UNUSED_PAD src0_sel:WORD_1
	s_nop 2
	v_cvt_f16_f32_e32 v8, v8
	v_cvt_f16_f32_e32 v9, v9
	;; [unrolled: 1-line block ×4, first 2 shown]
	v_cvt_f32_f16_e32 v8, v8
	v_cvt_f32_f16_e32 v9, v9
	;; [unrolled: 1-line block ×4, first 2 shown]
	v_pk_mul_f16 v18, v72, v33
	v_pk_mul_f16 v36, v71, v33
	v_mfma_f32_16x16x16_f16 v[8:11], v[12:13], v[42:43], v[8:11]
	v_cvt_f32_f16_e32 v12, v14
	v_cvt_f32_f16_sdwa v13, v14 dst_sel:DWORD dst_unused:UNUSED_PAD src0_sel:WORD_1
	v_cvt_f32_f16_e32 v14, v35
	v_perm_b32 v35, v23, v19, s0
	v_perm_b32 v34, v45, v34, s0
	v_mfma_f32_16x16x16_f16 v[12:15], v[16:17], v[40:41], v[12:15]
	v_perm_b32 v17, v83, v61, s0
	s_waitcnt lgkmcnt(4)
	v_perm_b32 v16, v97, v90, s0
	v_cvt_f32_f16_sdwa v19, v36 dst_sel:DWORD dst_unused:UNUSED_PAD src0_sel:WORD_1
	v_pk_mul_f16 v23, v70, v33
	s_nop 2
	v_cvt_f16_f32_e32 v12, v12
	v_cvt_f16_f32_e32 v13, v13
	;; [unrolled: 1-line block ×4, first 2 shown]
	v_cvt_f32_f16_e32 v12, v12
	v_cvt_f32_f16_e32 v13, v13
	;; [unrolled: 1-line block ×4, first 2 shown]
	v_pk_mul_f16 v55, v69, v33
	v_perm_b32 v45, v37, v20, s0
	v_mfma_f32_16x16x16_f16 v[12:15], v[16:17], v[42:43], v[12:15]
	v_cvt_f32_f16_e32 v16, v18
	v_cvt_f32_f16_sdwa v17, v18 dst_sel:DWORD dst_unused:UNUSED_PAD src0_sel:WORD_1
	v_cvt_f32_f16_e32 v18, v36
	v_perm_b32 v44, v52, v44, s0
	v_cvt_f32_f16_e32 v36, v55
	v_mfma_f32_16x16x16_f16 v[16:19], v[34:35], v[40:41], v[16:19]
	v_perm_b32 v35, v84, v62, s0
	s_waitcnt lgkmcnt(3)
	v_perm_b32 v34, v98, v91, s0
	v_cvt_f32_f16_sdwa v37, v55 dst_sel:DWORD dst_unused:UNUSED_PAD src0_sel:WORD_1
	v_add_f32_e32 v52, v21, v22
	s_nop 2
	v_cvt_f16_f32_e32 v16, v16
	v_cvt_f16_f32_e32 v17, v17
	;; [unrolled: 1-line block ×4, first 2 shown]
	v_cvt_f32_f16_e32 v16, v16
	v_cvt_f32_f16_e32 v17, v17
	;; [unrolled: 1-line block ×4, first 2 shown]
	v_pk_mul_f16 v55, v68, v33
	v_pk_mul_f16 v61, v67, v33
	v_mfma_f32_16x16x16_f16 v[16:19], v[34:35], v[42:43], v[16:19]
	v_cvt_f32_f16_e32 v34, v23
	v_cvt_f32_f16_sdwa v35, v23 dst_sel:DWORD dst_unused:UNUSED_PAD src0_sel:WORD_1
	v_add_f32_e32 v24, v24, v52
	v_add_f32_e32 v24, v25, v24
	v_mfma_f32_16x16x16_f16 v[34:37], v[44:45], v[40:41], v[34:37]
	v_perm_b32 v45, v85, v63, s0
	s_waitcnt lgkmcnt(2)
	v_perm_b32 v44, v99, v92, s0
	v_add_f32_e32 v26, v26, v24
	s_waitcnt lgkmcnt(0)
	s_nop 2
	v_cvt_f16_f32_e32 v20, v34
	v_cvt_f16_f32_e32 v23, v35
	;; [unrolled: 1-line block ×4, first 2 shown]
	v_cvt_f32_f16_e32 v34, v20
	v_cvt_f32_f16_e32 v35, v23
	;; [unrolled: 1-line block ×4, first 2 shown]
	s_barrier
	s_nop 0
	v_mfma_f32_16x16x16_f16 v[20:23], v[44:45], v[42:43], v[34:37]
	v_perm_b32 v45, v48, v46, s0
	v_perm_b32 v44, v53, v50, s0
	s_nop 0
	v_cvt_f32_f16_e32 v34, v55
	v_cvt_f32_f16_sdwa v35, v55 dst_sel:DWORD dst_unused:UNUSED_PAD src0_sel:WORD_1
	v_cvt_f32_f16_e32 v36, v61
	v_cvt_f32_f16_sdwa v37, v61 dst_sel:DWORD dst_unused:UNUSED_PAD src0_sel:WORD_1
	v_add_f32_e32 v46, v27, v26
	v_add_f32_e32 v30, v30, v46
	v_mfma_f32_16x16x16_f16 v[34:37], v[44:45], v[40:41], v[34:37]
	v_pk_mul_f16 v44, v66, v33
	v_pk_mul_f16 v33, v65, v33
	v_perm_b32 v45, v49, v47, s0
	v_add_f32_e32 v46, v32, v30
	s_nop 3
	v_cvt_f16_f32_e32 v24, v34
	v_cvt_f16_f32_e32 v25, v35
	;; [unrolled: 1-line block ×4, first 2 shown]
	v_cvt_f32_f16_e32 v34, v24
	v_cvt_f32_f16_e32 v35, v25
	v_perm_b32 v25, v86, v64, s0
	v_perm_b32 v24, v100, v93, s0
	v_cvt_f32_f16_e32 v36, v36
	v_cvt_f32_f16_e32 v37, v37
	v_fmac_f32_e32 v46, v28, v31
	s_nop 0
	v_mfma_f32_16x16x16_f16 v[24:27], v[24:25], v[42:43], v[34:37]
	s_nop 2
	v_cvt_f32_f16_e32 v34, v44
	v_cvt_f32_f16_sdwa v35, v44 dst_sel:DWORD dst_unused:UNUSED_PAD src0_sel:WORD_1
	v_perm_b32 v44, v54, v51, s0
	v_cvt_f32_f16_e32 v36, v33
	v_cvt_f32_f16_sdwa v37, v33 dst_sel:DWORD dst_unused:UNUSED_PAD src0_sel:WORD_1
	s_nop 1
	v_mfma_f32_16x16x16_f16 v[30:33], v[44:45], v[40:41], v[34:37]
	s_nop 2
	v_perm_b32 v35, v87, v77, s0
	v_perm_b32 v34, v101, v94, s0
	s_nop 2
	v_cvt_f16_f32_e32 v28, v30
	v_cvt_f16_f32_e32 v31, v31
	;; [unrolled: 1-line block ×4, first 2 shown]
	ds_bpermute_b32 v36, v29, v46
	v_cvt_f32_f16_e32 v30, v28
	v_cvt_f32_f16_e32 v31, v31
	v_cvt_f32_f16_e32 v32, v32
	v_cvt_f32_f16_e32 v33, v33
	v_cmp_gt_u32_e64 s[0:1], 16, v56
	s_nop 0
	v_mfma_f32_16x16x16_f16 v[28:31], v[34:35], v[42:43], v[30:33]
	s_waitcnt lgkmcnt(0)
	s_nop 1
	v_add_f32_e32 v32, v46, v36
	ds_bpermute_b32 v33, v38, v32
	s_and_saveexec_b64 s[4:5], s[0:1]
	s_cbranch_execz .LBB24_318
; %bb.317:
	s_waitcnt lgkmcnt(0)
	v_add_f32_e32 v32, v32, v33
	v_or_b32_e32 v33, v60, v56
	s_movk_i32 s2, 0x110
	v_mad_i32_i24 v33, v33, s2, 0
	ds_write2_b32 v33, v39, v32 offset0:64 offset1:65
.LBB24_318:
	s_or_b64 exec, exec, s[4:5]
	v_and_b32_e32 v32, 1, v79
	v_cmp_eq_u32_e32 vcc, 0, v32
	v_cmp_eq_u32_e64 s[4:5], 1, v32
	s_waitcnt lgkmcnt(0)
	s_barrier
	s_and_saveexec_b64 s[2:3], s[4:5]
	s_xor_b64 s[4:5], exec, s[2:3]
	s_cbranch_execz .LBB24_320
; %bb.319:
	s_barrier
                                        ; implicit-def: $vgpr81
                                        ; implicit-def: $vgpr38
.LBB24_320:
	s_andn2_saveexec_b64 s[6:7], s[4:5]
	s_cbranch_execz .LBB24_326
; %bb.321:
	v_and_b32_e32 v32, 31, v56
	v_add_u32_e32 v33, v60, v32
	s_movk_i32 s2, 0x110
	v_mad_i32_i24 v32, v33, s2, 0
	ds_read_b64 v[36:37], v32 offset:256
	s_mov_b32 s2, 0x3fb8aa3b
	s_mov_b32 s3, 0x42b17218
	s_waitcnt lgkmcnt(0)
	s_barrier
	ds_bpermute_b32 v32, v38, v36
	v_max_f32_e32 v34, v36, v36
	s_waitcnt lgkmcnt(0)
	v_max_f32_e32 v32, v32, v32
	v_max_f32_e32 v32, v34, v32
	v_sub_f32_e32 v34, v36, v32
	v_mul_f32_e32 v35, 0x3fb8aa3b, v34
	v_fma_f32 v36, v34, s2, -v35
	v_rndne_f32_e32 v39, v35
	v_fmamk_f32 v36, v34, 0x32a5705f, v36
	v_sub_f32_e32 v35, v35, v39
	v_add_f32_e32 v35, v35, v36
	v_cvt_i32_f32_e32 v39, v39
	v_exp_f32_e32 v35, v35
	s_mov_b32 s2, 0xc2ce8ed0
	v_cmp_ngt_f32_e64 s[4:5], s2, v34
	v_mov_b32_e32 v36, 0x7f800000
	v_ldexp_f32 v35, v35, v39
	v_cndmask_b32_e64 v35, 0, v35, s[4:5]
	v_cmp_nlt_f32_e64 s[4:5], s3, v34
	s_nop 1
	v_cndmask_b32_e64 v34, v36, v35, s[4:5]
	v_mul_f32_e32 v35, v37, v34
	ds_bpermute_b32 v35, v38, v35
	v_cmp_gt_u32_e64 s[4:5], 32, v56
	s_waitcnt lgkmcnt(0)
	v_fmac_f32_e32 v35, v37, v34
	s_and_saveexec_b64 s[8:9], s[4:5]
; %bb.322:
	v_mul_i32_i24_e32 v33, 0x110, v33
	v_add_u32_e32 v33, 0, v33
	ds_write_b64 v33, v[34:35] offset:256
; %bb.323:
	s_or_b64 exec, exec, s[8:9]
	s_and_saveexec_b64 s[4:5], s[0:1]
	s_cbranch_execz .LBB24_325
; %bb.324:
	s_add_i32 s0, s57, s56
	s_lshl_b32 s0, s0, 5
	s_mov_b32 s1, 0
	s_lshl_b64 s[0:1], s[0:1], 3
	s_add_u32 s0, s30, s0
	v_or_b32_e32 v33, v81, v56
	s_addc_u32 s1, s31, s1
	v_lshlrev_b32_e32 v34, 3, v33
	v_mov_b32_e32 v33, v35
	global_store_dwordx2 v34, v[32:33], s[0:1]
.LBB24_325:
	s_or_b64 exec, exec, s[4:5]
.LBB24_326:
	s_or_b64 exec, exec, s[6:7]
	v_cvt_pk_f16_f32 v2, v2, v3
	v_cvt_pk_f16_f32 v3, v4, v5
	;; [unrolled: 1-line block ×4, first 2 shown]
	v_or_b32_e32 v16, v60, v58
	v_mul_i32_i24_e32 v16, 0x110, v16
	v_cvt_pk_f16_f32 v0, v0, v1
	s_mov_b32 s3, 0
	s_movk_i32 s4, 0x110
	v_add3_u32 v16, 0, v59, v16
	v_cvt_pk_f16_f32 v1, v6, v7
	v_cvt_pk_f16_f32 v4, v10, v11
	v_cvt_pk_f16_f32 v6, v14, v15
	v_cvt_pk_f16_f32 v7, v12, v13
	v_cvt_pk_f16_f32 v8, v18, v19
	v_cvt_pk_f16_f32 v10, v22, v23
	v_cvt_pk_f16_f32 v11, v20, v21
	v_cvt_pk_f16_f32 v12, v26, v27
	v_cvt_pk_f16_f32 v13, v24, v25
	v_cvt_pk_f16_f32 v14, v30, v31
	v_cvt_pk_f16_f32 v15, v28, v29
	ds_write2_b32 v16, v0, v2 offset1:1
	ds_write2_b32 v16, v3, v1 offset0:8 offset1:9
	ds_write2_b32 v16, v5, v4 offset0:16 offset1:17
	;; [unrolled: 1-line block ×7, first 2 shown]
	s_waitcnt lgkmcnt(0)
	s_barrier
	s_and_saveexec_b64 s[0:1], vcc
	s_cbranch_execz .LBB24_328
; %bb.327:
	s_lshl_b32 s2, s56, 11
	s_lshl_b64 s[6:7], s[2:3], 3
	s_add_u32 s5, s30, s6
	s_addc_u32 s6, s31, s7
	s_lshl_b32 s2, s57, 6
	s_lshl_b64 s[2:3], s[2:3], 3
	s_add_u32 s2, s5, s2
	v_bfe_u32 v7, v79, 1, 4
	s_movk_i32 s5, 0x3e0
	v_and_or_b32 v2, v79, s5, v7
	v_mad_u32_u24 v0, v2, s4, v57
	ds_read2st64_b32 v[0:1], v0 offset1:17
	v_mad_u32_u24 v2, v2, s4, 0
	ds_read2st64_b32 v[2:3], v2 offset0:1 offset1:18
	v_lshrrev_b32_e32 v6, 1, v79
	s_movk_i32 s5, 0x7e0
	s_waitcnt lgkmcnt(1)
	v_cvt_f32_f16_e32 v4, v0
	v_cvt_f32_f16_sdwa v5, v0 dst_sel:DWORD dst_unused:UNUSED_PAD src0_sel:WORD_1
	v_cvt_f32_f16_e32 v0, v1
	v_cvt_f32_f16_sdwa v1, v1 dst_sel:DWORD dst_unused:UNUSED_PAD src0_sel:WORD_1
	v_lshlrev_b32_e32 v8, 5, v79
	s_waitcnt lgkmcnt(0)
	v_pk_fma_f32 v[4:5], v[2:3], v[4:5], 0 op_sel_hi:[0,1,0]
	v_mov_b32_e32 v2, v3
	v_pk_fma_f32 v[0:1], v[2:3], v[0:1], v[4:5] op_sel_hi:[0,1,1]
	v_add_u32_e32 v4, 2, v6
	v_lshlrev_b32_e32 v2, 1, v4
	v_and_b32_e32 v3, 15, v4
	v_and_or_b32 v5, v2, s5, v3
	v_mad_u32_u24 v2, v5, s4, v57
	ds_read2st64_b32 v[2:3], v2 offset1:17
	s_addc_u32 s3, s6, s3
	v_add_lshl_u32 v8, v8, v56, 3
	global_store_dwordx2 v8, v[0:1], s[2:3]
	v_mad_u32_u24 v0, v5, s4, 0
	ds_read2st64_b32 v[0:1], v0 offset0:1 offset1:18
	v_lshlrev_b32_e32 v8, 6, v4
	s_waitcnt lgkmcnt(1)
	v_cvt_f32_f16_e32 v4, v2
	v_cvt_f32_f16_sdwa v5, v2 dst_sel:DWORD dst_unused:UNUSED_PAD src0_sel:WORD_1
	v_cvt_f32_f16_e32 v2, v3
	v_cvt_f32_f16_sdwa v3, v3 dst_sel:DWORD dst_unused:UNUSED_PAD src0_sel:WORD_1
	v_add_lshl_u32 v8, v8, v56, 3
	s_waitcnt lgkmcnt(0)
	v_pk_fma_f32 v[4:5], v[0:1], v[4:5], 0 op_sel_hi:[0,1,0]
	v_mov_b32_e32 v0, v1
	v_pk_fma_f32 v[0:1], v[0:1], v[2:3], v[4:5] op_sel_hi:[0,1,1]
	v_add_u32_e32 v4, 4, v6
	v_lshlrev_b32_e32 v2, 1, v4
	v_and_b32_e32 v3, 15, v4
	v_and_or_b32 v5, v2, s5, v3
	v_mad_u32_u24 v2, v5, s4, v57
	ds_read2st64_b32 v[2:3], v2 offset1:17
	global_store_dwordx2 v8, v[0:1], s[2:3]
	v_mad_u32_u24 v0, v5, s4, 0
	ds_read2st64_b32 v[0:1], v0 offset0:1 offset1:18
	v_lshlrev_b32_e32 v8, 6, v4
	s_waitcnt lgkmcnt(1)
	v_cvt_f32_f16_e32 v4, v2
	v_cvt_f32_f16_sdwa v5, v2 dst_sel:DWORD dst_unused:UNUSED_PAD src0_sel:WORD_1
	v_cvt_f32_f16_e32 v2, v3
	v_cvt_f32_f16_sdwa v3, v3 dst_sel:DWORD dst_unused:UNUSED_PAD src0_sel:WORD_1
	v_add_lshl_u32 v8, v8, v56, 3
	s_waitcnt lgkmcnt(0)
	v_pk_fma_f32 v[4:5], v[0:1], v[4:5], 0 op_sel_hi:[0,1,0]
	v_mov_b32_e32 v0, v1
	v_pk_fma_f32 v[0:1], v[0:1], v[2:3], v[4:5] op_sel_hi:[0,1,1]
	v_add_u32_e32 v4, 6, v6
	v_lshlrev_b32_e32 v2, 1, v4
	v_and_b32_e32 v3, 15, v4
	v_and_or_b32 v5, v2, s5, v3
	v_mad_u32_u24 v2, v5, s4, v57
	ds_read2st64_b32 v[2:3], v2 offset1:17
	;; [unrolled: 20-line block ×6, first 2 shown]
	global_store_dwordx2 v8, v[0:1], s[2:3]
	v_mad_u32_u24 v0, v5, s4, 0
	ds_read2st64_b32 v[0:1], v0 offset0:1 offset1:18
	v_lshlrev_b32_e32 v8, 6, v4
	s_waitcnt lgkmcnt(1)
	v_cvt_f32_f16_e32 v4, v2
	v_cvt_f32_f16_sdwa v5, v2 dst_sel:DWORD dst_unused:UNUSED_PAD src0_sel:WORD_1
	v_cvt_f32_f16_e32 v2, v3
	v_cvt_f32_f16_sdwa v3, v3 dst_sel:DWORD dst_unused:UNUSED_PAD src0_sel:WORD_1
	v_add_lshl_u32 v8, v8, v56, 3
	s_waitcnt lgkmcnt(0)
	v_pk_fma_f32 v[4:5], v[0:1], v[4:5], 0 op_sel_hi:[0,1,0]
	v_mov_b32_e32 v0, v1
	v_pk_fma_f32 v[0:1], v[0:1], v[2:3], v[4:5] op_sel_hi:[0,1,1]
	v_add_u32_e32 v4, 16, v6
	v_lshlrev_b32_e32 v2, 1, v4
	v_and_or_b32 v5, v2, s5, v7
	v_mad_u32_u24 v2, v5, s4, v57
	ds_read2st64_b32 v[2:3], v2 offset1:17
	global_store_dwordx2 v8, v[0:1], s[2:3]
	v_mad_u32_u24 v0, v5, s4, 0
	ds_read2st64_b32 v[0:1], v0 offset0:1 offset1:18
	v_lshlrev_b32_e32 v7, 6, v4
	s_waitcnt lgkmcnt(1)
	v_cvt_f32_f16_e32 v4, v2
	v_cvt_f32_f16_sdwa v5, v2 dst_sel:DWORD dst_unused:UNUSED_PAD src0_sel:WORD_1
	v_cvt_f32_f16_e32 v2, v3
	v_cvt_f32_f16_sdwa v3, v3 dst_sel:DWORD dst_unused:UNUSED_PAD src0_sel:WORD_1
	v_add_lshl_u32 v7, v7, v56, 3
	s_waitcnt lgkmcnt(0)
	v_pk_fma_f32 v[4:5], v[0:1], v[4:5], 0 op_sel_hi:[0,1,0]
	v_mov_b32_e32 v0, v1
	v_pk_fma_f32 v[0:1], v[0:1], v[2:3], v[4:5] op_sel_hi:[0,1,1]
	v_add_u32_e32 v4, 18, v6
	v_lshlrev_b32_e32 v2, 1, v4
	v_and_b32_e32 v3, 15, v4
	v_and_or_b32 v5, v2, s5, v3
	v_mad_u32_u24 v2, v5, s4, v57
	ds_read2st64_b32 v[2:3], v2 offset1:17
	global_store_dwordx2 v7, v[0:1], s[2:3]
	v_mad_u32_u24 v0, v5, s4, 0
	ds_read2st64_b32 v[0:1], v0 offset0:1 offset1:18
	v_lshlrev_b32_e32 v7, 6, v4
	s_waitcnt lgkmcnt(1)
	v_cvt_f32_f16_e32 v4, v2
	v_cvt_f32_f16_sdwa v5, v2 dst_sel:DWORD dst_unused:UNUSED_PAD src0_sel:WORD_1
	v_cvt_f32_f16_e32 v2, v3
	v_cvt_f32_f16_sdwa v3, v3 dst_sel:DWORD dst_unused:UNUSED_PAD src0_sel:WORD_1
	v_add_lshl_u32 v7, v7, v56, 3
	s_waitcnt lgkmcnt(0)
	v_pk_fma_f32 v[4:5], v[0:1], v[4:5], 0 op_sel_hi:[0,1,0]
	v_mov_b32_e32 v0, v1
	v_pk_fma_f32 v[0:1], v[0:1], v[2:3], v[4:5] op_sel_hi:[0,1,1]
	v_add_u32_e32 v4, 20, v6
	v_lshlrev_b32_e32 v2, 1, v4
	v_and_b32_e32 v3, 15, v4
	;; [unrolled: 20-line block ×7, first 2 shown]
	v_and_or_b32 v5, v2, s5, v3
	v_mad_u32_u24 v2, v5, s4, v57
	ds_read2st64_b32 v[2:3], v2 offset1:17
	global_store_dwordx2 v7, v[0:1], s[2:3]
	v_mad_u32_u24 v0, v5, s4, 0
	ds_read2st64_b32 v[0:1], v0 offset0:1 offset1:18
	v_lshlrev_b32_e32 v6, 6, v4
	s_waitcnt lgkmcnt(1)
	v_cvt_f32_f16_e32 v4, v2
	v_cvt_f32_f16_sdwa v5, v2 dst_sel:DWORD dst_unused:UNUSED_PAD src0_sel:WORD_1
	v_cvt_f32_f16_e32 v2, v3
	v_cvt_f32_f16_sdwa v3, v3 dst_sel:DWORD dst_unused:UNUSED_PAD src0_sel:WORD_1
	v_add_lshl_u32 v6, v6, v56, 3
	s_waitcnt lgkmcnt(0)
	v_pk_fma_f32 v[4:5], v[0:1], v[4:5], 0 op_sel_hi:[0,1,0]
	v_mov_b32_e32 v0, v1
	v_pk_fma_f32 v[0:1], v[0:1], v[2:3], v[4:5] op_sel_hi:[0,1,1]
	global_store_dwordx2 v6, v[0:1], s[2:3]
.LBB24_328:
	s_or_b64 exec, exec, s[0:1]
	s_barrier
	s_endpgm
	.section	.rodata,"a",@progbits
	.p2align	6, 0x0
	.amdhsa_kernel _ZL18flash_attn_ext_f16ILi128ELi128ELi8ELi4ELb0ELb0EEvPKcS1_S1_S1_S1_PKiPfP15HIP_vector_typeIfLj2EEffffjfiS5_IjLj3EEiiiiiiiiiiiliiliiiiil
		.amdhsa_group_segment_fixed_size 0
		.amdhsa_private_segment_fixed_size 0
		.amdhsa_kernarg_size 464
		.amdhsa_user_sgpr_count 2
		.amdhsa_user_sgpr_dispatch_ptr 0
		.amdhsa_user_sgpr_queue_ptr 0
		.amdhsa_user_sgpr_kernarg_segment_ptr 1
		.amdhsa_user_sgpr_dispatch_id 0
		.amdhsa_user_sgpr_kernarg_preload_length 0
		.amdhsa_user_sgpr_kernarg_preload_offset 0
		.amdhsa_user_sgpr_private_segment_size 0
		.amdhsa_uses_dynamic_stack 0
		.amdhsa_enable_private_segment 0
		.amdhsa_system_sgpr_workgroup_id_x 1
		.amdhsa_system_sgpr_workgroup_id_y 0
		.amdhsa_system_sgpr_workgroup_id_z 0
		.amdhsa_system_sgpr_workgroup_info 0
		.amdhsa_system_vgpr_workitem_id 1
		.amdhsa_next_free_vgpr 216
		.amdhsa_next_free_sgpr 100
		.amdhsa_accum_offset 216
		.amdhsa_reserve_vcc 1
		.amdhsa_float_round_mode_32 0
		.amdhsa_float_round_mode_16_64 0
		.amdhsa_float_denorm_mode_32 3
		.amdhsa_float_denorm_mode_16_64 3
		.amdhsa_dx10_clamp 1
		.amdhsa_ieee_mode 1
		.amdhsa_fp16_overflow 0
		.amdhsa_tg_split 0
		.amdhsa_exception_fp_ieee_invalid_op 0
		.amdhsa_exception_fp_denorm_src 0
		.amdhsa_exception_fp_ieee_div_zero 0
		.amdhsa_exception_fp_ieee_overflow 0
		.amdhsa_exception_fp_ieee_underflow 0
		.amdhsa_exception_fp_ieee_inexact 0
		.amdhsa_exception_int_div_zero 0
	.end_amdhsa_kernel
	.section	.text._ZL18flash_attn_ext_f16ILi128ELi128ELi8ELi4ELb0ELb0EEvPKcS1_S1_S1_S1_PKiPfP15HIP_vector_typeIfLj2EEffffjfiS5_IjLj3EEiiiiiiiiiiiliiliiiiil,"axG",@progbits,_ZL18flash_attn_ext_f16ILi128ELi128ELi8ELi4ELb0ELb0EEvPKcS1_S1_S1_S1_PKiPfP15HIP_vector_typeIfLj2EEffffjfiS5_IjLj3EEiiiiiiiiiiiliiliiiiil,comdat
.Lfunc_end24:
	.size	_ZL18flash_attn_ext_f16ILi128ELi128ELi8ELi4ELb0ELb0EEvPKcS1_S1_S1_S1_PKiPfP15HIP_vector_typeIfLj2EEffffjfiS5_IjLj3EEiiiiiiiiiiiliiliiiiil, .Lfunc_end24-_ZL18flash_attn_ext_f16ILi128ELi128ELi8ELi4ELb0ELb0EEvPKcS1_S1_S1_S1_PKiPfP15HIP_vector_typeIfLj2EEffffjfiS5_IjLj3EEiiiiiiiiiiiliiliiiiil
                                        ; -- End function
	.set _ZL18flash_attn_ext_f16ILi128ELi128ELi8ELi4ELb0ELb0EEvPKcS1_S1_S1_S1_PKiPfP15HIP_vector_typeIfLj2EEffffjfiS5_IjLj3EEiiiiiiiiiiiliiliiiiil.num_vgpr, 216
	.set _ZL18flash_attn_ext_f16ILi128ELi128ELi8ELi4ELb0ELb0EEvPKcS1_S1_S1_S1_PKiPfP15HIP_vector_typeIfLj2EEffffjfiS5_IjLj3EEiiiiiiiiiiiliiliiiiil.num_agpr, 0
	.set _ZL18flash_attn_ext_f16ILi128ELi128ELi8ELi4ELb0ELb0EEvPKcS1_S1_S1_S1_PKiPfP15HIP_vector_typeIfLj2EEffffjfiS5_IjLj3EEiiiiiiiiiiiliiliiiiil.numbered_sgpr, 100
	.set _ZL18flash_attn_ext_f16ILi128ELi128ELi8ELi4ELb0ELb0EEvPKcS1_S1_S1_S1_PKiPfP15HIP_vector_typeIfLj2EEffffjfiS5_IjLj3EEiiiiiiiiiiiliiliiiiil.num_named_barrier, 0
	.set _ZL18flash_attn_ext_f16ILi128ELi128ELi8ELi4ELb0ELb0EEvPKcS1_S1_S1_S1_PKiPfP15HIP_vector_typeIfLj2EEffffjfiS5_IjLj3EEiiiiiiiiiiiliiliiiiil.private_seg_size, 0
	.set _ZL18flash_attn_ext_f16ILi128ELi128ELi8ELi4ELb0ELb0EEvPKcS1_S1_S1_S1_PKiPfP15HIP_vector_typeIfLj2EEffffjfiS5_IjLj3EEiiiiiiiiiiiliiliiiiil.uses_vcc, 1
	.set _ZL18flash_attn_ext_f16ILi128ELi128ELi8ELi4ELb0ELb0EEvPKcS1_S1_S1_S1_PKiPfP15HIP_vector_typeIfLj2EEffffjfiS5_IjLj3EEiiiiiiiiiiiliiliiiiil.uses_flat_scratch, 0
	.set _ZL18flash_attn_ext_f16ILi128ELi128ELi8ELi4ELb0ELb0EEvPKcS1_S1_S1_S1_PKiPfP15HIP_vector_typeIfLj2EEffffjfiS5_IjLj3EEiiiiiiiiiiiliiliiiiil.has_dyn_sized_stack, 0
	.set _ZL18flash_attn_ext_f16ILi128ELi128ELi8ELi4ELb0ELb0EEvPKcS1_S1_S1_S1_PKiPfP15HIP_vector_typeIfLj2EEffffjfiS5_IjLj3EEiiiiiiiiiiiliiliiiiil.has_recursion, 0
	.set _ZL18flash_attn_ext_f16ILi128ELi128ELi8ELi4ELb0ELb0EEvPKcS1_S1_S1_S1_PKiPfP15HIP_vector_typeIfLj2EEffffjfiS5_IjLj3EEiiiiiiiiiiiliiliiiiil.has_indirect_call, 0
	.section	.AMDGPU.csdata,"",@progbits
; Kernel info:
; codeLenInByte = 44300
; TotalNumSgprs: 106
; NumVgprs: 216
; NumAgprs: 0
; TotalNumVgprs: 216
; ScratchSize: 0
; MemoryBound: 0
; FloatMode: 240
; IeeeMode: 1
; LDSByteSize: 0 bytes/workgroup (compile time only)
; SGPRBlocks: 13
; VGPRBlocks: 26
; NumSGPRsForWavesPerEU: 106
; NumVGPRsForWavesPerEU: 216
; AccumOffset: 216
; Occupancy: 2
; WaveLimiterHint : 0
; COMPUTE_PGM_RSRC2:SCRATCH_EN: 0
; COMPUTE_PGM_RSRC2:USER_SGPR: 2
; COMPUTE_PGM_RSRC2:TRAP_HANDLER: 0
; COMPUTE_PGM_RSRC2:TGID_X_EN: 1
; COMPUTE_PGM_RSRC2:TGID_Y_EN: 0
; COMPUTE_PGM_RSRC2:TGID_Z_EN: 0
; COMPUTE_PGM_RSRC2:TIDIG_COMP_CNT: 1
; COMPUTE_PGM_RSRC3_GFX90A:ACCUM_OFFSET: 53
; COMPUTE_PGM_RSRC3_GFX90A:TG_SPLIT: 0
	.section	.text._ZL18flash_attn_ext_f16ILi128ELi128ELi8ELi4ELb1ELb0EEvPKcS1_S1_S1_S1_PKiPfP15HIP_vector_typeIfLj2EEffffjfiS5_IjLj3EEiiiiiiiiiiiliiliiiiil,"axG",@progbits,_ZL18flash_attn_ext_f16ILi128ELi128ELi8ELi4ELb1ELb0EEvPKcS1_S1_S1_S1_PKiPfP15HIP_vector_typeIfLj2EEffffjfiS5_IjLj3EEiiiiiiiiiiiliiliiiiil,comdat
	.globl	_ZL18flash_attn_ext_f16ILi128ELi128ELi8ELi4ELb1ELb0EEvPKcS1_S1_S1_S1_PKiPfP15HIP_vector_typeIfLj2EEffffjfiS5_IjLj3EEiiiiiiiiiiiliiliiiiil ; -- Begin function _ZL18flash_attn_ext_f16ILi128ELi128ELi8ELi4ELb1ELb0EEvPKcS1_S1_S1_S1_PKiPfP15HIP_vector_typeIfLj2EEffffjfiS5_IjLj3EEiiiiiiiiiiiliiliiiiil
	.p2align	8
	.type	_ZL18flash_attn_ext_f16ILi128ELi128ELi8ELi4ELb1ELb0EEvPKcS1_S1_S1_S1_PKiPfP15HIP_vector_typeIfLj2EEffffjfiS5_IjLj3EEiiiiiiiiiiiliiliiiiil,@function
_ZL18flash_attn_ext_f16ILi128ELi128ELi8ELi4ELb1ELb0EEvPKcS1_S1_S1_S1_PKiPfP15HIP_vector_typeIfLj2EEffffjfiS5_IjLj3EEiiiiiiiiiiiliiliiiiil: ; @_ZL18flash_attn_ext_f16ILi128ELi128ELi8ELi4ELb1ELb0EEvPKcS1_S1_S1_S1_PKiPfP15HIP_vector_typeIfLj2EEffffjfiS5_IjLj3EEiiiiiiiiiiiliiliiiiil
; %bb.0:
	s_mov_b32 s33, s2
	s_load_dwordx2 s[2:3], s[0:1], 0x80
	s_load_dwordx4 s[36:39], s[0:1], 0x64
	s_load_dword s51, s[0:1], 0xd0
                                        ; implicit-def: $vgpr212 : SGPR spill to VGPR lane
	s_mov_b32 s6, 0
	s_waitcnt lgkmcnt(0)
	s_abs_i32 s4, s3
	v_cvt_f32_u32_e32 v1, s4
	s_sub_i32 s8, 0, s4
	s_abs_i32 s7, s37
	s_xor_b32 s5, s37, s3
	v_rcp_iflag_f32_e32 v1, v1
	s_ashr_i32 s5, s5, 31
	v_mul_f32_e32 v1, 0x4f7ffffe, v1
	v_cvt_u32_f32_e32 v1, v1
	s_nop 0
	v_readfirstlane_b32 s9, v1
	s_mul_i32 s8, s8, s9
	s_mul_hi_u32 s8, s9, s8
	s_add_i32 s9, s9, s8
	s_mul_hi_u32 s8, s7, s9
	s_mul_i32 s9, s8, s4
	s_sub_i32 s7, s7, s9
	s_add_i32 s10, s8, 1
	s_sub_i32 s9, s7, s4
	s_cmp_ge_u32 s7, s4
	s_cselect_b32 s8, s10, s8
	s_cselect_b32 s7, s9, s7
	s_add_i32 s9, s8, 1
	s_cmp_ge_u32 s7, s4
	s_cselect_b32 s4, s9, s8
	s_add_i32 s2, s2, 63
	s_xor_b32 s4, s4, s5
	s_ashr_i32 s7, s2, 31
	s_sub_i32 s86, s4, s5
	s_lshr_b32 s4, s7, 26
	s_add_i32 s2, s2, s4
	s_ashr_i32 s91, s2, 6
	s_add_i32 s2, s36, 7
	s_lshr_b32 s5, s2, 3
	s_add_i32 s2, s86, 3
	s_ashr_i32 s4, s2, 31
	s_lshr_b32 s4, s4, 30
	s_add_i32 s2, s2, s4
	s_ashr_i32 s2, s2, 2
	s_mul_i32 s88, s5, s91
	s_mul_i32 s89, s88, s2
	s_mul_i32 s90, s89, s3
	s_mul_i32 s2, s90, s38
	s_ashr_i32 s3, s2, 31
	v_writelane_b32 v212, s5, 0
	s_mul_i32 s4, s3, s33
	s_mul_hi_u32 s5, s2, s33
	s_add_i32 s7, s5, s4
	s_cmp_lg_u64 s[6:7], 0
	s_mul_i32 s6, s2, s33
	s_cbranch_scc0 .LBB25_439
; %bb.1:
	s_add_u32 s4, s51, 0
	s_addc_u32 s5, 0, 0
	s_xor_b64 s[8:9], s[4:5], 0
	v_cvt_f32_u32_e32 v1, s8
	v_cvt_f32_u32_e32 v2, s9
	s_sub_u32 s12, 0, s8
	s_subb_u32 s13, 0, s9
	v_fmamk_f32 v1, v2, 0x4f800000, v1
	v_rcp_f32_e32 v1, v1
	s_nop 0
	v_mul_f32_e32 v1, 0x5f7ffffc, v1
	v_mul_f32_e32 v2, 0x2f800000, v1
	v_trunc_f32_e32 v2, v2
	v_fmamk_f32 v1, v2, 0xcf800000, v1
	v_cvt_u32_f32_e32 v2, v2
	v_cvt_u32_f32_e32 v1, v1
	v_readfirstlane_b32 s14, v2
	v_readfirstlane_b32 s10, v1
	s_mul_i32 s11, s12, s14
	s_mul_hi_u32 s16, s12, s10
	s_mul_i32 s15, s13, s10
	s_add_i32 s11, s16, s11
	s_add_i32 s11, s11, s15
	s_mul_i32 s17, s12, s10
	s_mul_i32 s16, s10, s11
	s_mul_hi_u32 s18, s10, s17
	s_mul_hi_u32 s15, s10, s11
	s_add_u32 s16, s18, s16
	s_addc_u32 s15, 0, s15
	s_mul_hi_u32 s19, s14, s17
	s_mul_i32 s17, s14, s17
	s_add_u32 s16, s16, s17
	s_mul_hi_u32 s18, s14, s11
	s_addc_u32 s15, s15, s19
	s_addc_u32 s16, s18, 0
	s_mul_i32 s11, s14, s11
	s_add_u32 s11, s15, s11
	s_addc_u32 s15, 0, s16
	s_add_u32 s16, s10, s11
	s_cselect_b64 s[10:11], -1, 0
	s_cmp_lg_u64 s[10:11], 0
	s_addc_u32 s14, s14, s15
	s_mul_i32 s10, s12, s14
	s_mul_hi_u32 s11, s12, s16
	s_add_i32 s10, s11, s10
	s_mul_i32 s13, s13, s16
	s_add_i32 s10, s10, s13
	s_mul_i32 s12, s12, s16
	s_mul_hi_u32 s13, s14, s12
	s_mul_i32 s15, s14, s12
	s_mul_i32 s18, s16, s10
	s_mul_hi_u32 s12, s16, s12
	s_mul_hi_u32 s17, s16, s10
	s_add_u32 s12, s12, s18
	s_addc_u32 s17, 0, s17
	s_add_u32 s12, s12, s15
	s_mul_hi_u32 s11, s14, s10
	s_addc_u32 s12, s17, s13
	s_addc_u32 s11, s11, 0
	s_mul_i32 s10, s14, s10
	s_add_u32 s10, s12, s10
	s_addc_u32 s12, 0, s11
	s_add_u32 s15, s16, s10
	s_cselect_b64 s[10:11], -1, 0
	s_cmp_lg_u64 s[10:11], 0
	s_addc_u32 s14, s14, s12
	s_ashr_i32 s10, s7, 31
	s_add_u32 s12, s6, s10
	s_mov_b32 s11, s10
	s_addc_u32 s13, s7, s10
	s_xor_b64 s[12:13], s[12:13], s[10:11]
	s_mul_i32 s16, s12, s14
	s_mul_hi_u32 s17, s12, s15
	s_mul_hi_u32 s7, s12, s14
	s_add_u32 s16, s17, s16
	s_addc_u32 s7, 0, s7
	s_mul_hi_u32 s18, s13, s15
	s_mul_i32 s15, s13, s15
	s_add_u32 s15, s16, s15
	s_mul_hi_u32 s17, s13, s14
	s_addc_u32 s7, s7, s18
	s_addc_u32 s15, s17, 0
	s_mul_i32 s14, s13, s14
	s_add_u32 s7, s7, s14
	s_addc_u32 s18, 0, s15
	s_mul_i32 s14, s8, s18
	s_mul_hi_u32 s15, s8, s7
	s_add_i32 s14, s15, s14
	s_mul_i32 s15, s9, s7
	s_add_i32 s19, s14, s15
	s_sub_i32 s16, s13, s19
	s_mul_i32 s14, s8, s7
	s_sub_u32 s12, s12, s14
	s_cselect_b64 s[14:15], -1, 0
	s_cmp_lg_u64 s[14:15], 0
	s_subb_u32 s20, s16, s9
	s_sub_u32 s21, s12, s8
	s_cselect_b64 s[16:17], -1, 0
	s_cmp_lg_u64 s[16:17], 0
	s_subb_u32 s16, s20, 0
	s_cmp_ge_u32 s16, s9
	s_cselect_b32 s17, -1, 0
	s_cmp_ge_u32 s21, s8
	s_cselect_b32 s20, -1, 0
	s_cmp_eq_u32 s16, s9
	s_cselect_b32 s16, s20, s17
	s_add_u32 s17, s7, 1
	s_addc_u32 s20, s18, 0
	s_add_u32 s21, s7, 2
	s_addc_u32 s22, s18, 0
	s_cmp_lg_u32 s16, 0
	s_cselect_b32 s16, s21, s17
	s_cselect_b32 s17, s22, s20
	s_cmp_lg_u64 s[14:15], 0
	s_subb_u32 s13, s13, s19
	s_cmp_ge_u32 s13, s9
	s_cselect_b32 s14, -1, 0
	s_cmp_ge_u32 s12, s8
	s_cselect_b32 s8, -1, 0
	s_cmp_eq_u32 s13, s9
	s_cselect_b32 s8, s8, s14
	s_cmp_lg_u32 s8, 0
	s_cselect_b32 s9, s17, s18
	s_cselect_b32 s8, s16, s7
	s_xor_b64 s[10:11], s[10:11], 0
	s_xor_b64 s[8:9], s[8:9], s[10:11]
	s_sub_u32 s54, s8, s10
	s_load_dwordx2 s[52:53], s[0:1], 0x74
	v_cvt_f32_u32_e32 v1, s51
	s_cbranch_execnz .LBB25_3
.LBB25_2:
	v_rcp_iflag_f32_e32 v2, v1
	s_sub_i32 s4, 0, s51
	v_mul_f32_e32 v2, 0x4f7ffffe, v2
	v_cvt_u32_f32_e32 v2, v2
	s_nop 0
	v_readfirstlane_b32 s5, v2
	s_mul_i32 s4, s4, s5
	s_mul_hi_u32 s4, s5, s4
	s_add_i32 s5, s5, s4
	s_mul_hi_u32 s4, s6, s5
	s_mul_i32 s7, s4, s51
	s_sub_i32 s6, s6, s7
	s_add_i32 s5, s4, 1
	s_sub_i32 s7, s6, s51
	s_cmp_ge_u32 s6, s51
	s_cselect_b32 s4, s5, s4
	s_cselect_b32 s6, s7, s6
	s_add_i32 s5, s4, 1
	s_cmp_ge_u32 s6, s51
	s_cselect_b32 s54, s5, s4
.LBB25_3:
	s_add_i32 s4, s33, 1
	s_mul_i32 s3, s3, s4
	s_mul_hi_u32 s5, s2, s4
	s_add_i32 s9, s5, s3
	s_mov_b32 s8, 0
	s_cmp_lg_u64 s[8:9], 0
	s_mul_i32 s2, s2, s4
	s_cbranch_scc0 .LBB25_440
; %bb.4:
	s_add_u32 s4, s51, 0
	s_addc_u32 s5, 0, 0
	s_xor_b64 s[6:7], s[4:5], 0
	v_cvt_f32_u32_e32 v2, s6
	v_cvt_f32_u32_e32 v3, s7
	s_sub_u32 s3, 0, s6
	s_subb_u32 s8, 0, s7
	v_fmamk_f32 v2, v3, 0x4f800000, v2
	v_rcp_f32_e32 v2, v2
	s_nop 0
	v_mul_f32_e32 v2, 0x5f7ffffc, v2
	v_mul_f32_e32 v3, 0x2f800000, v2
	v_trunc_f32_e32 v3, v3
	v_fmamk_f32 v2, v3, 0xcf800000, v2
	v_cvt_u32_f32_e32 v3, v3
	v_cvt_u32_f32_e32 v2, v2
	v_readfirstlane_b32 s12, v3
	v_readfirstlane_b32 s10, v2
	s_mul_i32 s11, s3, s12
	s_mul_hi_u32 s14, s3, s10
	s_mul_i32 s13, s8, s10
	s_add_i32 s11, s14, s11
	s_add_i32 s11, s11, s13
	s_mul_i32 s15, s3, s10
	s_mul_i32 s14, s10, s11
	s_mul_hi_u32 s16, s10, s15
	s_mul_hi_u32 s13, s10, s11
	s_add_u32 s14, s16, s14
	s_addc_u32 s13, 0, s13
	s_mul_hi_u32 s17, s12, s15
	s_mul_i32 s15, s12, s15
	s_add_u32 s14, s14, s15
	s_mul_hi_u32 s16, s12, s11
	s_addc_u32 s13, s13, s17
	s_addc_u32 s14, s16, 0
	s_mul_i32 s11, s12, s11
	s_add_u32 s11, s13, s11
	s_addc_u32 s13, 0, s14
	s_add_u32 s14, s10, s11
	s_cselect_b64 s[10:11], -1, 0
	s_cmp_lg_u64 s[10:11], 0
	s_addc_u32 s12, s12, s13
	s_mul_i32 s10, s3, s12
	s_mul_hi_u32 s11, s3, s14
	s_add_i32 s10, s11, s10
	s_mul_i32 s8, s8, s14
	s_add_i32 s10, s10, s8
	s_mul_i32 s3, s3, s14
	s_mul_hi_u32 s11, s12, s3
	s_mul_i32 s13, s12, s3
	s_mul_i32 s16, s14, s10
	s_mul_hi_u32 s3, s14, s3
	s_mul_hi_u32 s15, s14, s10
	s_add_u32 s3, s3, s16
	s_addc_u32 s15, 0, s15
	s_add_u32 s3, s3, s13
	s_mul_hi_u32 s8, s12, s10
	s_addc_u32 s3, s15, s11
	s_addc_u32 s8, s8, 0
	s_mul_i32 s10, s12, s10
	s_add_u32 s3, s3, s10
	s_addc_u32 s8, 0, s8
	s_add_u32 s3, s14, s3
	s_cselect_b64 s[10:11], -1, 0
	s_cmp_lg_u64 s[10:11], 0
	s_addc_u32 s12, s12, s8
	s_ashr_i32 s10, s9, 31
	s_add_u32 s8, s2, s10
	s_mov_b32 s11, s10
	s_addc_u32 s9, s9, s10
	s_xor_b64 s[8:9], s[8:9], s[10:11]
	s_mul_i32 s14, s8, s12
	s_mul_hi_u32 s15, s8, s3
	s_mul_hi_u32 s13, s8, s12
	s_add_u32 s14, s15, s14
	s_addc_u32 s13, 0, s13
	s_mul_hi_u32 s16, s9, s3
	s_mul_i32 s3, s9, s3
	s_add_u32 s3, s14, s3
	s_mul_hi_u32 s15, s9, s12
	s_addc_u32 s3, s13, s16
	s_addc_u32 s13, s15, 0
	s_mul_i32 s12, s9, s12
	s_add_u32 s3, s3, s12
	s_addc_u32 s16, 0, s13
	s_mul_i32 s12, s6, s16
	s_mul_hi_u32 s13, s6, s3
	s_add_i32 s12, s13, s12
	s_mul_i32 s13, s7, s3
	s_add_i32 s17, s12, s13
	s_sub_i32 s14, s9, s17
	s_mul_i32 s12, s6, s3
	s_sub_u32 s8, s8, s12
	s_cselect_b64 s[12:13], -1, 0
	s_cmp_lg_u64 s[12:13], 0
	s_subb_u32 s18, s14, s7
	s_sub_u32 s19, s8, s6
	s_cselect_b64 s[14:15], -1, 0
	s_cmp_lg_u64 s[14:15], 0
	s_subb_u32 s14, s18, 0
	s_cmp_ge_u32 s14, s7
	s_cselect_b32 s15, -1, 0
	s_cmp_ge_u32 s19, s6
	s_cselect_b32 s18, -1, 0
	s_cmp_eq_u32 s14, s7
	s_cselect_b32 s14, s18, s15
	s_add_u32 s15, s3, 1
	s_addc_u32 s18, s16, 0
	s_add_u32 s19, s3, 2
	s_addc_u32 s20, s16, 0
	s_cmp_lg_u32 s14, 0
	s_cselect_b32 s14, s19, s15
	s_cselect_b32 s15, s20, s18
	s_cmp_lg_u64 s[12:13], 0
	s_subb_u32 s9, s9, s17
	s_cmp_ge_u32 s9, s7
	s_cselect_b32 s12, -1, 0
	s_cmp_ge_u32 s8, s6
	s_cselect_b32 s6, -1, 0
	s_cmp_eq_u32 s9, s7
	s_cselect_b32 s6, s6, s12
	s_cmp_lg_u32 s6, 0
	s_cselect_b32 s7, s15, s16
	s_cselect_b32 s6, s14, s3
	s_xor_b64 s[8:9], s[10:11], 0
	s_xor_b64 s[6:7], s[6:7], s[8:9]
	s_sub_u32 s58, s6, s8
	s_load_dwordx2 s[44:45], s[0:1], 0x5c
	s_cbranch_execnz .LBB25_6
.LBB25_5:
	v_rcp_iflag_f32_e32 v1, v1
	s_sub_i32 s3, 0, s51
	v_mul_f32_e32 v1, 0x4f7ffffe, v1
	v_cvt_u32_f32_e32 v1, v1
	s_nop 0
	v_readfirstlane_b32 s4, v1
	s_mul_i32 s3, s3, s4
	s_mul_hi_u32 s3, s4, s3
	s_add_i32 s4, s4, s3
	s_mul_hi_u32 s3, s2, s4
	s_mul_i32 s5, s3, s51
	s_sub_i32 s2, s2, s5
	s_add_i32 s4, s3, 1
	s_sub_i32 s5, s2, s51
	s_cmp_ge_u32 s2, s51
	s_cselect_b32 s3, s4, s3
	s_cselect_b32 s2, s5, s2
	s_add_i32 s4, s3, 1
	s_cmp_ge_u32 s2, s51
	s_cselect_b32 s58, s4, s3
.LBB25_6:
	s_abs_i32 s92, s91
	v_cvt_f32_u32_e32 v1, s92
	s_load_dwordx16 s[16:31], s[0:1], 0x0
	s_load_dword s2, s[0:1], 0x40
	s_load_dword s3, s[0:1], 0x54
	s_load_dwordx2 s[4:5], s[0:1], 0x8c
	s_load_dwordx4 s[40:43], s[0:1], 0x98
	s_load_dwordx2 s[46:47], s[0:1], 0xa8
	s_load_dwordx2 s[12:13], s[0:1], 0xb8
	s_load_dwordx2 s[48:49], s[0:1], 0xc8
	s_waitcnt lgkmcnt(0)
	s_mov_b32 s1, s5
	s_ashr_i32 s34, s4, 2
	v_rcp_iflag_f32_e32 v1, v1
	s_sub_i32 s4, 0, s92
	v_writelane_b32 v212, s0, 1
	s_ashr_i32 s55, s39, 3
	v_mul_f32_e32 v1, 0x4f7ffffe, v1
	v_cvt_u32_f32_e32 v1, v1
	v_writelane_b32 v212, s1, 2
	s_ashr_i32 s1, s91, 31
	v_writelane_b32 v212, s1, 3
	v_readfirstlane_b32 s50, v1
	s_mul_i32 s4, s4, s50
	s_mul_hi_u32 s4, s50, s4
	s_abs_i32 s1, s54
	s_add_i32 s50, s50, s4
	s_mul_hi_u32 s4, s1, s50
	s_mul_i32 s4, s4, s92
	s_sub_i32 s1, s1, s4
	s_ashr_i32 s15, s52, 3
	s_ashr_i32 s38, s13, 1
	;; [unrolled: 1-line block ×4, first 2 shown]
	s_sub_i32 s4, s1, s92
	s_cmp_ge_u32 s1, s92
	s_cselect_b32 s1, s4, s1
	s_sub_i32 s4, s1, s92
	s_cmp_ge_u32 s1, s92
	s_cselect_b32 s1, s4, s1
	s_xor_b32 s1, s1, s0
	s_sub_i32 s82, s1, s0
	s_sub_i32 s0, s58, s54
	s_add_i32 s4, s0, s82
	s_min_i32 s97, s91, s4
	s_cmp_gt_i32 s58, s54
	s_cselect_b64 s[8:9], -1, 0
	s_cmp_le_i32 s58, s54
	s_cselect_b64 s[0:1], -1, 0
	s_cmp_gt_i32 s91, s4
	v_cvt_f16_f32_e32 v89, s2
	s_cselect_b64 s[4:5], -1, 0
	s_or_b64 s[0:1], s[4:5], s[0:1]
	v_bfe_u32 v51, v0, 10, 10
	s_mov_b32 s61, 0
	s_and_b64 vcc, exec, s[0:1]
	v_bfe_u32 v47, v0, 10, 2
	v_lshlrev_b32_e32 v75, 3, v51
	v_lshrrev_b32_e32 v91, 10, v0
	v_add_u32_e32 v87, 4, v51
	v_add_u32_e32 v85, 8, v51
	v_add_u32_e32 v83, 12, v51
	v_add_u32_e32 v81, 16, v51
	v_add_u32_e32 v79, 20, v51
	v_add_u32_e32 v49, 24, v51
	v_add_u32_e32 v1, 28, v51
	v_mbcnt_lo_u32_b32 v77, -1, 0
	s_cbranch_vccz .LBB25_9
; %bb.7:
	s_andn2_b64 vcc, exec, s[8:9]
	s_cbranch_vccz .LBB25_403
.LBB25_8:
	s_endpgm
.LBB25_9:
	v_and_b32_e32 v3, 0x7f0, v75
	s_movk_i32 s2, 0x110
	v_and_b32_e32 v5, 15, v0
	v_lshrrev_b32_e32 v7, 1, v0
	v_and_b32_e32 v46, 0x3ff, v0
	v_mad_u32_u24 v4, v3, s2, 0
	v_mul_u32_u24_e32 v6, 0x110, v5
	v_and_b32_e32 v7, 0x78, v7
	v_add3_u32 v95, v4, v6, v7
	v_bfe_u32 v4, v0, 5, 5
	v_lshlrev_b32_e32 v6, 1, v46
	v_lshlrev_b32_e32 v2, 2, v46
	v_lshl_add_u32 v136, v51, 1, v4
	v_and_b32_e32 v48, 62, v6
	v_bfe_u32 v6, v0, 4, 6
	v_mul_u32_u24_e32 v4, 0x90, v136
	v_lshl_add_u32 v6, v51, 2, v6
	v_and_b32_e32 v50, 60, v2
	v_lshlrev_b32_e32 v11, 1, v48
	v_mul_u32_u24_e32 v8, 0x110, v6
	v_add3_u32 v137, 0, v4, v11
	v_lshlrev_b32_e32 v4, 2, v50
	v_lshlrev_b32_e32 v9, 4, v51
	v_add3_u32 v138, 0, v8, v4
	v_bfe_u32 v4, v0, 2, 8
	v_and_b32_e32 v10, 16, v9
	v_and_b32_e32 v8, 60, v4
	v_and_or_b32 v3, v0, 12, v3
	s_movk_i32 s0, 0x90
	v_lshrrev_b32_e32 v3, 2, v3
	v_add_u16_e32 v12, v8, v10
	v_add_u32_e32 v11, v8, v10
	v_mad_u32_u24 v3, v3, s0, 0
	v_lshrrev_b16_e32 v12, 1, v12
	v_lshl_add_u32 v139, v12, 2, v3
	v_lshl_add_u32 v3, v11, 1, v3
	v_and_b32_e32 v11, 8, v75
	v_or_b32_e32 v4, 3, v4
	s_movk_i32 s0, 0x220
	v_mul_u32_u24_e32 v4, 0x110, v4
	v_mad_u32_u24 v11, v11, s0, 0
	v_lshlrev_b32_e32 v12, 1, v5
	v_add3_u32 v141, v11, v4, v12
	v_bfe_u32 v4, v0, 10, 1
	v_cmp_eq_u32_e64 s[0:1], 0, v4
	v_and_b32_e32 v4, 0x400, v0
	v_mul_u32_u24_e32 v8, 0x110, v8
	v_cmp_ne_u32_e64 s[4:5], 0, v4
	v_bfe_u32 v4, v91, 1, 9
	v_add3_u32 v140, v11, v8, v12
	v_add_u32_e32 v8, 2, v4
	v_lshlrev_b32_e32 v11, 1, v8
	v_and_b32_e32 v12, 15, v8
	s_movk_i32 s6, 0x1e0
	v_and_or_b32 v11, v11, s6, v12
	v_add_u32_e32 v12, 4, v4
	v_lshlrev_b32_e32 v13, 1, v12
	v_and_b32_e32 v14, 15, v12
	v_and_or_b32 v13, v13, s6, v14
	v_add_u32_e32 v14, 6, v4
	v_lshlrev_b32_e32 v15, 1, v14
	v_and_b32_e32 v16, 15, v14
	;; [unrolled: 4-line block ×3, first 2 shown]
	v_and_or_b32 v17, v17, s6, v18
	v_add_u32_e32 v18, 10, v4
	v_writelane_b32 v212, s51, 4
	v_lshlrev_b32_e32 v19, 1, v18
	v_and_b32_e32 v20, 15, v18
	v_writelane_b32 v212, s4, 5
	v_and_or_b32 v19, v19, s6, v20
	v_add_u32_e32 v20, 12, v4
	s_cmp_eq_u64 s[24:25], 0
	v_writelane_b32 v212, s5, 6
	v_lshlrev_b32_e32 v21, 1, v20
	v_and_b32_e32 v22, 15, v20
	s_cselect_b64 s[4:5], -1, 0
	v_and_or_b32 v21, v21, s6, v22
	v_add_u32_e32 v22, 14, v4
	v_writelane_b32 v212, s4, 7
	s_cmp_lg_u64 s[26:27], 0
	v_lshlrev_b32_e32 v23, 1, v22
	v_and_b32_e32 v24, 15, v22
	v_writelane_b32 v212, s5, 8
	s_cselect_b64 s[4:5], -1, 0
	v_and_or_b32 v23, v23, s6, v24
	v_add_u32_e32 v24, 18, v4
	v_writelane_b32 v212, s4, 9
	s_lshl_b32 s60, s33, 5
	v_lshlrev_b32_e32 v25, 1, v24
	v_and_b32_e32 v26, 15, v24
	v_writelane_b32 v212, s5, 10
	s_ashr_i32 s39, s38, 31
	s_ashr_i32 s35, s34, 31
	s_lshl_b32 s7, s34, 4
	s_mov_b32 s51, s15
	s_ashr_i32 s15, s14, 31
	s_lshl_b32 s10, s14, 4
	s_lshl_b64 s[4:5], s[60:61], 3
	v_and_or_b32 v25, v25, s6, v26
	v_add_u32_e32 v26, 20, v4
	s_add_u32 s8, s30, s4
	v_lshlrev_b32_e32 v27, 1, v26
	v_and_b32_e32 v28, 15, v26
	s_addc_u32 s9, s31, s5
	s_abs_i32 s57, s90
	v_and_or_b32 v27, v27, s6, v28
	v_add_u32_e32 v28, 22, v4
	v_cvt_f32_u32_e32 v37, s57
	v_lshlrev_b32_e32 v29, 1, v28
	v_and_b32_e32 v30, 15, v28
	v_and_or_b32 v29, v29, s6, v30
	v_add_u32_e32 v30, 24, v4
	v_lshlrev_b32_e32 v31, 1, v30
	v_and_b32_e32 v32, 15, v30
	v_and_or_b32 v31, v31, s6, v32
	v_add_u32_e32 v32, 26, v4
	v_rcp_iflag_f32_e32 v37, v37
	s_abs_i32 s93, s89
	v_lshlrev_b32_e32 v33, 1, v32
	v_and_b32_e32 v34, 15, v32
	v_cvt_f32_u32_e32 v39, s93
	v_add_u32_e32 v142, 0, v2
	v_or_b32_e32 v2, v75, v46
	v_and_or_b32 v33, v33, s6, v34
	v_add_u32_e32 v34, 28, v4
	v_lshlrev_b32_e32 v52, 3, v2
	v_or_b32_e32 v2, v9, v46
	v_lshlrev_b32_e32 v35, 1, v34
	v_and_b32_e32 v36, 15, v34
	v_mov_b32_e32 v53, 0
	v_mul_u32_u24_e32 v147, 0x110, v2
	v_and_b32_e32 v2, 31, v0
	v_writelane_b32 v212, s33, 11
	v_and_or_b32 v35, v35, s6, v36
	v_add_u32_e32 v36, 30, v4
	v_mul_f32_e32 v37, 0x4f7ffffe, v37
	s_mov_b32 s4, s12
	v_lshl_add_u64 v[70:71], s[8:9], 0, v[52:53]
	v_lshlrev_b32_e32 v52, 2, v2
	v_or_b32_e32 v2, v9, v2
	v_lshlrev_b32_e32 v38, 1, v36
	v_and_b32_e32 v40, 15, v36
	v_rcp_iflag_f32_e32 v39, v39
	s_abs_i32 s94, s88
	v_writelane_b32 v212, s4, 12
	v_cvt_u32_f32_e32 v37, v37
	v_mul_u32_u24_e32 v148, 0x110, v2
	v_or_b32_e32 v2, v9, v5
	v_and_or_b32 v38, v38, s6, v40
	v_cvt_f32_u32_e32 v40, s94
	v_writelane_b32 v212, s5, 13
	v_cmp_gt_u32_e64 s[62:63], 32, v46
	v_mul_u32_u24_e32 v149, 0x110, v2
	v_add_u32_e32 v2, 16, v4
	v_add_u32_e32 v145, 64, v3
	;; [unrolled: 1-line block ×3, first 2 shown]
	v_writelane_b32 v212, s62, 14
	v_bfe_u32 v3, v51, 1, 4
	v_lshlrev_b32_e32 v4, 1, v2
	v_writelane_b32 v212, s63, 15
	v_and_or_b32 v4, v4, s6, v3
	s_ashr_i32 s6, s90, 31
	s_abs_i32 s95, s12
	v_mul_f32_e32 v39, 0x4f7ffffe, v39
	v_readfirstlane_b32 s11, v37
	v_writelane_b32 v212, s6, 16
	s_sub_i32 s6, 0, s57
	v_cvt_f32_u32_e32 v41, s95
	v_rcp_iflag_f32_e32 v40, v40
	v_cvt_u32_f32_e32 v39, v39
	s_mul_i32 s6, s6, s11
	s_mul_hi_u32 s6, s11, s6
	s_add_i32 s6, s11, s6
	v_writelane_b32 v212, s6, 17
	s_ashr_i32 s6, s89, 31
	v_rcp_iflag_f32_e32 v41, v41
	v_mul_f32_e32 v40, 0x4f7ffffe, v40
	v_readfirstlane_b32 s12, v39
	v_writelane_b32 v212, s6, 18
	s_sub_i32 s6, 0, s93
	v_cvt_u32_f32_e32 v40, v40
	s_mul_i32 s6, s6, s12
	s_mul_hi_u32 s6, s12, s6
	s_add_i32 s6, s12, s6
	v_mul_f32_e32 v41, 0x4f7ffffe, v41
	v_writelane_b32 v212, s6, 19
	s_ashr_i32 s6, s88, 31
	v_cvt_u32_f32_e32 v41, v41
	v_readfirstlane_b32 s13, v40
	v_writelane_b32 v212, s6, 20
	s_sub_i32 s6, 0, s94
	s_mul_i32 s6, s6, s13
	s_mul_hi_u32 s6, s13, s6
	s_add_i32 s6, s13, s6
	v_readfirstlane_b32 s33, v41
	v_mul_lo_u32 v54, s34, v6
	v_writelane_b32 v212, s6, 21
	s_sub_i32 s6, 0, s95
	v_add_u32_e32 v56, s7, v54
	v_mul_lo_u32 v62, s14, v6
	s_mul_i32 s6, s6, s33
	v_add_u32_e32 v58, s7, v56
	v_add_u32_e32 v64, s10, v62
	s_mul_hi_u32 s6, s33, s6
	v_add_u32_e32 v60, s7, v58
	v_add_u32_e32 v66, s10, v64
	s_movk_i32 s7, 0xe0
	s_add_i32 s6, s33, s6
	v_add_u32_e32 v68, s10, v66
	v_and_or_b32 v3, v91, s7, v3
	v_writelane_b32 v212, s6, 22
	s_lshl_b64 s[6:7], s[38:39], 1
	s_mov_b32 s42, 0x10001
	v_ashrrev_i32_e32 v55, 31, v54
	v_ashrrev_i32_e32 v57, 31, v56
	;; [unrolled: 1-line block ×4, first 2 shown]
	v_add_u32_e32 v144, 0, v7
	v_ashrrev_i32_e32 v63, 31, v62
	v_ashrrev_i32_e32 v65, 31, v64
	v_ashrrev_i32_e32 v67, 31, v66
	v_ashrrev_i32_e32 v69, 31, v68
	v_writelane_b32 v212, s6, 23
	v_mul_u32_u24_e32 v143, 0x110, v10
	v_cmp_gt_u32_e64 s[4:5], 16, v46
	v_mul_u32_u24_e32 v150, 0x110, v3
	v_mul_u32_u24_e32 v151, 0x110, v11
	v_lshrrev_b32_e32 v152, 2, v12
	v_mul_u32_u24_e32 v153, 0x110, v13
	v_mul_u32_u24_e32 v154, 0x110, v15
	v_lshrrev_b32_e32 v155, 2, v16
	;; [unrolled: 3-line block ×7, first 2 shown]
	v_mul_u32_u24_e32 v171, 0x110, v35
	v_mul_u32_u24_e32 v172, 0x110, v38
	v_writelane_b32 v212, s7, 24
	v_mad_u32_u24 v173, v5, s2, v144
	v_lshlrev_b32_e32 v72, 4, v5
	v_mov_b32_e32 v73, v53
	s_lshl_b64 s[68:69], s[14:15], 8
	s_lshl_b64 s[70:71], s[34:35], 8
	s_mov_b32 s39, 0x3f200000
	s_mov_b32 s67, 0x3fb8aa3b
	;; [unrolled: 1-line block ×4, first 2 shown]
	s_brev_b32 s7, -2
	s_mov_b32 s87, 0xc1a00000
	s_mov_b32 s2, 0x5040100
	v_mul_lo_u32 v174, v89, s42
	v_add_u32_e32 v175, 0x1100, v138
	v_add_u32_e32 v176, 0x2200, v138
	;; [unrolled: 1-line block ×3, first 2 shown]
	v_bfe_u32 v178, v91, 2, 8
	v_mul_u32_u24_e32 v179, 0x110, v51
	v_lshrrev_b32_e32 v180, 2, v87
	v_lshrrev_b32_e32 v181, 2, v85
	;; [unrolled: 1-line block ×7, first 2 shown]
	v_bfe_u32 v187, v91, 3, 7
	v_lshrrev_b32_e32 v188, 2, v8
	v_and_b32_e32 v74, 3, v8
	v_lshrrev_b32_e32 v189, 2, v14
	v_and_b32_e32 v76, 3, v14
	;; [unrolled: 2-line block ×8, first 2 shown]
	v_mov_b32_e32 v196, 0x3ca908c9
	v_mbcnt_hi_u32_b32 v197, -1, v77
	v_mov_b32_e32 v198, 0x7f800000
	v_and_b32_e32 v90, 3, v0
	v_mad_u64_u32 v[92:93], s[8:9], v47, s51, v[46:47]
	v_bfe_u32 v94, v51, 1, 2
	v_lshl_add_u64 v[96:97], s[22:23], 0, v[52:53]
	v_lshl_add_u64 v[98:99], v[62:63], 2, s[20:21]
	;; [unrolled: 1-line block ×9, first 2 shown]
                                        ; implicit-def: $vgpr2
                                        ; implicit-def: $vgpr2
                                        ; implicit-def: $vgpr2
	v_writelane_b32 v212, s51, 25
	s_branch .LBB25_12
.LBB25_10:                              ;   in Loop: Header=BB25_12 Depth=1
	s_or_b64 exec, exec, s[74:75]
	s_barrier
.LBB25_11:                              ;   in Loop: Header=BB25_12 Depth=1
	s_add_i32 s8, s54, s91
	s_abs_i32 s10, s8
	s_mul_hi_u32 s11, s10, s50
	s_mul_i32 s11, s11, s92
	s_sub_i32 s10, s10, s11
	s_ashr_i32 s9, s8, 31
	s_sub_i32 s11, s10, s92
	s_cmp_ge_u32 s10, s92
	s_cselect_b32 s10, s11, s10
	s_sub_i32 s11, s10, s92
	s_cmp_ge_u32 s10, s92
	s_cselect_b32 s10, s11, s10
	s_xor_b32 s10, s10, s9
	s_sub_i32 s9, s9, s10
	s_add_i32 s54, s8, s9
	s_sub_i32 s10, s58, s54
	s_min_i32 s97, s91, s10
	s_cmp_gt_i32 s58, s54
	s_cselect_b64 s[8:9], -1, 0
	s_cmp_le_i32 s91, s10
	s_cselect_b64 s[10:11], -1, 0
	s_and_b64 s[10:11], s[10:11], s[8:9]
	s_mov_b32 s82, 0
	s_and_b64 vcc, exec, s[10:11]
	s_cbranch_vccz .LBB25_402
.LBB25_12:                              ; =>This Loop Header: Depth=1
                                        ;     Child Loop BB25_246 Depth 2
                                        ;     Child Loop BB25_51 Depth 2
	s_ashr_i32 s8, s54, 31
	v_readlane_b32 s9, v212, 16
	s_xor_b32 s8, s8, s9
	s_abs_i32 s9, s54
	v_readlane_b32 s10, v212, 17
	s_mul_hi_u32 s10, s9, s10
	s_mul_i32 s11, s10, s57
	s_sub_i32 s9, s9, s11
	s_add_i32 s11, s10, 1
	s_sub_i32 s12, s9, s57
	s_cmp_ge_u32 s9, s57
	s_cselect_b32 s10, s11, s10
	s_cselect_b32 s9, s12, s9
	s_add_i32 s11, s10, 1
	s_cmp_ge_u32 s9, s57
	s_cselect_b32 s9, s11, s10
	s_xor_b32 s9, s9, s8
	s_sub_i32 s8, s9, s8
	s_mul_i32 s9, s8, s90
	s_sub_i32 s10, s54, s9
	s_ashr_i32 s9, s10, 31
	v_readlane_b32 s11, v212, 18
	s_xor_b32 s9, s9, s11
	s_abs_i32 s11, s10
	v_readlane_b32 s12, v212, 19
	s_mul_hi_u32 s12, s11, s12
	s_mul_i32 s13, s12, s93
	s_sub_i32 s11, s11, s13
	s_add_i32 s13, s12, 1
	s_sub_i32 s42, s11, s93
	s_cmp_ge_u32 s11, s93
	s_cselect_b32 s12, s13, s12
	s_cselect_b32 s11, s42, s11
	s_add_i32 s13, s12, 1
	s_cmp_ge_u32 s11, s93
	s_cselect_b32 s11, s13, s12
	s_xor_b32 s11, s11, s9
	s_sub_i32 s9, s11, s9
	s_mul_i32 s11, s9, s89
	s_sub_i32 s10, s10, s11
	s_ashr_i32 s11, s10, 31
	v_readlane_b32 s12, v212, 20
	s_xor_b32 s11, s11, s12
	s_abs_i32 s12, s10
	v_readlane_b32 s13, v212, 21
	s_mul_hi_u32 s13, s12, s13
	s_mul_i32 s42, s13, s94
	s_sub_i32 s12, s12, s42
	s_add_i32 s42, s13, 1
	s_sub_i32 s51, s12, s94
	s_cmp_ge_u32 s12, s94
	s_cselect_b32 s13, s42, s13
	s_cselect_b32 s12, s51, s12
	s_add_i32 s42, s13, 1
	s_cmp_ge_u32 s12, s94
	s_cselect_b32 s12, s42, s13
	s_xor_b32 s12, s12, s11
	s_sub_i32 s11, s12, s11
	s_mul_i32 s12, s11, s88
	s_sub_i32 s10, s10, s12
	s_ashr_i32 s12, s10, 31
	v_readlane_b32 s13, v212, 3
	s_abs_i32 s10, s10
	s_xor_b32 s12, s12, s13
	s_mul_hi_u32 s13, s10, s50
	s_mul_i32 s42, s13, s92
	s_sub_i32 s10, s10, s42
	s_add_i32 s42, s13, 1
	s_sub_i32 s51, s10, s92
	s_cmp_ge_u32 s10, s92
	s_cselect_b32 s13, s42, s13
	s_cselect_b32 s10, s51, s10
	s_add_i32 s42, s13, 1
	s_cmp_ge_u32 s10, s92
	s_cselect_b32 s10, s42, s13
	v_readlane_b32 s62, v212, 9
	s_xor_b32 s10, s10, s12
	v_readlane_b32 s63, v212, 10
	s_andn2_b64 vcc, exec, s[62:63]
	s_sub_i32 s10, s10, s12
	s_cbranch_vccnz .LBB25_14
; %bb.13:                               ;   in Loop: Header=BB25_12 Depth=1
	v_readlane_b32 s12, v212, 0
	s_mul_i32 s12, s8, s12
	s_add_i32 s12, s10, s12
	s_ashr_i32 s13, s12, 31
	s_lshl_b64 s[12:13], s[12:13], 2
	s_add_u32 s12, s26, s12
	s_addc_u32 s13, s27, s13
	global_load_dword v2, v53, s[12:13]
	s_waitcnt vmcnt(0)
	v_readfirstlane_b32 s12, v2
	s_ashr_i32 s13, s12, 31
	s_lshr_b32 s13, s13, 26
	s_add_i32 s12, s12, s13
	s_ashr_i32 s12, s12, 6
	s_min_i32 s97, s97, s12
.LBB25_14:                              ;   in Loop: Header=BB25_12 Depth=1
	s_mul_i32 s12, s9, s86
	s_lshl_b32 s62, s11, 2
	s_mul_i32 s11, s8, s53
	s_add_i32 s12, s62, s12
	s_ashr_i32 s13, s11, 31
	s_add_u32 s11, s16, s11
	s_mul_i32 s42, s12, s52
	s_addc_u32 s13, s17, s13
	s_ashr_i32 s51, s42, 31
	s_add_u32 s80, s11, s42
	s_addc_u32 s81, s13, s51
	s_ashr_i32 s11, s8, 31
	s_mul_hi_u32 s13, s40, s8
	s_mul_i32 s42, s40, s11
	s_add_i32 s13, s13, s42
	s_mul_i32 s42, s41, s8
	v_readlane_b32 s64, v212, 1
	s_add_i32 s98, s13, s42
	s_mul_i32 s99, s40, s8
	v_readlane_b32 s65, v212, 2
	s_add_u32 s13, s18, s99
	s_mul_i32 s56, s9, s65
	s_addc_u32 s42, s19, s98
	s_ashr_i32 s59, s56, 31
	s_add_u32 s65, s13, s56
	s_addc_u32 s96, s42, s59
	s_abs_i32 s13, s8
	v_readlane_b32 s42, v212, 22
	s_mul_hi_u32 s42, s13, s42
	s_mul_i32 s42, s42, s95
	s_sub_i32 s13, s13, s42
	s_sub_i32 s42, s13, s95
	s_cmp_ge_u32 s13, s95
	s_cselect_b32 s13, s42, s13
	s_sub_i32 s42, s13, s95
	s_cmp_ge_u32 s13, s95
	s_cselect_b32 s13, s42, s13
	s_xor_b32 s13, s13, s11
	s_sub_i32 s13, s13, s11
	s_ashr_i32 s42, s13, 31
	s_mul_i32 s42, s48, s42
	s_mul_hi_u32 s51, s48, s13
	s_add_i32 s42, s51, s42
	s_mul_i32 s51, s49, s13
	s_add_i32 s79, s42, s51
	s_mul_i32 s78, s48, s13
	s_mul_i32 s13, s36, s37
	s_add_u32 s76, s22, s78
	s_mul_i32 s13, s13, s8
	s_addc_u32 s77, s23, s79
	s_add_i32 s13, s12, s13
	s_lshl_b32 s60, s13, 6
	s_lshl_b64 s[72:73], s[60:61], 3
	s_add_u32 s72, s28, s72
	s_mul_hi_u32 s13, s46, s8
	s_mul_i32 s11, s46, s11
	s_addc_u32 s73, s29, s73
	s_add_i32 s11, s13, s11
	s_mul_i32 s13, s47, s8
	s_add_i32 s60, s11, s13
	s_mul_i32 s66, s46, s8
	s_add_u32 s8, s20, s66
	s_mul_i32 s42, s9, s43
	s_addc_u32 s11, s21, s60
	s_ashr_i32 s51, s42, 31
	s_add_u32 s63, s8, s42
	s_addc_u32 s64, s11, s51
	s_ashr_i32 s13, s12, 31
	s_lshl_b64 s[8:9], s[12:13], 2
	s_add_u32 s11, s24, s8
	s_addc_u32 s12, s25, s9
	v_readlane_b32 s8, v212, 7
	v_readlane_b32 s9, v212, 8
	s_and_b64 s[8:9], s[8:9], exec
	s_cselect_b32 s75, 0, s12
	s_cselect_b32 s74, 0, s11
	s_cmp_lg_u32 s82, 0
	v_or_b32_e32 v93, s62, v47
	s_cbranch_scc0 .LBB25_85
; %bb.15:                               ;   in Loop: Header=BB25_12 Depth=1
	s_lshl_b32 s11, s10, 3
	v_add_u32_e32 v2, s11, v178
	v_cmp_le_i32_e64 s[8:9], s36, v2
	v_cmp_le_i32_e64 s[12:13], s86, v93
	v_cmp_gt_i32_e32 vcc, s86, v93
	s_or_b64 s[8:9], s[8:9], s[12:13]
	s_and_saveexec_b64 s[12:13], s[8:9]
	s_xor_b64 s[8:9], exec, s[12:13]
; %bb.16:                               ;   in Loop: Header=BB25_12 Depth=1
	v_add_u32_e32 v2, v142, v179
	ds_write_b32 v2, v53
                                        ; implicit-def: $vgpr2
; %bb.17:                               ;   in Loop: Header=BB25_12 Depth=1
	s_andn2_saveexec_b64 s[8:9], s[8:9]
	s_cbranch_execz .LBB25_19
; %bb.18:                               ;   in Loop: Header=BB25_12 Depth=1
	v_mad_u64_u32 v[2:3], s[12:13], v2, s55, v[92:93]
	v_ashrrev_i32_e32 v3, 31, v2
	v_lshl_add_u64 v[2:3], v[2:3], 3, s[80:81]
	global_load_dwordx2 v[2:3], v[2:3], off
	s_waitcnt vmcnt(0)
	v_cvt_pk_f16_f32 v2, v2, v3
	v_pk_mul_f16 v2, v2, v174
	v_add_u32_e32 v3, v142, v179
	ds_write_b32 v3, v2
.LBB25_19:                              ;   in Loop: Header=BB25_12 Depth=1
	s_or_b64 exec, exec, s[8:9]
	v_add_u32_e32 v2, s11, v180
	v_cmp_le_i32_e64 s[8:9], s36, v2
	s_xor_b64 s[12:13], vcc, -1
	s_or_b64 s[8:9], s[8:9], s[12:13]
	s_and_saveexec_b64 s[84:85], s[8:9]
	s_xor_b64 s[8:9], exec, s[84:85]
; %bb.20:                               ;   in Loop: Header=BB25_12 Depth=1
	v_add_u32_e32 v2, v142, v179
	ds_write_b32 v2, v53 offset:1088
                                        ; implicit-def: $vgpr2
; %bb.21:                               ;   in Loop: Header=BB25_12 Depth=1
	s_andn2_saveexec_b64 s[8:9], s[8:9]
	s_cbranch_execz .LBB25_23
; %bb.22:                               ;   in Loop: Header=BB25_12 Depth=1
	v_mad_u64_u32 v[2:3], s[84:85], v2, s55, v[92:93]
	v_ashrrev_i32_e32 v3, 31, v2
	v_lshl_add_u64 v[2:3], v[2:3], 3, s[80:81]
	global_load_dwordx2 v[2:3], v[2:3], off
	s_waitcnt vmcnt(0)
	v_cvt_pk_f16_f32 v2, v2, v3
	v_pk_mul_f16 v2, v2, v174
	v_add_u32_e32 v3, v142, v179
	ds_write_b32 v3, v2 offset:1088
.LBB25_23:                              ;   in Loop: Header=BB25_12 Depth=1
	s_or_b64 exec, exec, s[8:9]
	v_add_u32_e32 v2, s11, v181
	v_cmp_le_i32_e32 vcc, s36, v2
	s_or_b64 s[8:9], vcc, s[12:13]
	s_and_saveexec_b64 s[84:85], s[8:9]
	s_xor_b64 s[8:9], exec, s[84:85]
; %bb.24:                               ;   in Loop: Header=BB25_12 Depth=1
	v_add_u32_e32 v2, v142, v179
	ds_write_b32 v2, v53 offset:2176
                                        ; implicit-def: $vgpr2
; %bb.25:                               ;   in Loop: Header=BB25_12 Depth=1
	s_andn2_saveexec_b64 s[8:9], s[8:9]
	s_cbranch_execz .LBB25_27
; %bb.26:                               ;   in Loop: Header=BB25_12 Depth=1
	v_mad_u64_u32 v[2:3], s[84:85], v2, s55, v[92:93]
	v_ashrrev_i32_e32 v3, 31, v2
	v_lshl_add_u64 v[2:3], v[2:3], 3, s[80:81]
	global_load_dwordx2 v[2:3], v[2:3], off
	s_waitcnt vmcnt(0)
	v_cvt_pk_f16_f32 v2, v2, v3
	v_pk_mul_f16 v2, v2, v174
	v_add_u32_e32 v3, v142, v179
	ds_write_b32 v3, v2 offset:2176
.LBB25_27:                              ;   in Loop: Header=BB25_12 Depth=1
	s_or_b64 exec, exec, s[8:9]
	v_add_u32_e32 v2, s11, v182
	v_cmp_le_i32_e32 vcc, s36, v2
	s_or_b64 s[8:9], vcc, s[12:13]
	;; [unrolled: 24-line block ×6, first 2 shown]
	s_and_saveexec_b64 s[12:13], s[8:9]
	s_xor_b64 s[8:9], exec, s[12:13]
; %bb.44:                               ;   in Loop: Header=BB25_12 Depth=1
	v_add_u32_e32 v2, v142, v179
	ds_write_b32 v2, v53 offset:7616
                                        ; implicit-def: $vgpr2
; %bb.45:                               ;   in Loop: Header=BB25_12 Depth=1
	s_andn2_saveexec_b64 s[8:9], s[8:9]
	s_cbranch_execz .LBB25_47
; %bb.46:                               ;   in Loop: Header=BB25_12 Depth=1
	v_mad_u64_u32 v[2:3], s[12:13], v2, s55, v[92:93]
	v_ashrrev_i32_e32 v3, 31, v2
	v_lshl_add_u64 v[2:3], v[2:3], 3, s[80:81]
	global_load_dwordx2 v[2:3], v[2:3], off
	s_waitcnt vmcnt(0)
	v_cvt_pk_f16_f32 v2, v2, v3
	v_pk_mul_f16 v2, v2, v174
	v_add_u32_e32 v3, v142, v179
	ds_write_b32 v3, v2 offset:7616
.LBB25_47:                              ;   in Loop: Header=BB25_12 Depth=1
	s_or_b64 exec, exec, s[8:9]
	s_waitcnt lgkmcnt(0)
	s_barrier
	ds_read2_b64 v[14:17], v95 offset1:4
	ds_read2_b64 v[10:13], v95 offset0:8 offset1:12
	ds_read2_b64 v[6:9], v95 offset0:16 offset1:20
	;; [unrolled: 1-line block ×3, first 2 shown]
	s_add_i32 s83, s97, -1
	s_cmp_lt_i32 s82, s83
	s_mov_b64 s[8:9], -1
	s_waitcnt lgkmcnt(0)
	s_barrier
	s_cbranch_scc1 .LBB25_49
; %bb.48:                               ;   in Loop: Header=BB25_12 Depth=1
	s_mov_b64 s[8:9], 0
.LBB25_49:                              ;   in Loop: Header=BB25_12 Depth=1
	v_add_u32_e32 v18, s11, v136
	v_mul_hi_u32 v19, s44, v18
	v_add_u32_e32 v19, v18, v19
	v_lshrrev_b32_e32 v19, s45, v19
	v_mul_lo_u32 v19, v19, s36
	v_sub_u32_e32 v18, v18, v19
	s_andn2_b64 vcc, exec, s[8:9]
	v_mad_i64_i32 v[114:115], s[8:9], v18, s38, 0
	s_cbranch_vccnz .LBB25_86
; %bb.50:                               ;   in Loop: Header=BB25_12 Depth=1
	v_lshl_add_u64 v[18:19], v[114:115], 1, s[76:77]
	v_lshlrev_b32_e32 v52, 1, v48
	v_lshl_add_u64 v[116:117], v[18:19], 0, v[52:53]
	v_and_b32_e32 v18, 64, v197
	v_add_u32_e32 v18, 64, v18
	v_xor_b32_e32 v19, 32, v197
	v_cmp_lt_i32_e32 vcc, v19, v18
	s_lshl_b32 s8, s82, 6
	v_mov_b32_e32 v119, 0
	v_cndmask_b32_e32 v19, v197, v19, vcc
	v_lshlrev_b32_e32 v124, 2, v19
	v_xor_b32_e32 v19, 16, v197
	v_cmp_lt_i32_e32 vcc, v19, v18
	v_mov_b32_e32 v27, 0xfeffffff
	v_mov_b32_e32 v26, 0
	v_cndmask_b32_e32 v18, v197, v19, vcc
	v_lshlrev_b32_e32 v125, 2, v18
	v_mov_b32_e32 v118, 0
	v_mov_b32_e32 v43, 0
	;; [unrolled: 1-line block ×15, first 2 shown]
.LBB25_51:                              ;   Parent Loop BB25_12 Depth=1
                                        ; =>  This Inner Loop Header: Depth=2
	s_ashr_i32 s9, s8, 31
	v_lshl_add_u64 v[18:19], s[8:9], 1, v[116:117]
	global_load_dword v18, v[18:19], off
	s_mul_hi_i32 s13, s8, s34
	s_mul_i32 s12, s8, s34
	s_lshl_b64 s[12:13], s[12:13], 2
	s_add_u32 s12, s65, s12
	s_addc_u32 s13, s96, s13
	v_lshlrev_b32_e32 v52, 2, v50
	v_lshl_add_u64 v[20:21], v[56:57], 2, s[12:13]
	v_lshl_add_u64 v[22:23], v[20:21], 0, v[52:53]
	;; [unrolled: 1-line block ×6, first 2 shown]
	v_add_u32_e32 v30, v173, v143
	s_waitcnt vmcnt(0)
	ds_write_b32 v137, v18 offset:17408
	v_lshl_add_u64 v[18:19], v[54:55], 2, s[12:13]
	v_lshl_add_u64 v[18:19], v[18:19], 0, v[52:53]
	global_load_dwordx4 v[18:21], v[18:19], off
	s_waitcnt vmcnt(0)
	ds_write_b128 v138, v[18:21]
	global_load_dwordx4 v[18:21], v[22:23], off
	s_waitcnt vmcnt(0)
	ds_write_b128 v175, v[18:21]
	;; [unrolled: 3-line block ×4, first 2 shown]
	s_waitcnt lgkmcnt(0)
	s_barrier
	ds_read2_b64 v[18:21], v30 offset1:4
	s_waitcnt lgkmcnt(0)
	v_mfma_f32_16x16x16_f16 v[22:25], v[18:19], v[14:15], 0
	v_mfma_f32_16x16x16_f16 v[18:21], v[20:21], v[16:17], v[22:25]
	s_nop 6
	ds_read2_b64 v[22:25], v30 offset0:8 offset1:12
	s_waitcnt lgkmcnt(0)
	v_mfma_f32_16x16x16_f16 v[18:21], v[22:23], v[10:11], v[18:21]
	v_mfma_f32_16x16x16_f16 v[18:21], v[24:25], v[12:13], v[18:21]
	ds_read2_b64 v[22:25], v30 offset0:16 offset1:20
	s_waitcnt lgkmcnt(0)
	v_mfma_f32_16x16x16_f16 v[18:21], v[22:23], v[6:7], v[18:21]
	v_mfma_f32_16x16x16_f16 v[18:21], v[24:25], v[8:9], v[18:21]
	ds_read2_b64 v[22:25], v30 offset0:24 offset1:28
	v_add_u32_e32 v30, 0x2000, v30
	s_waitcnt lgkmcnt(0)
	v_mfma_f32_16x16x16_f16 v[18:21], v[22:23], v[2:3], v[18:21]
	v_mfma_f32_16x16x16_f16 v[18:21], v[24:25], v[4:5], v[18:21]
	ds_read2_b64 v[22:25], v30 offset0:64 offset1:68
	s_waitcnt lgkmcnt(0)
	v_mfma_f32_16x16x16_f16 v[120:123], v[22:23], v[14:15], 0
	s_nop 4
	v_cmp_nlt_f32_e64 s[12:13], |v18|, s39
	v_mfma_f32_16x16x16_f16 v[22:25], v[24:25], v[16:17], v[120:123]
	s_nop 2
	ds_read2_b64 v[120:123], v30 offset0:72 offset1:76
	s_waitcnt lgkmcnt(0)
	v_mfma_f32_16x16x16_f16 v[22:25], v[120:121], v[10:11], v[22:25]
	v_mfma_f32_16x16x16_f16 v[22:25], v[122:123], v[12:13], v[22:25]
	ds_read2_b64 v[120:123], v30 offset0:80 offset1:84
	s_waitcnt lgkmcnt(0)
	v_mfma_f32_16x16x16_f16 v[22:25], v[120:121], v[6:7], v[22:25]
	v_mfma_f32_16x16x16_f16 v[22:25], v[122:123], v[8:9], v[22:25]
	ds_read2_b64 v[120:123], v30 offset0:88 offset1:92
	s_waitcnt lgkmcnt(0)
	s_barrier
	v_mfma_f32_16x16x16_f16 v[22:25], v[120:121], v[2:3], v[22:25]
                                        ; implicit-def: $vgpr30
	v_mfma_f32_16x16x16_f16 v[22:25], v[122:123], v[4:5], v[22:25]
	s_and_saveexec_b64 s[84:85], s[12:13]
	s_xor_b64 s[12:13], exec, s[84:85]
	s_cbranch_execz .LBB25_53
; %bb.52:                               ;   in Loop: Header=BB25_51 Depth=2
	v_add_f32_e64 v30, |v18|, |v18|
	v_mul_f32_e32 v41, 0x3fb8aa3b, v30
	v_rndne_f32_e32 v44, v41
	v_sub_f32_e32 v45, v41, v44
	v_fma_f32 v41, v30, s67, -v41
	v_fmac_f32_e32 v41, 0x32a5705f, v30
	v_add_f32_e32 v41, v45, v41
	v_cvt_i32_f32_e32 v44, v44
	v_exp_f32_e32 v41, v41
	v_cmp_ngt_f32_e32 vcc, s33, v30
	v_ldexp_f32 v41, v41, v44
	s_nop 0
	v_cndmask_b32_e32 v41, 0, v41, vcc
	v_cmp_nlt_f32_e32 vcc, s6, v30
	s_nop 1
	v_cndmask_b32_e32 v30, v198, v41, vcc
	v_add_f32_e32 v30, 1.0, v30
	v_rcp_f32_e32 v30, v30
	s_nop 0
	v_fma_f32 v30, v30, -2.0, 1.0
.LBB25_53:                              ;   in Loop: Header=BB25_51 Depth=2
	s_andn2_saveexec_b64 s[12:13], s[12:13]
; %bb.54:                               ;   in Loop: Header=BB25_51 Depth=2
	v_mul_f32_e32 v30, v18, v18
	v_fmamk_f32 v41, v30, 0xbbbac73d, v196
	v_fmaak_f32 v41, v30, v41, 0xbd5c1c4e
	v_fmaak_f32 v41, v30, v41, 0x3e088382
	;; [unrolled: 1-line block ×3, first 2 shown]
	v_mul_f32_e64 v41, |v18|, v41
	v_fma_f32 v30, v30, v41, |v18|
; %bb.55:                               ;   in Loop: Header=BB25_51 Depth=2
	s_or_b64 exec, exec, s[12:13]
	v_cmp_nlt_f32_e64 s[12:13], |v19|, s39
                                        ; implicit-def: $vgpr41
	s_and_saveexec_b64 s[84:85], s[12:13]
	s_xor_b64 s[12:13], exec, s[84:85]
	s_cbranch_execz .LBB25_57
; %bb.56:                               ;   in Loop: Header=BB25_51 Depth=2
	v_add_f32_e64 v41, |v19|, |v19|
	v_mul_f32_e32 v44, 0x3fb8aa3b, v41
	v_rndne_f32_e32 v45, v44
	v_sub_f32_e32 v120, v44, v45
	v_fma_f32 v44, v41, s67, -v44
	v_fmac_f32_e32 v44, 0x32a5705f, v41
	v_add_f32_e32 v44, v120, v44
	v_cvt_i32_f32_e32 v45, v45
	v_exp_f32_e32 v44, v44
	v_cmp_ngt_f32_e32 vcc, s33, v41
	v_ldexp_f32 v44, v44, v45
	s_nop 0
	v_cndmask_b32_e32 v44, 0, v44, vcc
	v_cmp_nlt_f32_e32 vcc, s6, v41
	s_nop 1
	v_cndmask_b32_e32 v41, v198, v44, vcc
	v_add_f32_e32 v41, 1.0, v41
	v_rcp_f32_e32 v41, v41
	s_nop 0
	v_fma_f32 v41, v41, -2.0, 1.0
.LBB25_57:                              ;   in Loop: Header=BB25_51 Depth=2
	s_andn2_saveexec_b64 s[12:13], s[12:13]
; %bb.58:                               ;   in Loop: Header=BB25_51 Depth=2
	v_mul_f32_e32 v41, v19, v19
	v_fmamk_f32 v44, v41, 0xbbbac73d, v196
	v_fmaak_f32 v44, v41, v44, 0xbd5c1c4e
	v_fmaak_f32 v44, v41, v44, 0x3e088382
	;; [unrolled: 1-line block ×3, first 2 shown]
	v_mul_f32_e64 v44, |v19|, v44
	v_fma_f32 v41, v41, v44, |v19|
; %bb.59:                               ;   in Loop: Header=BB25_51 Depth=2
	s_or_b64 exec, exec, s[12:13]
	v_cmp_nlt_f32_e64 s[12:13], |v20|, s39
                                        ; implicit-def: $vgpr44
	s_and_saveexec_b64 s[84:85], s[12:13]
	s_xor_b64 s[12:13], exec, s[84:85]
	s_cbranch_execz .LBB25_61
; %bb.60:                               ;   in Loop: Header=BB25_51 Depth=2
	v_add_f32_e64 v44, |v20|, |v20|
	v_mul_f32_e32 v45, 0x3fb8aa3b, v44
	v_rndne_f32_e32 v120, v45
	v_sub_f32_e32 v121, v45, v120
	v_fma_f32 v45, v44, s67, -v45
	v_fmac_f32_e32 v45, 0x32a5705f, v44
	v_add_f32_e32 v45, v121, v45
	v_cvt_i32_f32_e32 v120, v120
	v_exp_f32_e32 v45, v45
	v_cmp_ngt_f32_e32 vcc, s33, v44
	v_ldexp_f32 v45, v45, v120
	s_nop 0
	v_cndmask_b32_e32 v45, 0, v45, vcc
	v_cmp_nlt_f32_e32 vcc, s6, v44
	s_nop 1
	v_cndmask_b32_e32 v44, v198, v45, vcc
	v_add_f32_e32 v44, 1.0, v44
	v_rcp_f32_e32 v44, v44
	s_nop 0
	v_fma_f32 v44, v44, -2.0, 1.0
.LBB25_61:                              ;   in Loop: Header=BB25_51 Depth=2
	s_andn2_saveexec_b64 s[12:13], s[12:13]
; %bb.62:                               ;   in Loop: Header=BB25_51 Depth=2
	v_mul_f32_e32 v44, v20, v20
	v_fmamk_f32 v45, v44, 0xbbbac73d, v196
	v_fmaak_f32 v45, v44, v45, 0xbd5c1c4e
	v_fmaak_f32 v45, v44, v45, 0x3e088382
	;; [unrolled: 1-line block ×3, first 2 shown]
	v_mul_f32_e64 v45, |v20|, v45
	v_fma_f32 v44, v44, v45, |v20|
; %bb.63:                               ;   in Loop: Header=BB25_51 Depth=2
	s_or_b64 exec, exec, s[12:13]
	v_cmp_nlt_f32_e64 s[12:13], |v21|, s39
                                        ; implicit-def: $vgpr45
	s_and_saveexec_b64 s[84:85], s[12:13]
	s_xor_b64 s[12:13], exec, s[84:85]
	s_cbranch_execz .LBB25_65
; %bb.64:                               ;   in Loop: Header=BB25_51 Depth=2
	v_add_f32_e64 v45, |v21|, |v21|
	v_mul_f32_e32 v120, 0x3fb8aa3b, v45
	v_rndne_f32_e32 v121, v120
	v_sub_f32_e32 v122, v120, v121
	v_fma_f32 v120, v45, s67, -v120
	v_fmac_f32_e32 v120, 0x32a5705f, v45
	v_add_f32_e32 v120, v122, v120
	v_cvt_i32_f32_e32 v121, v121
	v_exp_f32_e32 v120, v120
	v_cmp_ngt_f32_e32 vcc, s33, v45
	v_ldexp_f32 v120, v120, v121
	s_nop 0
	v_cndmask_b32_e32 v120, 0, v120, vcc
	v_cmp_nlt_f32_e32 vcc, s6, v45
	s_nop 1
	v_cndmask_b32_e32 v45, v198, v120, vcc
	v_add_f32_e32 v45, 1.0, v45
	v_rcp_f32_e32 v45, v45
	s_nop 0
	v_fma_f32 v45, v45, -2.0, 1.0
.LBB25_65:                              ;   in Loop: Header=BB25_51 Depth=2
	s_andn2_saveexec_b64 s[12:13], s[12:13]
; %bb.66:                               ;   in Loop: Header=BB25_51 Depth=2
	v_mul_f32_e32 v45, v21, v21
	v_fmamk_f32 v120, v45, 0xbbbac73d, v196
	v_fmaak_f32 v120, v45, v120, 0xbd5c1c4e
	v_fmaak_f32 v120, v45, v120, 0x3e088382
	;; [unrolled: 1-line block ×3, first 2 shown]
	v_mul_f32_e64 v120, |v21|, v120
	v_fma_f32 v45, v45, v120, |v21|
; %bb.67:                               ;   in Loop: Header=BB25_51 Depth=2
	s_or_b64 exec, exec, s[12:13]
	v_cmp_nlt_f32_e64 s[12:13], |v22|, s39
                                        ; implicit-def: $vgpr120
	s_and_saveexec_b64 s[84:85], s[12:13]
	s_xor_b64 s[12:13], exec, s[84:85]
	s_cbranch_execz .LBB25_69
; %bb.68:                               ;   in Loop: Header=BB25_51 Depth=2
	v_add_f32_e64 v120, |v22|, |v22|
	v_mul_f32_e32 v121, 0x3fb8aa3b, v120
	v_rndne_f32_e32 v122, v121
	v_sub_f32_e32 v123, v121, v122
	v_fma_f32 v121, v120, s67, -v121
	v_fmac_f32_e32 v121, 0x32a5705f, v120
	v_add_f32_e32 v121, v123, v121
	v_cvt_i32_f32_e32 v122, v122
	v_exp_f32_e32 v121, v121
	v_cmp_ngt_f32_e32 vcc, s33, v120
	v_ldexp_f32 v121, v121, v122
	s_nop 0
	v_cndmask_b32_e32 v121, 0, v121, vcc
	v_cmp_nlt_f32_e32 vcc, s6, v120
	s_nop 1
	v_cndmask_b32_e32 v120, v198, v121, vcc
	v_add_f32_e32 v120, 1.0, v120
	v_rcp_f32_e32 v120, v120
	s_nop 0
	v_fma_f32 v120, v120, -2.0, 1.0
.LBB25_69:                              ;   in Loop: Header=BB25_51 Depth=2
	s_andn2_saveexec_b64 s[12:13], s[12:13]
; %bb.70:                               ;   in Loop: Header=BB25_51 Depth=2
	v_mul_f32_e32 v120, v22, v22
	v_fmamk_f32 v121, v120, 0xbbbac73d, v196
	v_fmaak_f32 v121, v120, v121, 0xbd5c1c4e
	v_fmaak_f32 v121, v120, v121, 0x3e088382
	;; [unrolled: 1-line block ×3, first 2 shown]
	v_mul_f32_e64 v121, |v22|, v121
	v_fma_f32 v120, v120, v121, |v22|
; %bb.71:                               ;   in Loop: Header=BB25_51 Depth=2
	s_or_b64 exec, exec, s[12:13]
	v_cmp_nlt_f32_e64 s[12:13], |v23|, s39
                                        ; implicit-def: $vgpr121
	s_and_saveexec_b64 s[84:85], s[12:13]
	s_xor_b64 s[12:13], exec, s[84:85]
	s_cbranch_execz .LBB25_73
; %bb.72:                               ;   in Loop: Header=BB25_51 Depth=2
	v_add_f32_e64 v121, |v23|, |v23|
	v_mul_f32_e32 v122, 0x3fb8aa3b, v121
	v_rndne_f32_e32 v123, v122
	v_sub_f32_e32 v126, v122, v123
	v_fma_f32 v122, v121, s67, -v122
	v_fmac_f32_e32 v122, 0x32a5705f, v121
	v_add_f32_e32 v122, v126, v122
	v_cvt_i32_f32_e32 v123, v123
	v_exp_f32_e32 v122, v122
	v_cmp_ngt_f32_e32 vcc, s33, v121
	v_ldexp_f32 v122, v122, v123
	s_nop 0
	v_cndmask_b32_e32 v122, 0, v122, vcc
	v_cmp_nlt_f32_e32 vcc, s6, v121
	s_nop 1
	v_cndmask_b32_e32 v121, v198, v122, vcc
	v_add_f32_e32 v121, 1.0, v121
	v_rcp_f32_e32 v121, v121
	s_nop 0
	v_fma_f32 v121, v121, -2.0, 1.0
.LBB25_73:                              ;   in Loop: Header=BB25_51 Depth=2
	s_andn2_saveexec_b64 s[12:13], s[12:13]
; %bb.74:                               ;   in Loop: Header=BB25_51 Depth=2
	v_mul_f32_e32 v121, v23, v23
	v_fmamk_f32 v122, v121, 0xbbbac73d, v196
	v_fmaak_f32 v122, v121, v122, 0xbd5c1c4e
	v_fmaak_f32 v122, v121, v122, 0x3e088382
	;; [unrolled: 1-line block ×3, first 2 shown]
	v_mul_f32_e64 v122, |v23|, v122
	v_fma_f32 v121, v121, v122, |v23|
; %bb.75:                               ;   in Loop: Header=BB25_51 Depth=2
	s_or_b64 exec, exec, s[12:13]
	v_cmp_nlt_f32_e64 s[12:13], |v24|, s39
                                        ; implicit-def: $vgpr122
	s_and_saveexec_b64 s[84:85], s[12:13]
	s_xor_b64 s[12:13], exec, s[84:85]
	s_cbranch_execz .LBB25_77
; %bb.76:                               ;   in Loop: Header=BB25_51 Depth=2
	v_add_f32_e64 v122, |v24|, |v24|
	v_mul_f32_e32 v123, 0x3fb8aa3b, v122
	v_rndne_f32_e32 v126, v123
	v_sub_f32_e32 v127, v123, v126
	v_fma_f32 v123, v122, s67, -v123
	v_fmac_f32_e32 v123, 0x32a5705f, v122
	v_add_f32_e32 v123, v127, v123
	v_cvt_i32_f32_e32 v126, v126
	v_exp_f32_e32 v123, v123
	v_cmp_ngt_f32_e32 vcc, s33, v122
	v_ldexp_f32 v123, v123, v126
	s_nop 0
	v_cndmask_b32_e32 v123, 0, v123, vcc
	v_cmp_nlt_f32_e32 vcc, s6, v122
	s_nop 1
	v_cndmask_b32_e32 v122, v198, v123, vcc
	v_add_f32_e32 v122, 1.0, v122
	v_rcp_f32_e32 v122, v122
	s_nop 0
	v_fma_f32 v122, v122, -2.0, 1.0
.LBB25_77:                              ;   in Loop: Header=BB25_51 Depth=2
	s_andn2_saveexec_b64 s[12:13], s[12:13]
; %bb.78:                               ;   in Loop: Header=BB25_51 Depth=2
	v_mul_f32_e32 v122, v24, v24
	v_fmamk_f32 v123, v122, 0xbbbac73d, v196
	v_fmaak_f32 v123, v122, v123, 0xbd5c1c4e
	v_fmaak_f32 v123, v122, v123, 0x3e088382
	;; [unrolled: 1-line block ×3, first 2 shown]
	v_mul_f32_e64 v123, |v24|, v123
	v_fma_f32 v122, v122, v123, |v24|
; %bb.79:                               ;   in Loop: Header=BB25_51 Depth=2
	s_or_b64 exec, exec, s[12:13]
	v_cmp_nlt_f32_e64 s[12:13], |v25|, s39
                                        ; implicit-def: $vgpr123
	s_and_saveexec_b64 s[84:85], s[12:13]
	s_xor_b64 s[12:13], exec, s[84:85]
	s_cbranch_execz .LBB25_81
; %bb.80:                               ;   in Loop: Header=BB25_51 Depth=2
	v_add_f32_e64 v123, |v25|, |v25|
	v_mul_f32_e32 v126, 0x3fb8aa3b, v123
	v_rndne_f32_e32 v127, v126
	v_sub_f32_e32 v128, v126, v127
	v_fma_f32 v126, v123, s67, -v126
	v_fmac_f32_e32 v126, 0x32a5705f, v123
	v_add_f32_e32 v126, v128, v126
	v_cvt_i32_f32_e32 v127, v127
	v_exp_f32_e32 v126, v126
	v_cmp_ngt_f32_e32 vcc, s33, v123
	v_ldexp_f32 v126, v126, v127
	s_nop 0
	v_cndmask_b32_e32 v126, 0, v126, vcc
	v_cmp_nlt_f32_e32 vcc, s6, v123
	s_nop 1
	v_cndmask_b32_e32 v123, v198, v126, vcc
	v_add_f32_e32 v123, 1.0, v123
	v_rcp_f32_e32 v123, v123
	s_nop 0
	v_fma_f32 v123, v123, -2.0, 1.0
.LBB25_81:                              ;   in Loop: Header=BB25_51 Depth=2
	s_andn2_saveexec_b64 s[12:13], s[12:13]
; %bb.82:                               ;   in Loop: Header=BB25_51 Depth=2
	v_mul_f32_e32 v123, v25, v25
	v_fmamk_f32 v126, v123, 0xbbbac73d, v196
	v_fmaak_f32 v126, v123, v126, 0xbd5c1c4e
	v_fmaak_f32 v126, v123, v126, 0x3e088382
	;; [unrolled: 1-line block ×3, first 2 shown]
	v_mul_f32_e64 v126, |v25|, v126
	v_fma_f32 v123, v123, v126, |v25|
; %bb.83:                               ;   in Loop: Header=BB25_51 Depth=2
	s_or_b64 exec, exec, s[12:13]
	v_bfi_b32 v30, s7, v30, v18
	v_add_u32_e32 v18, 0x4400, v139
	v_bfi_b32 v41, s7, v41, v19
	ds_read2_b32 v[18:19], v18 offset1:1
	v_bfi_b32 v21, s7, v45, v21
	v_bfi_b32 v20, s7, v44, v20
	;; [unrolled: 1-line block ×4, first 2 shown]
	s_waitcnt lgkmcnt(0)
	v_fma_mix_f32 v20, s3, v20, v19 op_sel_hi:[0,0,1]
	v_fma_mix_f32 v19, s3, v21, v19 op_sel:[0,0,1] op_sel_hi:[0,0,1]
	ds_read_b32 v21, v145 offset:17408
	v_bfi_b32 v24, s7, v122, v24
	v_bfi_b32 v25, s7, v123, v25
	v_fma_mix_f32 v30, s3, v30, v18 op_sel_hi:[0,0,1]
	v_fma_mix_f32 v18, s3, v41, v18 op_sel:[0,0,1] op_sel_hi:[0,0,1]
	s_waitcnt lgkmcnt(0)
	v_fma_mix_f32 v44, s3, v22, v21 op_sel_hi:[0,0,1]
	ds_read_b32 v22, v146 offset:17408
	v_fma_mix_f32 v21, s3, v23, v21 op_sel:[0,0,1] op_sel_hi:[0,0,1]
	v_add_f32_e32 v23, 0x40051340, v18
	s_mul_hi_i32 s13, s8, s14
	s_mul_i32 s12, s8, s14
	s_waitcnt lgkmcnt(0)
	v_fma_mix_f32 v120, s3, v24, v22 op_sel_hi:[0,0,1]
	v_fma_mix_f32 v25, s3, v25, v22 op_sel:[0,0,1] op_sel_hi:[0,0,1]
	v_add_f32_e32 v22, 0x40051340, v30
	v_max3_f32 v22, v27, v22, v23
	v_add_f32_e32 v23, 0x40051340, v20
	v_add_f32_e32 v24, 0x40051340, v19
	v_max3_f32 v22, v22, v23, v24
	v_add_f32_e32 v23, 0x40051340, v44
	;; [unrolled: 3-line block ×3, first 2 shown]
	v_add_f32_e32 v24, 0x40051340, v25
	v_max3_f32 v22, v22, v23, v24
	ds_bpermute_b32 v23, v124, v22
	s_lshl_b64 s[12:13], s[12:13], 2
	s_add_u32 s12, s63, s12
	s_addc_u32 s13, s64, s13
	s_add_i32 s82, s82, 1
	s_waitcnt lgkmcnt(0)
	v_max_f32_e32 v23, v23, v23
	v_max_f32_e32 v22, v22, v23
	ds_bpermute_b32 v23, v125, v22
	s_add_i32 s8, s8, 64
	s_cmp_lt_i32 s82, s83
	s_waitcnt lgkmcnt(0)
	v_max_f32_e32 v23, v23, v23
	v_max_f32_e32 v122, v22, v23
	v_sub_f32_e32 v22, v30, v122
	v_mul_f32_e32 v23, 0x3fb8aa3b, v22
	v_fma_f32 v24, v22, s67, -v23
	v_rndne_f32_e32 v30, v23
	v_fmac_f32_e32 v24, 0x32a5705f, v22
	v_sub_f32_e32 v23, v23, v30
	v_add_f32_e32 v23, v23, v24
	v_exp_f32_e32 v23, v23
	v_cvt_i32_f32_e32 v24, v30
	v_cmp_ngt_f32_e32 vcc, s33, v22
	v_sub_f32_e32 v18, v18, v122
	v_sub_f32_e32 v20, v20, v122
	v_ldexp_f32 v23, v23, v24
	v_cndmask_b32_e32 v23, 0, v23, vcc
	v_cmp_nlt_f32_e32 vcc, s6, v22
	v_sub_f32_e32 v19, v19, v122
	s_nop 0
	v_cndmask_b32_e32 v22, v198, v23, vcc
	v_mul_f32_e32 v23, 0x3fb8aa3b, v18
	v_fma_f32 v24, v18, s67, -v23
	v_rndne_f32_e32 v30, v23
	v_fmac_f32_e32 v24, 0x32a5705f, v18
	v_sub_f32_e32 v23, v23, v30
	v_add_f32_e32 v23, v23, v24
	v_exp_f32_e32 v23, v23
	v_cvt_i32_f32_e32 v24, v30
	v_cmp_ngt_f32_e32 vcc, s33, v18
	v_ldexp_f32 v23, v23, v24
	v_mul_f32_e32 v24, 0x3fb8aa3b, v20
	v_fma_f32 v30, v20, s67, -v24
	v_rndne_f32_e32 v41, v24
	v_fmac_f32_e32 v30, 0x32a5705f, v20
	v_sub_f32_e32 v24, v24, v41
	v_add_f32_e32 v24, v24, v30
	v_exp_f32_e32 v24, v24
	v_cvt_i32_f32_e32 v30, v41
	v_cndmask_b32_e32 v23, 0, v23, vcc
	v_cmp_nlt_f32_e32 vcc, s6, v18
	v_ldexp_f32 v24, v24, v30
	s_nop 0
	v_cndmask_b32_e32 v23, v198, v23, vcc
	v_cmp_ngt_f32_e32 vcc, s33, v20
	v_add_f32_e32 v18, v22, v23
	s_nop 0
	v_cndmask_b32_e32 v24, 0, v24, vcc
	v_cmp_nlt_f32_e32 vcc, s6, v20
	v_mul_f32_e32 v20, 0x3fb8aa3b, v19
	v_fma_f32 v30, v19, s67, -v20
	v_rndne_f32_e32 v41, v20
	v_fmac_f32_e32 v30, 0x32a5705f, v19
	v_sub_f32_e32 v20, v20, v41
	v_add_f32_e32 v20, v20, v30
	v_exp_f32_e32 v20, v20
	v_cvt_i32_f32_e32 v30, v41
	v_cndmask_b32_e32 v24, v198, v24, vcc
	v_cmp_ngt_f32_e32 vcc, s33, v19
	v_add_f32_e32 v18, v24, v18
	v_ldexp_f32 v20, v20, v30
	v_cndmask_b32_e32 v20, 0, v20, vcc
	v_cmp_nlt_f32_e32 vcc, s6, v19
	v_sub_f32_e32 v19, v44, v122
	s_nop 0
	v_cndmask_b32_e32 v41, v198, v20, vcc
	v_mul_f32_e32 v20, 0x3fb8aa3b, v19
	v_fma_f32 v30, v19, s67, -v20
	v_rndne_f32_e32 v44, v20
	v_fmac_f32_e32 v30, 0x32a5705f, v19
	v_sub_f32_e32 v20, v20, v44
	v_add_f32_e32 v20, v20, v30
	v_exp_f32_e32 v20, v20
	v_cvt_i32_f32_e32 v30, v44
	v_cmp_ngt_f32_e32 vcc, s33, v19
	v_add_f32_e32 v18, v41, v18
	v_ldexp_f32 v20, v20, v30
	v_cndmask_b32_e32 v20, 0, v20, vcc
	v_cmp_nlt_f32_e32 vcc, s6, v19
	v_sub_f32_e32 v19, v21, v122
	s_nop 0
	v_cndmask_b32_e32 v44, v198, v20, vcc
	v_mul_f32_e32 v20, 0x3fb8aa3b, v19
	v_fma_f32 v21, v19, s67, -v20
	v_rndne_f32_e32 v30, v20
	v_fmac_f32_e32 v21, 0x32a5705f, v19
	v_sub_f32_e32 v20, v20, v30
	v_add_f32_e32 v20, v20, v21
	v_exp_f32_e32 v20, v20
	v_cvt_i32_f32_e32 v21, v30
	;; [unrolled: 16-line block ×4, first 2 shown]
	v_cmp_ngt_f32_e32 vcc, s33, v19
	v_add_f32_e32 v18, v128, v18
	v_ldexp_f32 v20, v20, v21
	v_cndmask_b32_e32 v20, 0, v20, vcc
	v_cmp_nlt_f32_e32 vcc, s6, v19
	s_nop 1
	v_cndmask_b32_e32 v129, v198, v20, vcc
	v_add_f32_e32 v123, v129, v18
	v_sub_f32_e32 v18, v27, v122
	v_mul_f32_e32 v19, 0x3fb8aa3b, v18
	v_fma_f32 v20, v18, s67, -v19
	v_rndne_f32_e32 v21, v19
	v_fmac_f32_e32 v20, 0x32a5705f, v18
	v_sub_f32_e32 v19, v19, v21
	v_add_f32_e32 v19, v19, v20
	v_exp_f32_e32 v19, v19
	v_cvt_i32_f32_e32 v20, v21
	v_cmp_ngt_f32_e32 vcc, s33, v18
	v_ldexp_f32 v19, v19, v20
	s_nop 0
	v_cndmask_b32_e32 v19, 0, v19, vcc
	v_cmp_nlt_f32_e32 vcc, s6, v18
	v_lshl_add_u64 v[20:21], v[64:65], 2, s[12:13]
	s_nop 0
	v_cndmask_b32_e32 v19, v198, v19, vcc
	v_cmp_le_f32_e32 vcc, s87, v18
	s_nop 1
	v_cndmask_b32_e32 v18, 0, v19, vcc
	v_fmac_f32_e32 v123, v26, v18
	v_cvt_f16_f32_e32 v18, v18
	v_mul_u32_u24_e32 v18, 0x10001, v18
	v_pk_mul_f16 v40, v40, v18
	v_pk_mul_f16 v37, v37, v18
	;; [unrolled: 1-line block ×16, first 2 shown]
	v_lshl_add_u64 v[18:19], v[62:63], 2, s[12:13]
	v_lshl_add_u64 v[28:29], v[20:21], 0, v[52:53]
	;; [unrolled: 1-line block ×7, first 2 shown]
	global_load_dwordx4 v[18:21], v[18:19], off
	v_cvt_f32_f16_e32 v130, v26
	v_cvt_f32_f16_sdwa v131, v26 dst_sel:DWORD dst_unused:UNUSED_PAD src0_sel:WORD_1
	s_waitcnt vmcnt(0)
	ds_write_b128 v138, v[18:21]
	global_load_dwordx4 v[18:21], v[28:29], off
	s_waitcnt vmcnt(0)
	ds_write_b128 v175, v[18:21]
	global_load_dwordx4 v[18:21], v[118:119], off
	v_cvt_pk_f16_f32 v119, v128, v129
	v_cvt_pk_f16_f32 v118, v44, v45
	v_cvt_f32_f16_e32 v128, v27
	v_cvt_f32_f16_sdwa v129, v27 dst_sel:DWORD dst_unused:UNUSED_PAD src0_sel:WORD_1
	s_waitcnt vmcnt(0)
	ds_write_b128 v176, v[18:21]
	global_load_dwordx4 v[18:21], v[120:121], off
	v_cvt_pk_f16_f32 v121, v24, v41
	v_cvt_pk_f16_f32 v120, v22, v23
	s_waitcnt vmcnt(0)
	ds_write_b128 v177, v[18:21]
	s_waitcnt lgkmcnt(0)
	s_barrier
	ds_read_u16 v28, v140 offset:272
	ds_read_u16 v29, v140 offset:544
	ds_read_u16 v31, v141
	ds_read_u16 v36, v141 offset:32
	v_cvt_f32_f16_e32 v20, v37
	v_cvt_f32_f16_sdwa v21, v37 dst_sel:DWORD dst_unused:UNUSED_PAD src0_sel:WORD_1
	v_cvt_f32_f16_e32 v18, v40
	s_waitcnt lgkmcnt(1)
	v_perm_b32 v29, v31, v29, s2
	ds_read_u16 v31, v140
	ds_read_u16 v37, v140 offset:32
	v_cvt_f32_f16_sdwa v19, v40 dst_sel:DWORD dst_unused:UNUSED_PAD src0_sel:WORD_1
	s_waitcnt lgkmcnt(1)
	v_perm_b32 v28, v28, v31, s2
	s_nop 1
	v_mfma_f32_16x16x16_f16 v[18:21], v[28:29], v[120:121], v[18:21]
	ds_read_u16 v22, v140 offset:8704
	ds_read_u16 v24, v140 offset:8976
	ds_read_u16 v23, v140 offset:9248
	ds_read_u16 v28, v141 offset:8704
	s_nop 3
	v_cvt_f16_f32_e32 v18, v18
	v_cvt_f16_f32_e32 v19, v19
	;; [unrolled: 1-line block ×4, first 2 shown]
	s_waitcnt lgkmcnt(0)
	v_perm_b32 v23, v28, v23, s2
	ds_read_u16 v28, v140 offset:304
	ds_read_u16 v29, v140 offset:576
	v_perm_b32 v22, v24, v22, s2
	v_cvt_f32_f16_e32 v18, v18
	v_cvt_f32_f16_e32 v19, v19
	;; [unrolled: 1-line block ×4, first 2 shown]
	s_waitcnt lgkmcnt(0)
	v_perm_b32 v29, v36, v29, s2
	v_perm_b32 v28, v28, v37, s2
	v_mfma_f32_16x16x16_f16 v[18:21], v[22:23], v[118:119], v[18:21]
	v_cvt_f32_f16_e32 v22, v33
	v_cvt_f32_f16_sdwa v23, v33 dst_sel:DWORD dst_unused:UNUSED_PAD src0_sel:WORD_1
	v_cvt_f32_f16_e32 v24, v25
	v_cvt_f32_f16_sdwa v25, v25 dst_sel:DWORD dst_unused:UNUSED_PAD src0_sel:WORD_1
	s_nop 1
	v_mfma_f32_16x16x16_f16 v[22:25], v[28:29], v[120:121], v[22:25]
	ds_read_u16 v28, v140 offset:8736
	ds_read_u16 v31, v140 offset:9008
	;; [unrolled: 1-line block ×4, first 2 shown]
	s_nop 3
	v_cvt_f16_f32_e32 v22, v22
	v_cvt_f16_f32_e32 v23, v23
	;; [unrolled: 1-line block ×4, first 2 shown]
	s_waitcnt lgkmcnt(0)
	v_perm_b32 v29, v33, v29, s2
	v_perm_b32 v28, v31, v28, s2
	v_cvt_f32_f16_e32 v22, v22
	v_cvt_f32_f16_e32 v23, v23
	v_cvt_f32_f16_e32 v24, v24
	v_cvt_f32_f16_e32 v25, v25
	s_nop 1
	v_mfma_f32_16x16x16_f16 v[22:25], v[28:29], v[118:119], v[22:25]
	ds_read_u16 v28, v140 offset:64
	ds_read_u16 v29, v140 offset:336
	;; [unrolled: 1-line block ×4, first 2 shown]
	s_waitcnt lgkmcnt(2)
	v_perm_b32 v26, v29, v28, s2
	s_waitcnt lgkmcnt(0)
	v_perm_b32 v27, v33, v31, s2
	ds_read_u16 v31, v140 offset:8768
	ds_read_u16 v33, v140 offset:9040
	;; [unrolled: 1-line block ×4, first 2 shown]
	v_mfma_f32_16x16x16_f16 v[26:29], v[26:27], v[120:121], v[128:131]
	s_waitcnt lgkmcnt(0)
	v_perm_b32 v37, v37, v36, s2
	v_perm_b32 v36, v33, v31, s2
	v_cvt_f32_f16_e32 v130, v30
	s_nop 3
	v_cvt_f16_f32_e32 v26, v26
	v_cvt_f16_f32_e32 v27, v27
	;; [unrolled: 1-line block ×4, first 2 shown]
	v_cvt_f32_f16_e32 v26, v26
	v_cvt_f32_f16_e32 v27, v27
	;; [unrolled: 1-line block ×4, first 2 shown]
	v_cvt_f32_f16_sdwa v131, v30 dst_sel:DWORD dst_unused:UNUSED_PAD src0_sel:WORD_1
	v_cvt_f32_f16_e32 v128, v32
	v_mfma_f32_16x16x16_f16 v[26:29], v[36:37], v[118:119], v[26:29]
	ds_read_u16 v33, v140 offset:96
	ds_read_u16 v36, v140 offset:368
	;; [unrolled: 1-line block ×4, first 2 shown]
	v_cvt_f32_f16_sdwa v129, v32 dst_sel:DWORD dst_unused:UNUSED_PAD src0_sel:WORD_1
	s_waitcnt lgkmcnt(2)
	v_perm_b32 v30, v36, v33, s2
	s_nop 0
	v_cvt_pk_f16_f32 v28, v28, v29
	s_waitcnt lgkmcnt(0)
	v_perm_b32 v31, v37, v31, s2
	ds_read_u16 v36, v140 offset:8800
	ds_read_u16 v40, v140 offset:9072
	;; [unrolled: 1-line block ×4, first 2 shown]
	v_mfma_f32_16x16x16_f16 v[30:33], v[30:31], v[120:121], v[128:131]
	s_waitcnt lgkmcnt(0)
	v_perm_b32 v37, v41, v37, s2
	v_perm_b32 v36, v40, v36, s2
	v_cvt_f32_f16_e32 v128, v35
	s_nop 3
	v_cvt_f16_f32_e32 v30, v30
	v_cvt_f16_f32_e32 v31, v31
	;; [unrolled: 1-line block ×4, first 2 shown]
	v_cvt_f32_f16_e32 v30, v30
	v_cvt_f32_f16_e32 v31, v31
	;; [unrolled: 1-line block ×4, first 2 shown]
	v_cvt_f32_f16_sdwa v129, v35 dst_sel:DWORD dst_unused:UNUSED_PAD src0_sel:WORD_1
	v_cvt_f32_f16_e32 v130, v34
	v_mfma_f32_16x16x16_f16 v[30:33], v[36:37], v[118:119], v[30:33]
	ds_read_u16 v36, v140 offset:128
	ds_read_u16 v37, v140 offset:400
	;; [unrolled: 1-line block ×4, first 2 shown]
	v_cvt_f32_f16_sdwa v131, v34 dst_sel:DWORD dst_unused:UNUSED_PAD src0_sel:WORD_1
	v_cvt_pk_f16_f32 v29, v24, v25
	s_waitcnt lgkmcnt(2)
	v_perm_b32 v34, v37, v36, s2
	s_waitcnt lgkmcnt(0)
	v_perm_b32 v35, v41, v40, s2
	ds_read_u16 v40, v140 offset:8832
	ds_read_u16 v44, v140 offset:9104
	;; [unrolled: 1-line block ×4, first 2 shown]
	v_mfma_f32_16x16x16_f16 v[34:37], v[34:35], v[120:121], v[128:131]
	s_waitcnt lgkmcnt(0)
	v_perm_b32 v41, v45, v41, s2
	v_perm_b32 v40, v44, v40, s2
	v_cvt_f32_f16_e32 v128, v39
	s_nop 3
	v_cvt_f16_f32_e32 v34, v34
	v_cvt_f16_f32_e32 v35, v35
	;; [unrolled: 1-line block ×4, first 2 shown]
	v_cvt_f32_f16_e32 v34, v34
	v_cvt_f32_f16_e32 v35, v35
	;; [unrolled: 1-line block ×4, first 2 shown]
	v_cvt_f32_f16_sdwa v129, v39 dst_sel:DWORD dst_unused:UNUSED_PAD src0_sel:WORD_1
	v_cvt_f32_f16_e32 v130, v38
	v_mfma_f32_16x16x16_f16 v[34:37], v[40:41], v[118:119], v[34:37]
	ds_read_u16 v40, v140 offset:160
	ds_read_u16 v41, v140 offset:432
	;; [unrolled: 1-line block ×4, first 2 shown]
	v_cvt_f32_f16_sdwa v131, v38 dst_sel:DWORD dst_unused:UNUSED_PAD src0_sel:WORD_1
	s_waitcnt lgkmcnt(2)
	v_perm_b32 v38, v41, v40, s2
	s_nop 0
	v_cvt_pk_f16_f32 v35, v34, v35
	s_waitcnt lgkmcnt(0)
	v_perm_b32 v39, v45, v44, s2
	v_cvt_pk_f16_f32 v34, v36, v37
	v_cvt_pk_f16_f32 v36, v30, v31
	v_mfma_f32_16x16x16_f16 v[38:41], v[38:39], v[120:121], v[128:131]
	ds_read_u16 v44, v140 offset:8864
	ds_read_u16 v52, v140 offset:9136
	;; [unrolled: 1-line block ×4, first 2 shown]
	v_cvt_f32_f16_sdwa v129, v43 dst_sel:DWORD dst_unused:UNUSED_PAD src0_sel:WORD_1
	v_cvt_f32_f16_e32 v130, v42
	s_nop 1
	v_cvt_f16_f32_e32 v38, v38
	v_cvt_f16_f32_e32 v39, v39
	v_cvt_f16_f32_e32 v40, v40
	v_cvt_f16_f32_e32 v41, v41
	s_waitcnt lgkmcnt(0)
	v_perm_b32 v45, v128, v45, s2
	v_perm_b32 v44, v52, v44, s2
	v_cvt_f32_f16_e32 v38, v38
	v_cvt_f32_f16_e32 v39, v39
	;; [unrolled: 1-line block ×5, first 2 shown]
	v_cvt_f32_f16_sdwa v131, v42 dst_sel:DWORD dst_unused:UNUSED_PAD src0_sel:WORD_1
	v_mfma_f32_16x16x16_f16 v[38:41], v[44:45], v[118:119], v[38:41]
	ds_read_u16 v44, v140 offset:192
	ds_read_u16 v45, v140 offset:464
	;; [unrolled: 1-line block ×4, first 2 shown]
	v_cvt_pk_f16_f32 v31, v32, v33
	v_cvt_pk_f16_f32 v32, v26, v27
	s_waitcnt lgkmcnt(2)
	v_perm_b32 v42, v45, v44, s2
	v_cvt_pk_f16_f32 v39, v38, v39
	s_waitcnt lgkmcnt(0)
	v_perm_b32 v43, v132, v52, s2
	v_cvt_pk_f16_f32 v38, v40, v41
	v_cvt_pk_f16_f32 v33, v22, v23
	v_mfma_f32_16x16x16_f16 v[42:45], v[42:43], v[120:121], v[128:131]
	ds_read_u16 v52, v140 offset:8896
	s_nop 1
	ds_read_u16 v128, v140 offset:9168
	ds_read_u16 v129, v140 offset:9440
	;; [unrolled: 1-line block ×3, first 2 shown]
	v_cvt_f32_f16_sdwa v131, v126 dst_sel:DWORD dst_unused:UNUSED_PAD src0_sel:WORD_1
	v_cvt_pk_f16_f32 v40, v18, v19
	v_cvt_f16_f32_e32 v42, v42
	v_cvt_f16_f32_e32 v43, v43
	v_cvt_f16_f32_e32 v44, v44
	v_cvt_f16_f32_e32 v45, v45
	s_waitcnt lgkmcnt(0)
	v_perm_b32 v129, v130, v129, s2
	v_perm_b32 v128, v128, v52, s2
	ds_read_u16 v52, v140 offset:224
	ds_read_u16 v132, v140 offset:496
	;; [unrolled: 1-line block ×4, first 2 shown]
	v_cvt_f32_f16_e32 v42, v42
	v_cvt_f32_f16_e32 v43, v43
	;; [unrolled: 1-line block ×5, first 2 shown]
	s_waitcnt lgkmcnt(2)
	v_perm_b32 v126, v132, v52, s2
	v_mfma_f32_16x16x16_f16 v[42:45], v[128:129], v[118:119], v[42:45]
	v_cvt_f32_f16_e32 v128, v127
	v_cvt_f32_f16_sdwa v129, v127 dst_sel:DWORD dst_unused:UNUSED_PAD src0_sel:WORD_1
	s_waitcnt lgkmcnt(0)
	v_perm_b32 v127, v134, v133, s2
	v_cvt_pk_f16_f32 v37, v20, v21
	s_nop 2
	v_cvt_pk_f16_f32 v43, v42, v43
	v_mfma_f32_16x16x16_f16 v[126:129], v[126:127], v[120:121], v[128:131]
	v_cvt_pk_f16_f32 v42, v44, v45
	s_nop 6
	v_cvt_f16_f32_e32 v121, v126
	v_cvt_f16_f32_e32 v126, v127
	;; [unrolled: 1-line block ×4, first 2 shown]
	ds_read_u16 v52, v140 offset:8928
	ds_read_u16 v120, v140 offset:9200
	ds_read_u16 v129, v140 offset:9472
	ds_read_u16 v134, v141 offset:8928
	v_cvt_f32_f16_e32 v130, v121
	v_cvt_f32_f16_e32 v131, v126
	s_waitcnt lgkmcnt(2)
	v_perm_b32 v120, v120, v52, s2
	v_cvt_f32_f16_e32 v132, v127
	s_waitcnt lgkmcnt(0)
	v_perm_b32 v121, v134, v129, s2
	v_cvt_f32_f16_e32 v133, v128
	s_barrier
	s_nop 0
	v_mfma_f32_16x16x16_f16 v[118:121], v[120:121], v[118:119], v[130:133]
	s_nop 7
	v_cvt_pk_f16_f32 v119, v118, v119
	v_cvt_pk_f16_f32 v118, v120, v121
	s_cbranch_scc0 .LBB25_87
; %bb.84:                               ;   in Loop: Header=BB25_51 Depth=2
	v_mov_b32_e32 v26, v123
	v_mov_b32_e32 v27, v122
	s_branch .LBB25_51
.LBB25_85:                              ;   in Loop: Header=BB25_12 Depth=1
	s_cbranch_execz .LBB25_11
	s_branch .LBB25_210
.LBB25_86:                              ;   in Loop: Header=BB25_12 Depth=1
	v_mov_b32_e32 v122, 0xfeffffff
	v_mov_b32_e32 v123, 0
	;; [unrolled: 1-line block ×18, first 2 shown]
.LBB25_87:                              ;   in Loop: Header=BB25_12 Depth=1
	s_lshl_b32 s8, s82, 6
	s_ashr_i32 s9, s8, 31
	s_lshl_b64 s[12:13], s[8:9], 1
	s_add_u32 s12, s76, s12
	s_addc_u32 s13, s77, s13
	v_lshl_add_u64 v[18:19], v[114:115], 1, s[12:13]
	v_lshlrev_b32_e32 v52, 1, v48
	v_lshl_add_u64 v[18:19], v[18:19], 0, v[52:53]
	global_load_dword v18, v[18:19], off
	s_mul_hi_i32 s13, s34, s8
	s_mul_i32 s12, s34, s8
	s_lshl_b64 s[12:13], s[12:13], 2
	s_add_u32 s12, s65, s12
	s_addc_u32 s13, s96, s13
	v_lshlrev_b32_e32 v52, 2, v50
	v_lshl_add_u64 v[20:21], v[56:57], 2, s[12:13]
	v_lshl_add_u64 v[22:23], v[20:21], 0, v[52:53]
	;; [unrolled: 1-line block ×6, first 2 shown]
	s_waitcnt vmcnt(0)
	ds_write_b32 v137, v18 offset:17408
	v_lshl_add_u64 v[18:19], v[54:55], 2, s[12:13]
	v_lshl_add_u64 v[18:19], v[18:19], 0, v[52:53]
	global_load_dwordx4 v[18:21], v[18:19], off
	s_waitcnt vmcnt(0)
	ds_write_b128 v138, v[18:21]
	global_load_dwordx4 v[18:21], v[22:23], off
	s_waitcnt vmcnt(0)
	ds_write_b128 v175, v[18:21]
	;; [unrolled: 3-line block ×3, first 2 shown]
	global_load_dwordx4 v[18:21], v[26:27], off
	v_add_u32_e32 v26, v173, v143
	s_waitcnt vmcnt(0)
	ds_write_b128 v177, v[18:21]
	s_waitcnt lgkmcnt(0)
	s_barrier
	ds_read2_b64 v[18:21], v26 offset1:4
	s_waitcnt lgkmcnt(0)
	v_mfma_f32_16x16x16_f16 v[22:25], v[18:19], v[14:15], 0
	v_mfma_f32_16x16x16_f16 v[18:21], v[20:21], v[16:17], v[22:25]
	s_nop 6
	ds_read2_b64 v[22:25], v26 offset0:8 offset1:12
	s_waitcnt lgkmcnt(0)
	v_mfma_f32_16x16x16_f16 v[18:21], v[22:23], v[10:11], v[18:21]
	v_mfma_f32_16x16x16_f16 v[18:21], v[24:25], v[12:13], v[18:21]
	ds_read2_b64 v[22:25], v26 offset0:16 offset1:20
	s_waitcnt lgkmcnt(0)
	v_mfma_f32_16x16x16_f16 v[18:21], v[22:23], v[6:7], v[18:21]
	v_mfma_f32_16x16x16_f16 v[18:21], v[24:25], v[8:9], v[18:21]
	ds_read2_b64 v[22:25], v26 offset0:24 offset1:28
	v_add_u32_e32 v26, 0x2000, v26
	s_waitcnt lgkmcnt(0)
	v_mfma_f32_16x16x16_f16 v[18:21], v[22:23], v[2:3], v[18:21]
	v_mfma_f32_16x16x16_f16 v[18:21], v[24:25], v[4:5], v[18:21]
	ds_read2_b64 v[22:25], v26 offset0:64 offset1:68
	s_waitcnt lgkmcnt(0)
	v_mfma_f32_16x16x16_f16 v[114:117], v[22:23], v[14:15], 0
	s_nop 4
	v_cmp_nlt_f32_e64 s[12:13], |v18|, s39
	v_mfma_f32_16x16x16_f16 v[14:17], v[24:25], v[16:17], v[114:117]
	ds_read2_b64 v[22:25], v26 offset0:72 offset1:76
	s_waitcnt lgkmcnt(0)
	v_mfma_f32_16x16x16_f16 v[14:17], v[22:23], v[10:11], v[14:17]
	v_mfma_f32_16x16x16_f16 v[10:13], v[24:25], v[12:13], v[14:17]
	s_nop 6
	ds_read2_b64 v[14:17], v26 offset0:80 offset1:84
	s_waitcnt lgkmcnt(0)
	v_mfma_f32_16x16x16_f16 v[10:13], v[14:15], v[6:7], v[10:13]
	v_mfma_f32_16x16x16_f16 v[6:9], v[16:17], v[8:9], v[10:13]
	s_nop 6
	ds_read2_b64 v[10:13], v26 offset0:88 offset1:92
	s_waitcnt lgkmcnt(0)
	v_mfma_f32_16x16x16_f16 v[6:9], v[10:11], v[2:3], v[6:9]
	s_barrier
	v_mfma_f32_16x16x16_f16 v[2:5], v[12:13], v[4:5], v[6:9]
                                        ; implicit-def: $vgpr6
	s_and_saveexec_b64 s[82:83], s[12:13]
	s_xor_b64 s[12:13], exec, s[82:83]
	s_cbranch_execz .LBB25_89
; %bb.88:                               ;   in Loop: Header=BB25_12 Depth=1
	s_nop 2
	v_add_f32_e64 v6, |v18|, |v18|
	v_mul_f32_e32 v7, 0x3fb8aa3b, v6
	v_rndne_f32_e32 v8, v7
	v_sub_f32_e32 v9, v7, v8
	v_fma_f32 v7, v6, s67, -v7
	v_fmac_f32_e32 v7, 0x32a5705f, v6
	v_add_f32_e32 v7, v9, v7
	v_cvt_i32_f32_e32 v8, v8
	v_exp_f32_e32 v7, v7
	v_cmp_ngt_f32_e32 vcc, s33, v6
	v_ldexp_f32 v7, v7, v8
	s_nop 0
	v_cndmask_b32_e32 v7, 0, v7, vcc
	v_cmp_nlt_f32_e32 vcc, s6, v6
	s_nop 1
	v_cndmask_b32_e32 v6, v198, v7, vcc
	v_add_f32_e32 v6, 1.0, v6
	v_rcp_f32_e32 v6, v6
	s_nop 0
	v_fma_f32 v6, v6, -2.0, 1.0
.LBB25_89:                              ;   in Loop: Header=BB25_12 Depth=1
	s_andn2_saveexec_b64 s[12:13], s[12:13]
; %bb.90:                               ;   in Loop: Header=BB25_12 Depth=1
	s_nop 1
	v_mul_f32_e32 v6, v18, v18
	v_fmamk_f32 v7, v6, 0xbbbac73d, v196
	v_fmaak_f32 v7, v6, v7, 0xbd5c1c4e
	v_fmaak_f32 v7, v6, v7, 0x3e088382
	;; [unrolled: 1-line block ×3, first 2 shown]
	v_mul_f32_e64 v7, |v18|, v7
	v_fma_f32 v6, v6, v7, |v18|
; %bb.91:                               ;   in Loop: Header=BB25_12 Depth=1
	s_or_b64 exec, exec, s[12:13]
	v_cmp_nlt_f32_e64 s[12:13], |v19|, s39
                                        ; implicit-def: $vgpr7
	s_and_saveexec_b64 s[82:83], s[12:13]
	s_xor_b64 s[12:13], exec, s[82:83]
	s_cbranch_execz .LBB25_93
; %bb.92:                               ;   in Loop: Header=BB25_12 Depth=1
	v_add_f32_e64 v7, |v19|, |v19|
	v_mul_f32_e32 v8, 0x3fb8aa3b, v7
	v_rndne_f32_e32 v9, v8
	v_sub_f32_e32 v10, v8, v9
	v_fma_f32 v8, v7, s67, -v8
	v_fmac_f32_e32 v8, 0x32a5705f, v7
	v_add_f32_e32 v8, v10, v8
	v_cvt_i32_f32_e32 v9, v9
	v_exp_f32_e32 v8, v8
	v_cmp_ngt_f32_e32 vcc, s33, v7
	v_ldexp_f32 v8, v8, v9
	s_nop 0
	v_cndmask_b32_e32 v8, 0, v8, vcc
	v_cmp_nlt_f32_e32 vcc, s6, v7
	s_nop 1
	v_cndmask_b32_e32 v7, v198, v8, vcc
	v_add_f32_e32 v7, 1.0, v7
	v_rcp_f32_e32 v7, v7
	s_nop 0
	v_fma_f32 v7, v7, -2.0, 1.0
.LBB25_93:                              ;   in Loop: Header=BB25_12 Depth=1
	s_andn2_saveexec_b64 s[12:13], s[12:13]
; %bb.94:                               ;   in Loop: Header=BB25_12 Depth=1
	v_mul_f32_e32 v7, v19, v19
	v_fmamk_f32 v8, v7, 0xbbbac73d, v196
	v_fmaak_f32 v8, v7, v8, 0xbd5c1c4e
	v_fmaak_f32 v8, v7, v8, 0x3e088382
	;; [unrolled: 1-line block ×3, first 2 shown]
	v_mul_f32_e64 v8, |v19|, v8
	v_fma_f32 v7, v7, v8, |v19|
; %bb.95:                               ;   in Loop: Header=BB25_12 Depth=1
	s_or_b64 exec, exec, s[12:13]
	v_cmp_nlt_f32_e64 s[12:13], |v20|, s39
                                        ; implicit-def: $vgpr8
	s_and_saveexec_b64 s[82:83], s[12:13]
	s_xor_b64 s[12:13], exec, s[82:83]
	s_cbranch_execz .LBB25_97
; %bb.96:                               ;   in Loop: Header=BB25_12 Depth=1
	v_add_f32_e64 v8, |v20|, |v20|
	v_mul_f32_e32 v9, 0x3fb8aa3b, v8
	v_rndne_f32_e32 v10, v9
	v_sub_f32_e32 v11, v9, v10
	v_fma_f32 v9, v8, s67, -v9
	v_fmac_f32_e32 v9, 0x32a5705f, v8
	v_add_f32_e32 v9, v11, v9
	v_cvt_i32_f32_e32 v10, v10
	v_exp_f32_e32 v9, v9
	v_cmp_ngt_f32_e32 vcc, s33, v8
	v_ldexp_f32 v9, v9, v10
	s_nop 0
	v_cndmask_b32_e32 v9, 0, v9, vcc
	v_cmp_nlt_f32_e32 vcc, s6, v8
	s_nop 1
	v_cndmask_b32_e32 v8, v198, v9, vcc
	v_add_f32_e32 v8, 1.0, v8
	v_rcp_f32_e32 v8, v8
	s_nop 0
	v_fma_f32 v8, v8, -2.0, 1.0
.LBB25_97:                              ;   in Loop: Header=BB25_12 Depth=1
	s_andn2_saveexec_b64 s[12:13], s[12:13]
; %bb.98:                               ;   in Loop: Header=BB25_12 Depth=1
	v_mul_f32_e32 v8, v20, v20
	v_fmamk_f32 v9, v8, 0xbbbac73d, v196
	v_fmaak_f32 v9, v8, v9, 0xbd5c1c4e
	v_fmaak_f32 v9, v8, v9, 0x3e088382
	;; [unrolled: 1-line block ×3, first 2 shown]
	v_mul_f32_e64 v9, |v20|, v9
	v_fma_f32 v8, v8, v9, |v20|
; %bb.99:                               ;   in Loop: Header=BB25_12 Depth=1
	s_or_b64 exec, exec, s[12:13]
	v_cmp_nlt_f32_e64 s[12:13], |v21|, s39
                                        ; implicit-def: $vgpr9
	s_and_saveexec_b64 s[82:83], s[12:13]
	s_xor_b64 s[12:13], exec, s[82:83]
	s_cbranch_execz .LBB25_101
; %bb.100:                              ;   in Loop: Header=BB25_12 Depth=1
	v_add_f32_e64 v9, |v21|, |v21|
	v_mul_f32_e32 v10, 0x3fb8aa3b, v9
	v_rndne_f32_e32 v11, v10
	v_sub_f32_e32 v12, v10, v11
	v_fma_f32 v10, v9, s67, -v10
	v_fmac_f32_e32 v10, 0x32a5705f, v9
	v_add_f32_e32 v10, v12, v10
	v_cvt_i32_f32_e32 v11, v11
	v_exp_f32_e32 v10, v10
	v_cmp_ngt_f32_e32 vcc, s33, v9
	v_ldexp_f32 v10, v10, v11
	s_nop 0
	v_cndmask_b32_e32 v10, 0, v10, vcc
	v_cmp_nlt_f32_e32 vcc, s6, v9
	s_nop 1
	v_cndmask_b32_e32 v9, v198, v10, vcc
	v_add_f32_e32 v9, 1.0, v9
	v_rcp_f32_e32 v9, v9
	s_nop 0
	v_fma_f32 v9, v9, -2.0, 1.0
.LBB25_101:                             ;   in Loop: Header=BB25_12 Depth=1
	s_andn2_saveexec_b64 s[12:13], s[12:13]
; %bb.102:                              ;   in Loop: Header=BB25_12 Depth=1
	v_mul_f32_e32 v9, v21, v21
	v_fmamk_f32 v10, v9, 0xbbbac73d, v196
	v_fmaak_f32 v10, v9, v10, 0xbd5c1c4e
	v_fmaak_f32 v10, v9, v10, 0x3e088382
	v_fmaak_f32 v10, v9, v10, 0xbeaaaa99
	v_mul_f32_e64 v10, |v21|, v10
	v_fma_f32 v9, v9, v10, |v21|
; %bb.103:                              ;   in Loop: Header=BB25_12 Depth=1
	s_or_b64 exec, exec, s[12:13]
	v_cmp_nlt_f32_e64 s[12:13], |v2|, s39
                                        ; implicit-def: $vgpr10
	s_and_saveexec_b64 s[82:83], s[12:13]
	s_xor_b64 s[12:13], exec, s[82:83]
	s_cbranch_execz .LBB25_105
; %bb.104:                              ;   in Loop: Header=BB25_12 Depth=1
	v_add_f32_e64 v10, |v2|, |v2|
	v_mul_f32_e32 v11, 0x3fb8aa3b, v10
	v_rndne_f32_e32 v12, v11
	v_sub_f32_e32 v13, v11, v12
	v_fma_f32 v11, v10, s67, -v11
	v_fmac_f32_e32 v11, 0x32a5705f, v10
	v_add_f32_e32 v11, v13, v11
	v_cvt_i32_f32_e32 v12, v12
	v_exp_f32_e32 v11, v11
	v_cmp_ngt_f32_e32 vcc, s33, v10
	v_ldexp_f32 v11, v11, v12
	s_nop 0
	v_cndmask_b32_e32 v11, 0, v11, vcc
	v_cmp_nlt_f32_e32 vcc, s6, v10
	s_nop 1
	v_cndmask_b32_e32 v10, v198, v11, vcc
	v_add_f32_e32 v10, 1.0, v10
	v_rcp_f32_e32 v10, v10
	s_nop 0
	v_fma_f32 v10, v10, -2.0, 1.0
.LBB25_105:                             ;   in Loop: Header=BB25_12 Depth=1
	s_andn2_saveexec_b64 s[12:13], s[12:13]
; %bb.106:                              ;   in Loop: Header=BB25_12 Depth=1
	v_mul_f32_e32 v10, v2, v2
	v_fmamk_f32 v11, v10, 0xbbbac73d, v196
	v_fmaak_f32 v11, v10, v11, 0xbd5c1c4e
	v_fmaak_f32 v11, v10, v11, 0x3e088382
	;; [unrolled: 1-line block ×3, first 2 shown]
	v_mul_f32_e64 v11, |v2|, v11
	v_fma_f32 v10, v10, v11, |v2|
; %bb.107:                              ;   in Loop: Header=BB25_12 Depth=1
	s_or_b64 exec, exec, s[12:13]
	v_cmp_nlt_f32_e64 s[12:13], |v3|, s39
                                        ; implicit-def: $vgpr11
	s_and_saveexec_b64 s[82:83], s[12:13]
	s_xor_b64 s[12:13], exec, s[82:83]
	s_cbranch_execz .LBB25_109
; %bb.108:                              ;   in Loop: Header=BB25_12 Depth=1
	v_add_f32_e64 v11, |v3|, |v3|
	v_mul_f32_e32 v12, 0x3fb8aa3b, v11
	v_rndne_f32_e32 v13, v12
	v_sub_f32_e32 v14, v12, v13
	v_fma_f32 v12, v11, s67, -v12
	v_fmac_f32_e32 v12, 0x32a5705f, v11
	v_add_f32_e32 v12, v14, v12
	v_cvt_i32_f32_e32 v13, v13
	v_exp_f32_e32 v12, v12
	v_cmp_ngt_f32_e32 vcc, s33, v11
	v_ldexp_f32 v12, v12, v13
	s_nop 0
	v_cndmask_b32_e32 v12, 0, v12, vcc
	v_cmp_nlt_f32_e32 vcc, s6, v11
	s_nop 1
	v_cndmask_b32_e32 v11, v198, v12, vcc
	v_add_f32_e32 v11, 1.0, v11
	v_rcp_f32_e32 v11, v11
	s_nop 0
	v_fma_f32 v11, v11, -2.0, 1.0
.LBB25_109:                             ;   in Loop: Header=BB25_12 Depth=1
	s_andn2_saveexec_b64 s[12:13], s[12:13]
; %bb.110:                              ;   in Loop: Header=BB25_12 Depth=1
	v_mul_f32_e32 v11, v3, v3
	v_fmamk_f32 v12, v11, 0xbbbac73d, v196
	v_fmaak_f32 v12, v11, v12, 0xbd5c1c4e
	v_fmaak_f32 v12, v11, v12, 0x3e088382
	;; [unrolled: 1-line block ×3, first 2 shown]
	v_mul_f32_e64 v12, |v3|, v12
	v_fma_f32 v11, v11, v12, |v3|
; %bb.111:                              ;   in Loop: Header=BB25_12 Depth=1
	s_or_b64 exec, exec, s[12:13]
	v_cmp_nlt_f32_e64 s[12:13], |v4|, s39
                                        ; implicit-def: $vgpr12
	s_and_saveexec_b64 s[82:83], s[12:13]
	s_xor_b64 s[12:13], exec, s[82:83]
	s_cbranch_execz .LBB25_113
; %bb.112:                              ;   in Loop: Header=BB25_12 Depth=1
	v_add_f32_e64 v12, |v4|, |v4|
	v_mul_f32_e32 v13, 0x3fb8aa3b, v12
	v_rndne_f32_e32 v14, v13
	v_sub_f32_e32 v15, v13, v14
	v_fma_f32 v13, v12, s67, -v13
	v_fmac_f32_e32 v13, 0x32a5705f, v12
	v_add_f32_e32 v13, v15, v13
	v_cvt_i32_f32_e32 v14, v14
	v_exp_f32_e32 v13, v13
	v_cmp_ngt_f32_e32 vcc, s33, v12
	v_ldexp_f32 v13, v13, v14
	s_nop 0
	v_cndmask_b32_e32 v13, 0, v13, vcc
	v_cmp_nlt_f32_e32 vcc, s6, v12
	s_nop 1
	v_cndmask_b32_e32 v12, v198, v13, vcc
	v_add_f32_e32 v12, 1.0, v12
	v_rcp_f32_e32 v12, v12
	s_nop 0
	v_fma_f32 v12, v12, -2.0, 1.0
.LBB25_113:                             ;   in Loop: Header=BB25_12 Depth=1
	s_andn2_saveexec_b64 s[12:13], s[12:13]
; %bb.114:                              ;   in Loop: Header=BB25_12 Depth=1
	v_mul_f32_e32 v12, v4, v4
	v_fmamk_f32 v13, v12, 0xbbbac73d, v196
	v_fmaak_f32 v13, v12, v13, 0xbd5c1c4e
	v_fmaak_f32 v13, v12, v13, 0x3e088382
	;; [unrolled: 1-line block ×3, first 2 shown]
	v_mul_f32_e64 v13, |v4|, v13
	v_fma_f32 v12, v12, v13, |v4|
; %bb.115:                              ;   in Loop: Header=BB25_12 Depth=1
	s_or_b64 exec, exec, s[12:13]
	v_cmp_nlt_f32_e64 s[12:13], |v5|, s39
                                        ; implicit-def: $vgpr13
	s_and_saveexec_b64 s[82:83], s[12:13]
	s_xor_b64 s[12:13], exec, s[82:83]
	s_cbranch_execz .LBB25_117
; %bb.116:                              ;   in Loop: Header=BB25_12 Depth=1
	v_add_f32_e64 v13, |v5|, |v5|
	v_mul_f32_e32 v14, 0x3fb8aa3b, v13
	v_rndne_f32_e32 v15, v14
	v_sub_f32_e32 v16, v14, v15
	v_fma_f32 v14, v13, s67, -v14
	v_fmac_f32_e32 v14, 0x32a5705f, v13
	v_add_f32_e32 v14, v16, v14
	v_cvt_i32_f32_e32 v15, v15
	v_exp_f32_e32 v14, v14
	v_cmp_ngt_f32_e32 vcc, s33, v13
	v_ldexp_f32 v14, v14, v15
	s_nop 0
	v_cndmask_b32_e32 v14, 0, v14, vcc
	v_cmp_nlt_f32_e32 vcc, s6, v13
	s_nop 1
	v_cndmask_b32_e32 v13, v198, v14, vcc
	v_add_f32_e32 v13, 1.0, v13
	v_rcp_f32_e32 v13, v13
	s_nop 0
	v_fma_f32 v13, v13, -2.0, 1.0
.LBB25_117:                             ;   in Loop: Header=BB25_12 Depth=1
	s_andn2_saveexec_b64 s[12:13], s[12:13]
; %bb.118:                              ;   in Loop: Header=BB25_12 Depth=1
	v_mul_f32_e32 v13, v5, v5
	v_fmamk_f32 v14, v13, 0xbbbac73d, v196
	v_fmaak_f32 v14, v13, v14, 0xbd5c1c4e
	v_fmaak_f32 v14, v13, v14, 0x3e088382
	;; [unrolled: 1-line block ×3, first 2 shown]
	v_mul_f32_e64 v14, |v5|, v14
	v_fma_f32 v13, v13, v14, |v5|
; %bb.119:                              ;   in Loop: Header=BB25_12 Depth=1
	s_or_b64 exec, exec, s[12:13]
	v_bfi_b32 v10, s7, v10, v2
	v_add_u32_e32 v2, 0x4400, v139
	v_bfi_b32 v11, s7, v11, v3
	ds_read2_b32 v[2:3], v2 offset1:1
	v_bfi_b32 v6, s7, v6, v18
	v_bfi_b32 v7, s7, v7, v19
	;; [unrolled: 1-line block ×3, first 2 shown]
	ds_read_b32 v12, v145 offset:17408
	s_waitcnt lgkmcnt(1)
	v_fma_mix_f32 v6, s3, v6, v2 op_sel_hi:[0,0,1]
	v_fma_mix_f32 v2, s3, v7, v2 op_sel:[0,0,1] op_sel_hi:[0,0,1]
	ds_read_b32 v7, v146 offset:17408
	v_bfi_b32 v9, s7, v9, v21
	v_bfi_b32 v8, s7, v8, v20
	;; [unrolled: 1-line block ×3, first 2 shown]
	v_fma_mix_f32 v8, s3, v8, v3 op_sel_hi:[0,0,1]
	v_fma_mix_f32 v3, s3, v9, v3 op_sel:[0,0,1] op_sel_hi:[0,0,1]
	s_waitcnt lgkmcnt(0)
	v_fma_mix_f32 v17, s3, v4, v7 op_sel_hi:[0,0,1]
	v_fma_mix_f32 v18, s3, v5, v7 op_sel:[0,0,1] op_sel_hi:[0,0,1]
	v_add_f32_e32 v4, 0x40051340, v6
	v_add_f32_e32 v5, 0x40051340, v2
	v_fma_mix_f32 v9, s3, v10, v12 op_sel_hi:[0,0,1]
	v_fma_mix_f32 v16, s3, v11, v12 op_sel:[0,0,1] op_sel_hi:[0,0,1]
	v_max3_f32 v4, v122, v4, v5
	v_add_f32_e32 v5, 0x40051340, v8
	v_add_f32_e32 v7, 0x40051340, v3
	v_max3_f32 v4, v4, v5, v7
	v_add_f32_e32 v5, 0x40051340, v9
	v_add_f32_e32 v7, 0x40051340, v16
	;; [unrolled: 3-line block ×3, first 2 shown]
	v_max3_f32 v4, v4, v5, v7
	v_and_b32_e32 v5, 64, v197
	v_add_u32_e32 v5, 64, v5
	v_xor_b32_e32 v7, 32, v197
	v_cmp_lt_i32_e32 vcc, v7, v5
	s_mul_hi_i32 s9, s8, s14
	s_mul_i32 s8, s8, s14
	v_cndmask_b32_e32 v7, v197, v7, vcc
	v_lshlrev_b32_e32 v27, 2, v7
	ds_bpermute_b32 v7, v27, v4
	s_lshl_b64 s[8:9], s[8:9], 2
	s_add_u32 s8, s63, s8
	s_addc_u32 s9, s64, s9
	s_cmp_lg_u64 s[74:75], 0
	s_waitcnt lgkmcnt(0)
	v_max_f32_e32 v7, v7, v7
	v_max_f32_e32 v4, v4, v7
	v_xor_b32_e32 v7, 16, v197
	v_cmp_lt_i32_e32 vcc, v7, v5
	s_nop 1
	v_cndmask_b32_e32 v5, v197, v7, vcc
	v_lshlrev_b32_e32 v30, 2, v5
	ds_bpermute_b32 v5, v30, v4
	s_waitcnt lgkmcnt(0)
	v_max_f32_e32 v5, v5, v5
	v_max_f32_e32 v26, v4, v5
	v_sub_f32_e32 v4, v6, v26
	v_mul_f32_e32 v5, 0x3fb8aa3b, v4
	v_fma_f32 v6, v4, s67, -v5
	v_rndne_f32_e32 v7, v5
	v_fmac_f32_e32 v6, 0x32a5705f, v4
	v_sub_f32_e32 v5, v5, v7
	v_add_f32_e32 v5, v5, v6
	v_exp_f32_e32 v5, v5
	v_cvt_i32_f32_e32 v6, v7
	v_sub_f32_e32 v2, v2, v26
	v_cmp_ngt_f32_e32 vcc, s33, v4
	v_sub_f32_e32 v3, v3, v26
	v_ldexp_f32 v5, v5, v6
	v_mul_f32_e32 v6, 0x3fb8aa3b, v2
	v_fma_f32 v7, v2, s67, -v6
	v_rndne_f32_e32 v10, v6
	v_fmac_f32_e32 v7, 0x32a5705f, v2
	v_sub_f32_e32 v6, v6, v10
	v_add_f32_e32 v6, v6, v7
	v_exp_f32_e32 v6, v6
	v_cvt_i32_f32_e32 v7, v10
	v_cndmask_b32_e32 v5, 0, v5, vcc
	v_cmp_nlt_f32_e32 vcc, s6, v4
	v_sub_f32_e32 v41, v9, v26
	v_ldexp_f32 v4, v6, v7
	v_cndmask_b32_e32 v19, v198, v5, vcc
	v_sub_f32_e32 v5, v8, v26
	v_mul_f32_e32 v6, 0x3fb8aa3b, v5
	v_fma_f32 v7, v5, s67, -v6
	v_rndne_f32_e32 v8, v6
	v_fmac_f32_e32 v7, 0x32a5705f, v5
	v_sub_f32_e32 v6, v6, v8
	v_add_f32_e32 v6, v6, v7
	v_exp_f32_e32 v6, v6
	v_cvt_i32_f32_e32 v7, v8
	v_cmp_ngt_f32_e32 vcc, s33, v2
	s_nop 1
	v_cndmask_b32_e32 v4, 0, v4, vcc
	v_cmp_nlt_f32_e32 vcc, s6, v2
	s_nop 1
	v_cndmask_b32_e32 v24, v198, v4, vcc
	v_ldexp_f32 v4, v6, v7
	v_mul_f32_e32 v6, 0x3fb8aa3b, v3
	v_fma_f32 v7, v3, s67, -v6
	v_rndne_f32_e32 v8, v6
	v_fmac_f32_e32 v7, 0x32a5705f, v3
	v_sub_f32_e32 v6, v6, v8
	v_add_f32_e32 v6, v6, v7
	v_exp_f32_e32 v6, v6
	v_cvt_i32_f32_e32 v7, v8
	v_cmp_ngt_f32_e32 vcc, s33, v5
	v_add_f32_e32 v2, v19, v24
	s_nop 0
	v_cndmask_b32_e32 v4, 0, v4, vcc
	v_cmp_nlt_f32_e32 vcc, s6, v5
	v_mul_f32_e32 v5, 0x3fb8aa3b, v41
	s_nop 0
	v_cndmask_b32_e32 v25, v198, v4, vcc
	v_ldexp_f32 v4, v6, v7
	v_fma_f32 v6, v41, s67, -v5
	v_rndne_f32_e32 v7, v5
	v_fmac_f32_e32 v6, 0x32a5705f, v41
	v_sub_f32_e32 v5, v5, v7
	v_add_f32_e32 v5, v5, v6
	v_exp_f32_e32 v5, v5
	v_cvt_i32_f32_e32 v6, v7
	v_cmp_ngt_f32_e32 vcc, s33, v3
	v_add_f32_e32 v2, v25, v2
	s_nop 0
	v_cndmask_b32_e32 v4, 0, v4, vcc
	v_cmp_nlt_f32_e32 vcc, s6, v3
	s_nop 1
	v_cndmask_b32_e32 v44, v198, v4, vcc
	v_add_f32_e32 v45, v44, v2
	v_ldexp_f32 v2, v5, v6
	v_cmp_ngt_f32_e32 vcc, s33, v41
	v_lshl_add_u64 v[4:5], v[64:65], 2, s[8:9]
	v_lshl_add_u64 v[6:7], v[4:5], 0, v[52:53]
	v_cndmask_b32_e32 v114, 0, v2, vcc
	v_lshl_add_u64 v[2:3], v[62:63], 2, s[8:9]
	v_lshl_add_u64 v[4:5], v[66:67], 2, s[8:9]
	;; [unrolled: 1-line block ×6, first 2 shown]
	global_load_dwordx4 v[2:5], v[2:3], off
	s_nop 0
	global_load_dwordx4 v[6:9], v[6:7], off
	s_nop 0
	;; [unrolled: 2-line block ×3, first 2 shown]
	global_load_dwordx4 v[20:23], v[14:15], off
	v_sub_f32_e32 v14, v16, v26
	v_mul_f32_e32 v15, 0x3fb8aa3b, v14
	v_fma_f32 v16, v14, s67, -v15
	v_rndne_f32_e32 v52, v15
	v_fmac_f32_e32 v16, 0x32a5705f, v14
	v_sub_f32_e32 v15, v15, v52
	v_add_f32_e32 v15, v15, v16
	v_exp_f32_e32 v15, v15
	v_cvt_i32_f32_e32 v16, v52
	v_cmp_nlt_f32_e32 vcc, s6, v41
	s_waitcnt vmcnt(3)
	ds_write_b128 v138, v[2:5]
	s_waitcnt vmcnt(2)
	ds_write_b128 v175, v[6:9]
	;; [unrolled: 2-line block ×4, first 2 shown]
	v_ldexp_f32 v15, v15, v16
	v_sub_f32_e32 v16, v17, v26
	v_cndmask_b32_e32 v52, v198, v114, vcc
	v_mul_f32_e32 v17, 0x3fb8aa3b, v16
	v_add_f32_e32 v41, v52, v45
	v_fma_f32 v45, v16, s67, -v17
	v_rndne_f32_e32 v114, v17
	v_fmac_f32_e32 v45, 0x32a5705f, v16
	v_sub_f32_e32 v17, v17, v114
	v_add_f32_e32 v17, v17, v45
	v_exp_f32_e32 v17, v17
	v_cvt_i32_f32_e32 v45, v114
	v_cmp_ngt_f32_e32 vcc, s33, v14
	s_waitcnt lgkmcnt(0)
	s_barrier
	v_cndmask_b32_e32 v15, 0, v15, vcc
	v_cmp_nlt_f32_e32 vcc, s6, v14
	ds_read_u16 v5, v140 offset:272
	ds_read_u16 v6, v140 offset:544
	ds_read_u16 v7, v141
	ds_read_u16 v8, v140
	v_cndmask_b32_e32 v114, v198, v15, vcc
	v_ldexp_f32 v15, v17, v45
	v_sub_f32_e32 v17, v18, v26
	v_mul_f32_e32 v18, 0x3fb8aa3b, v17
	v_add_f32_e32 v14, v114, v41
	v_fma_f32 v41, v17, s67, -v18
	v_rndne_f32_e32 v45, v18
	v_fmac_f32_e32 v41, 0x32a5705f, v17
	v_sub_f32_e32 v18, v18, v45
	v_add_f32_e32 v18, v18, v41
	v_exp_f32_e32 v18, v18
	v_cvt_i32_f32_e32 v41, v45
	v_cmp_ngt_f32_e32 vcc, s33, v16
	s_waitcnt lgkmcnt(1)
	v_perm_b32 v7, v7, v6, s2
	s_waitcnt lgkmcnt(0)
	v_perm_b32 v6, v5, v8, s2
	v_cndmask_b32_e32 v15, 0, v15, vcc
	v_cmp_nlt_f32_e32 vcc, s6, v16
	ds_read_u16 v9, v141 offset:32
	s_nop 0
	v_cndmask_b32_e32 v16, v198, v15, vcc
	v_ldexp_f32 v15, v18, v41
	v_sub_f32_e32 v18, v122, v26
	v_mul_f32_e32 v41, 0x3fb8aa3b, v18
	v_fma_f32 v45, v18, s67, -v41
	v_rndne_f32_e32 v115, v41
	v_fmac_f32_e32 v45, 0x32a5705f, v18
	v_sub_f32_e32 v41, v41, v115
	v_add_f32_e32 v41, v41, v45
	v_exp_f32_e32 v41, v41
	v_cvt_i32_f32_e32 v45, v115
	v_cmp_ngt_f32_e32 vcc, s33, v17
	v_cmp_ngt_f32_e64 s[8:9], s33, v18
	v_add_f32_e32 v14, v16, v14
	v_cndmask_b32_e32 v15, 0, v15, vcc
	v_cmp_nlt_f32_e32 vcc, s6, v17
	v_ldexp_f32 v17, v41, v45
	v_cndmask_b32_e64 v17, 0, v17, s[8:9]
	v_cmp_nlt_f32_e64 s[8:9], s6, v18
	v_cndmask_b32_e32 v45, v198, v15, vcc
	v_add_f32_e32 v41, v45, v14
	v_cndmask_b32_e64 v17, v198, v17, s[8:9]
	v_cmp_le_f32_e64 s[8:9], s87, v18
	s_nop 1
	v_cndmask_b32_e64 v17, 0, v17, s[8:9]
	v_cvt_f16_f32_e32 v18, v17
	v_fmac_f32_e32 v41, v123, v17
	ds_bpermute_b32 v27, v27, v41
	s_cselect_b64 s[8:9], -1, 0
	v_mul_u32_u24_e32 v115, 0x10001, v18
	v_pk_mul_f16 v17, v40, v115
	v_pk_mul_f16 v37, v37, v115
	v_cvt_f32_f16_e32 v2, v17
	v_cvt_f32_f16_sdwa v3, v17 dst_sel:DWORD dst_unused:UNUSED_PAD src0_sel:WORD_1
	v_cvt_f32_f16_e32 v4, v37
	v_cvt_f32_f16_sdwa v5, v37 dst_sel:DWORD dst_unused:UNUSED_PAD src0_sel:WORD_1
	v_pk_mul_f16 v40, v29, v115
	v_pk_mul_f16 v116, v28, v115
	v_cvt_pk_f16_f32 v29, v25, v44
	v_cvt_pk_f16_f32 v28, v19, v24
	v_pk_mul_f16 v33, v33, v115
	v_cvt_pk_f16_f32 v25, v16, v45
	v_mfma_f32_16x16x16_f16 v[2:5], v[6:7], v[28:29], v[2:5]
	ds_read_u16 v6, v140 offset:8704
	ds_read_u16 v7, v140 offset:9248
	;; [unrolled: 1-line block ×4, first 2 shown]
	v_cvt_pk_f16_f32 v24, v52, v114
	v_pk_mul_f16 v32, v32, v115
	s_nop 1
	v_cvt_f16_f32_e32 v2, v2
	v_cvt_f16_f32_e32 v3, v3
	;; [unrolled: 1-line block ×4, first 2 shown]
	s_waitcnt lgkmcnt(0)
	v_perm_b32 v6, v10, v6, s2
	ds_read_u16 v10, v140 offset:32
	ds_read_u16 v11, v140 offset:576
	;; [unrolled: 1-line block ×3, first 2 shown]
	v_perm_b32 v7, v8, v7, s2
	v_cvt_f32_f16_e32 v2, v2
	v_cvt_f32_f16_e32 v3, v3
	v_cvt_f32_f16_e32 v4, v4
	v_cvt_f32_f16_e32 v5, v5
	s_waitcnt lgkmcnt(1)
	v_perm_b32 v11, v9, v11, s2
	s_waitcnt lgkmcnt(0)
	v_perm_b32 v10, v12, v10, s2
	v_mfma_f32_16x16x16_f16 v[2:5], v[6:7], v[24:25], v[2:5]
	v_cvt_f32_f16_e32 v6, v33
	v_cvt_f32_f16_sdwa v7, v33 dst_sel:DWORD dst_unused:UNUSED_PAD src0_sel:WORD_1
	v_cvt_f32_f16_e32 v8, v40
	v_cvt_f32_f16_sdwa v9, v40 dst_sel:DWORD dst_unused:UNUSED_PAD src0_sel:WORD_1
	v_pk_mul_f16 v14, v31, v115
	s_nop 2
	v_cvt_f16_f32_e32 v31, v5
	v_mfma_f32_16x16x16_f16 v[6:9], v[10:11], v[28:29], v[6:9]
	ds_read_u16 v10, v140 offset:8736
	ds_read_u16 v11, v140 offset:9280
	;; [unrolled: 1-line block ×4, first 2 shown]
	v_pk_mul_f16 v15, v36, v115
	v_pk_mul_f16 v21, v39, v115
	s_nop 1
	v_cvt_f16_f32_e32 v6, v6
	v_cvt_f16_f32_e32 v7, v7
	;; [unrolled: 1-line block ×4, first 2 shown]
	s_waitcnt lgkmcnt(0)
	v_perm_b32 v10, v13, v10, s2
	ds_read_u16 v13, v140 offset:64
	ds_read_u16 v16, v140 offset:608
	;; [unrolled: 1-line block ×4, first 2 shown]
	v_perm_b32 v11, v12, v11, s2
	v_cvt_f32_f16_e32 v6, v6
	v_cvt_f32_f16_e32 v7, v7
	;; [unrolled: 1-line block ×4, first 2 shown]
	s_waitcnt lgkmcnt(1)
	v_perm_b32 v17, v17, v16, s2
	s_waitcnt lgkmcnt(0)
	v_perm_b32 v16, v19, v13, s2
	v_mfma_f32_16x16x16_f16 v[6:9], v[10:11], v[24:25], v[6:9]
	v_cvt_f32_f16_e32 v10, v32
	v_cvt_f32_f16_sdwa v11, v32 dst_sel:DWORD dst_unused:UNUSED_PAD src0_sel:WORD_1
	v_cvt_f32_f16_e32 v12, v116
	v_cvt_f32_f16_sdwa v13, v116 dst_sel:DWORD dst_unused:UNUSED_PAD src0_sel:WORD_1
	v_cvt_f16_f32_e32 v19, v4
	v_pk_mul_f16 v20, v38, v115
	v_mfma_f32_16x16x16_f16 v[10:13], v[16:17], v[28:29], v[10:13]
	ds_read_u16 v16, v140 offset:8768
	ds_read_u16 v17, v140 offset:9312
	;; [unrolled: 1-line block ×4, first 2 shown]
	v_perm_b32 v31, v31, v19, s2
	v_cvt_f32_f16_e32 v36, v15
	s_nop 1
	v_cvt_f16_f32_e32 v4, v10
	v_cvt_f16_f32_e32 v5, v11
	v_cvt_f16_f32_e32 v12, v12
	v_cvt_f16_f32_e32 v13, v13
	s_waitcnt lgkmcnt(1)
	v_perm_b32 v17, v32, v17, s2
	s_waitcnt lgkmcnt(0)
	v_perm_b32 v16, v33, v16, s2
	v_cvt_f32_f16_e32 v10, v4
	v_cvt_f32_f16_e32 v11, v5
	;; [unrolled: 1-line block ×4, first 2 shown]
	v_cvt_f32_f16_sdwa v37, v15 dst_sel:DWORD dst_unused:UNUSED_PAD src0_sel:WORD_1
	v_cvt_f32_f16_e32 v38, v14
	v_mfma_f32_16x16x16_f16 v[10:13], v[16:17], v[24:25], v[10:13]
	ds_read_u16 v16, v140 offset:96
	ds_read_u16 v17, v140 offset:640
	;; [unrolled: 1-line block ×4, first 2 shown]
	v_cvt_f32_f16_sdwa v39, v14 dst_sel:DWORD dst_unused:UNUSED_PAD src0_sel:WORD_1
	v_pk_mul_f16 v40, v34, v115
	v_cvt_f16_f32_e32 v8, v8
	s_waitcnt lgkmcnt(1)
	v_perm_b32 v17, v19, v17, s2
	s_waitcnt lgkmcnt(0)
	v_perm_b32 v16, v32, v16, s2
	v_cvt_f16_f32_e32 v9, v9
	v_pk_mul_f16 v18, v35, v115
	v_mfma_f32_16x16x16_f16 v[14:17], v[16:17], v[28:29], v[36:39]
	ds_read_u16 v19, v140 offset:8800
	ds_read_u16 v33, v140 offset:9344
	;; [unrolled: 1-line block ×4, first 2 shown]
	v_perm_b32 v8, v9, v8, s2
	v_pk_mul_f16 v23, v43, v115
	s_nop 1
	v_cvt_f16_f32_e32 v14, v14
	v_cvt_f16_f32_e32 v15, v15
	v_cvt_f16_f32_e32 v16, v16
	v_cvt_f16_f32_e32 v17, v17
	s_waitcnt lgkmcnt(1)
	v_perm_b32 v37, v34, v33, s2
	s_waitcnt lgkmcnt(0)
	v_perm_b32 v36, v36, v19, s2
	v_cvt_f32_f16_e32 v14, v14
	v_cvt_f32_f16_e32 v15, v15
	;; [unrolled: 1-line block ×4, first 2 shown]
	v_pk_mul_f16 v22, v42, v115
	v_pk_mul_f16 v35, v119, v115
	v_mfma_f32_16x16x16_f16 v[14:17], v[36:37], v[24:25], v[14:17]
	ds_read_u16 v9, v140 offset:128
	ds_read_u16 v19, v140 offset:672
	;; [unrolled: 1-line block ×4, first 2 shown]
	v_pk_mul_f16 v44, v118, v115
	v_cvt_f32_f16_e32 v114, v18
	v_cvt_f32_f16_sdwa v115, v18 dst_sel:DWORD dst_unused:UNUSED_PAD src0_sel:WORD_1
	s_waitcnt lgkmcnt(1)
	v_perm_b32 v19, v36, v19, s2
	s_waitcnt lgkmcnt(0)
	v_perm_b32 v18, v37, v9, s2
	v_cvt_f32_f16_e32 v116, v40
	v_cvt_f32_f16_sdwa v117, v40 dst_sel:DWORD dst_unused:UNUSED_PAD src0_sel:WORD_1
	ds_read_u16 v38, v140 offset:8832
	ds_read_u16 v39, v140 offset:9376
	;; [unrolled: 1-line block ×4, first 2 shown]
	v_mfma_f32_16x16x16_f16 v[114:117], v[18:19], v[28:29], v[114:117]
	v_cvt_f16_f32_e32 v9, v12
	v_cvt_f16_f32_e32 v37, v13
	v_add_f32_e32 v27, v41, v27
	s_nop 4
	v_cvt_f16_f32_e32 v12, v114
	v_cvt_f16_f32_e32 v13, v115
	v_cvt_f16_f32_e32 v18, v116
	v_cvt_f16_f32_e32 v19, v117
	v_cvt_f32_f16_e32 v114, v12
	v_cvt_f32_f16_e32 v115, v13
	s_waitcnt lgkmcnt(1)
	v_perm_b32 v13, v40, v39, s2
	s_waitcnt lgkmcnt(0)
	v_perm_b32 v12, v42, v38, s2
	v_cvt_f32_f16_e32 v116, v18
	v_cvt_f32_f16_e32 v117, v19
	v_perm_b32 v9, v37, v9, s2
	v_cvt_f16_f32_e32 v39, v16
	v_cvt_f16_f32_e32 v40, v17
	v_mfma_f32_16x16x16_f16 v[16:19], v[12:13], v[24:25], v[114:117]
	ds_read_u16 v12, v140 offset:160
	ds_read_u16 v13, v140 offset:704
	ds_read_u16 v37, v141 offset:160
	ds_read_u16 v38, v140 offset:432
	v_cvt_f32_f16_e32 v114, v21
	v_cvt_f32_f16_sdwa v115, v21 dst_sel:DWORD dst_unused:UNUSED_PAD src0_sel:WORD_1
	v_cvt_f32_f16_e32 v116, v20
	s_waitcnt lgkmcnt(1)
	v_perm_b32 v43, v37, v13, s2
	s_waitcnt lgkmcnt(0)
	v_perm_b32 v42, v38, v12, s2
	v_cvt_f32_f16_sdwa v117, v20 dst_sel:DWORD dst_unused:UNUSED_PAD src0_sel:WORD_1
	v_perm_b32 v12, v40, v39, s2
	ds_bpermute_b32 v41, v30, v27
	v_mfma_f32_16x16x16_f16 v[114:117], v[42:43], v[28:29], v[114:117]
	ds_read_u16 v40, v140 offset:8864
	ds_read_u16 v42, v140 offset:9408
	;; [unrolled: 1-line block ×4, first 2 shown]
	v_cvt_f16_f32_e32 v4, v2
	v_cvt_f16_f32_e32 v5, v3
	s_nop 1
	v_cvt_f16_f32_e32 v20, v115
	v_cvt_f16_f32_e32 v21, v116
	;; [unrolled: 1-line block ×4, first 2 shown]
	v_cvt_f32_f16_e32 v115, v20
	v_cvt_f32_f16_e32 v116, v21
	s_waitcnt lgkmcnt(1)
	v_perm_b32 v21, v43, v42, s2
	s_waitcnt lgkmcnt(0)
	v_perm_b32 v20, v45, v40, s2
	ds_read_u16 v40, v140 offset:192
	ds_read_u16 v43, v140 offset:736
	;; [unrolled: 1-line block ×4, first 2 shown]
	v_cvt_f32_f16_e32 v114, v13
	v_cvt_f32_f16_e32 v117, v39
	v_cvt_f16_f32_e32 v13, v18
	s_waitcnt lgkmcnt(1)
	v_perm_b32 v119, v45, v43, s2
	s_waitcnt lgkmcnt(0)
	v_perm_b32 v118, v52, v40, s2
	v_cvt_f16_f32_e32 v42, v19
	v_mfma_f32_16x16x16_f16 v[18:21], v[20:21], v[24:25], v[114:117]
	v_cvt_f16_f32_e32 v32, v6
	v_cvt_f16_f32_e32 v33, v7
	;; [unrolled: 1-line block ×3, first 2 shown]
	v_cvt_f32_f16_e32 v114, v23
	v_cvt_f32_f16_sdwa v115, v23 dst_sel:DWORD dst_unused:UNUSED_PAD src0_sel:WORD_1
	v_cvt_f32_f16_e32 v116, v22
	v_cvt_f32_f16_sdwa v117, v22 dst_sel:DWORD dst_unused:UNUSED_PAD src0_sel:WORD_1
	v_cvt_f16_f32_e32 v36, v11
	v_cvt_f16_f32_e32 v37, v14
	v_mfma_f32_16x16x16_f16 v[114:117], v[118:119], v[28:29], v[114:117]
	v_cvt_f16_f32_e32 v38, v15
	v_cvt_f16_f32_e32 v39, v16
	;; [unrolled: 1-line block ×3, first 2 shown]
	v_perm_b32 v13, v42, v13, s2
	s_nop 3
	v_cvt_f16_f32_e32 v45, v117
	ds_read_u16 v52, v140 offset:8896
	ds_read_u16 v117, v140 offset:9440
	ds_read_u16 v118, v141 offset:8896
	ds_read_u16 v119, v140 offset:9168
	v_cvt_f16_f32_e32 v22, v114
	v_cvt_f16_f32_e32 v23, v115
	;; [unrolled: 1-line block ×4, first 2 shown]
	v_cvt_f32_f16_e32 v114, v22
	v_cvt_f32_f16_e32 v115, v23
	s_waitcnt lgkmcnt(1)
	v_perm_b32 v23, v118, v117, s2
	s_waitcnt lgkmcnt(0)
	v_perm_b32 v22, v119, v52, s2
	v_cvt_f32_f16_e32 v116, v43
	v_cvt_f32_f16_e32 v117, v45
	v_cvt_f16_f32_e32 v45, v20
	v_cvt_f16_f32_e32 v52, v21
	v_mfma_f32_16x16x16_f16 v[20:23], v[22:23], v[24:25], v[114:117]
	s_nop 2
	ds_read_u16 v117, v140 offset:224
	ds_read_u16 v118, v140 offset:768
	;; [unrolled: 1-line block ×4, first 2 shown]
	v_cvt_f32_f16_e32 v114, v35
	v_cvt_f32_f16_sdwa v115, v35 dst_sel:DWORD dst_unused:UNUSED_PAD src0_sel:WORD_1
	v_cvt_f32_f16_e32 v116, v44
	s_waitcnt lgkmcnt(1)
	v_perm_b32 v119, v119, v118, s2
	s_waitcnt lgkmcnt(0)
	v_perm_b32 v118, v120, v117, s2
	v_cvt_f32_f16_sdwa v117, v44 dst_sel:DWORD dst_unused:UNUSED_PAD src0_sel:WORD_1
	v_perm_b32 v35, v52, v45, s2
	v_cvt_f16_f32_e32 v22, v22
	v_mfma_f32_16x16x16_f16 v[114:117], v[118:119], v[28:29], v[114:117]
	v_cvt_f16_f32_e32 v23, v23
	v_cvt_f16_f32_e32 v43, v19
	v_add_f32_e32 v27, v27, v41
	s_and_b64 s[12:13], s[0:1], s[8:9]
	s_nop 3
	v_cvt_f16_f32_e32 v44, v114
	v_cvt_f16_f32_e32 v45, v115
	;; [unrolled: 1-line block ×3, first 2 shown]
	ds_read_u16 v29, v140 offset:8928
	ds_read_u16 v114, v140 offset:9472
	ds_read_u16 v115, v141 offset:8928
	ds_read_u16 v116, v140 offset:9200
	v_cvt_f16_f32_e32 v28, v117
	v_cvt_f32_f16_e32 v118, v44
	v_cvt_f32_f16_e32 v119, v45
	s_waitcnt lgkmcnt(1)
	v_perm_b32 v45, v115, v114, s2
	s_waitcnt lgkmcnt(0)
	v_perm_b32 v44, v116, v29, s2
	v_cvt_f32_f16_e32 v120, v52
	v_cvt_f32_f16_e32 v121, v28
	v_perm_b32 v28, v23, v22, s2
	v_cvt_f16_f32_e32 v29, v20
	v_mfma_f32_16x16x16_f16 v[22:25], v[44:45], v[24:25], v[118:121]
	v_cvt_f16_f32_e32 v52, v21
	v_perm_b32 v41, v43, v42, s2
	v_perm_b32 v39, v40, v39, s2
	;; [unrolled: 1-line block ×3, first 2 shown]
	s_nop 3
	v_cvt_f16_f32_e32 v44, v22
	v_cvt_f16_f32_e32 v24, v24
	;; [unrolled: 1-line block ×4, first 2 shown]
	v_perm_b32 v29, v52, v29, s2
	v_perm_b32 v34, v36, v34, s2
	;; [unrolled: 1-line block ×6, first 2 shown]
	s_barrier
	s_and_saveexec_b64 s[8:9], s[12:13]
	s_cbranch_execz .LBB25_121
; %bb.120:                              ;   in Loop: Header=BB25_12 Depth=1
	v_cvt_pk_f16_f32 v3, v2, v3
	v_lshlrev_b32_e32 v2, 2, v90
	v_cvt_pk_f16_f32 v4, v6, v7
	v_cvt_pk_f16_f32 v6, v14, v15
	global_load_dword v15, v2, s[74:75]
	v_cvt_pk_f16_f32 v7, v16, v17
	v_max_f32_e32 v16, v26, v26
	v_cvt_pk_f16_f32 v5, v10, v11
	v_cvt_pk_f16_f32 v10, v18, v19
	;; [unrolled: 1-line block ×4, first 2 shown]
	s_waitcnt vmcnt(0)
	v_max_f32_e32 v2, v15, v15
	v_max_f32_e32 v2, v16, v2
	v_sub_f32_e32 v16, v26, v2
	v_mul_f32_e32 v17, 0x3fb8aa3b, v16
	v_fma_f32 v18, v16, s67, -v17
	v_rndne_f32_e32 v19, v17
	v_fmac_f32_e32 v18, 0x32a5705f, v16
	v_sub_f32_e32 v17, v17, v19
	v_add_f32_e32 v17, v17, v18
	v_exp_f32_e32 v17, v17
	v_cvt_i32_f32_e32 v18, v19
	v_cmp_ngt_f32_e32 vcc, s33, v16
	v_sub_f32_e32 v15, v15, v2
	v_ldexp_f32 v17, v17, v18
	v_cndmask_b32_e32 v17, 0, v17, vcc
	v_cmp_nlt_f32_e32 vcc, s6, v16
	s_nop 1
	v_cndmask_b32_e32 v17, v198, v17, vcc
	v_cmp_le_f32_e32 vcc, s87, v16
	s_nop 1
	v_cndmask_b32_e32 v16, 0, v17, vcc
	v_cvt_f16_f32_e32 v17, v16
	v_cmp_ngt_f32_e32 vcc, s33, v15
	v_mul_u32_u24_e32 v17, 0x10001, v17
	v_pk_mul_f16 v33, v3, v17
	v_mul_f32_e32 v3, 0x3fb8aa3b, v15
	v_pk_mul_f16 v32, v4, v17
	v_pk_mul_f16 v34, v5, v17
	v_fma_f32 v4, v15, s67, -v3
	v_rndne_f32_e32 v5, v3
	v_fmac_f32_e32 v4, 0x32a5705f, v15
	v_sub_f32_e32 v3, v3, v5
	v_add_f32_e32 v3, v3, v4
	v_exp_f32_e32 v3, v3
	v_cvt_i32_f32_e32 v4, v5
	v_pk_mul_f16 v31, v31, v17
	v_pk_mul_f16 v8, v8, v17
	;; [unrolled: 1-line block ×3, first 2 shown]
	v_ldexp_f32 v3, v3, v4
	v_cndmask_b32_e32 v3, 0, v3, vcc
	v_cmp_nlt_f32_e32 vcc, s6, v15
	v_pk_mul_f16 v37, v6, v17
	v_pk_mul_f16 v12, v12, v17
	v_cndmask_b32_e32 v3, v198, v3, vcc
	v_fmac_f32_e32 v3, v27, v16
	v_pk_mul_f16 v39, v7, v17
	v_pk_mul_f16 v13, v13, v17
	;; [unrolled: 1-line block ×8, first 2 shown]
	v_mov_b64_e32 v[26:27], v[2:3]
.LBB25_121:                             ;   in Loop: Header=BB25_12 Depth=1
	s_or_b64 exec, exec, s[8:9]
	s_and_saveexec_b64 s[8:9], s[4:5]
; %bb.122:                              ;   in Loop: Header=BB25_12 Depth=1
	v_add_u32_e32 v2, 0, v147
	ds_write2_b32 v2, v26, v27 offset0:64 offset1:65
; %bb.123:                              ;   in Loop: Header=BB25_12 Depth=1
	s_or_b64 exec, exec, s[8:9]
	s_waitcnt lgkmcnt(0)
	s_barrier
	s_mov_b64 s[8:9], exec
	v_readlane_b32 s12, v212, 5
	v_readlane_b32 s13, v212, 6
	s_and_b64 s[12:13], s[8:9], s[12:13]
	s_xor_b64 s[8:9], s[12:13], s[8:9]
	s_mov_b64 exec, s[12:13]
	s_cbranch_execz .LBB25_125
; %bb.124:                              ;   in Loop: Header=BB25_12 Depth=1
	s_barrier
                                        ; implicit-def: $vgpr30
.LBB25_125:                             ;   in Loop: Header=BB25_12 Depth=1
	s_andn2_saveexec_b64 s[8:9], s[8:9]
	s_cbranch_execz .LBB25_131
; %bb.126:                              ;   in Loop: Header=BB25_12 Depth=1
	v_add_u32_e32 v3, 0, v148
	ds_read_b64 v[6:7], v3 offset:256
	s_waitcnt lgkmcnt(0)
	s_barrier
	ds_bpermute_b32 v2, v30, v6
	v_max_f32_e32 v4, v6, v6
	s_waitcnt lgkmcnt(0)
	v_max_f32_e32 v2, v2, v2
	v_max_f32_e32 v2, v4, v2
	v_sub_f32_e32 v4, v6, v2
	v_mul_f32_e32 v5, 0x3fb8aa3b, v4
	v_fma_f32 v6, v4, s67, -v5
	v_rndne_f32_e32 v10, v5
	v_fmac_f32_e32 v6, 0x32a5705f, v4
	v_sub_f32_e32 v5, v5, v10
	v_add_f32_e32 v5, v5, v6
	v_cvt_i32_f32_e32 v10, v10
	v_exp_f32_e32 v5, v5
	v_cmp_ngt_f32_e32 vcc, s33, v4
	v_ldexp_f32 v5, v5, v10
	s_nop 0
	v_cndmask_b32_e32 v5, 0, v5, vcc
	v_cmp_nlt_f32_e32 vcc, s6, v4
	s_nop 1
	v_cndmask_b32_e32 v4, v198, v5, vcc
	v_mul_f32_e32 v5, v7, v4
	ds_bpermute_b32 v5, v30, v5
	s_waitcnt lgkmcnt(0)
	v_fmac_f32_e32 v5, v7, v4
	s_mov_b64 s[12:13], exec
	v_readlane_b32 s82, v212, 14
	v_readlane_b32 s83, v212, 15
	s_and_b64 s[82:83], s[12:13], s[82:83]
	s_mov_b64 exec, s[82:83]
; %bb.127:                              ;   in Loop: Header=BB25_12 Depth=1
	ds_write_b64 v3, v[4:5] offset:256
; %bb.128:                              ;   in Loop: Header=BB25_12 Depth=1
	s_or_b64 exec, exec, s[12:13]
	s_and_saveexec_b64 s[12:13], s[4:5]
	s_cbranch_execz .LBB25_130
; %bb.129:                              ;   in Loop: Header=BB25_12 Depth=1
	v_mov_b32_e32 v3, v5
	global_store_dwordx2 v[70:71], v[2:3], off
.LBB25_130:                             ;   in Loop: Header=BB25_12 Depth=1
	s_or_b64 exec, exec, s[12:13]
.LBB25_131:                             ;   in Loop: Header=BB25_12 Depth=1
	s_or_b64 exec, exec, s[8:9]
	v_add_u32_e32 v2, v144, v149
	ds_write2_b32 v2, v33, v31 offset1:1
	ds_write2_b32 v2, v32, v8 offset0:8 offset1:9
	ds_write2_b32 v2, v34, v9 offset0:16 offset1:17
	;; [unrolled: 1-line block ×7, first 2 shown]
	s_waitcnt lgkmcnt(0)
	s_barrier
	s_and_saveexec_b64 s[82:83], s[0:1]
	s_cbranch_execz .LBB25_209
; %bb.132:                              ;   in Loop: Header=BB25_12 Depth=1
	v_add_u32_e32 v3, s11, v187
	v_or_b32_e32 v2, s62, v94
	v_cmp_gt_i32_e64 s[8:9], s36, v3
	v_cmp_gt_i32_e32 vcc, s86, v2
	s_and_b64 s[12:13], s[8:9], vcc
	v_mov_b32_e32 v2, 0x47
	s_and_saveexec_b64 s[8:9], s[12:13]
	s_cbranch_execz .LBB25_134
; %bb.133:                              ;   in Loop: Header=BB25_12 Depth=1
	v_mad_u64_u32 v[2:3], s[12:13], v3, s37, v[94:95]
	v_add_u32_e32 v3, 0, v150
	ds_read2st64_b32 v[4:5], v3 offset0:1 offset1:18
	v_add_u32_e32 v3, v142, v150
	ds_read2st64_b32 v[6:7], v3 offset1:17
	v_lshl_add_u32 v2, v2, 6, v46
	v_ashrrev_i32_e32 v3, 31, v2
	v_lshl_add_u64 v[2:3], v[2:3], 3, s[72:73]
	s_waitcnt lgkmcnt(0)
	v_cvt_f32_f16_e32 v8, v6
	v_cvt_f32_f16_sdwa v9, v6 dst_sel:DWORD dst_unused:UNUSED_PAD src0_sel:WORD_1
	v_cvt_f32_f16_e32 v6, v7
	v_cvt_f32_f16_sdwa v7, v7 dst_sel:DWORD dst_unused:UNUSED_PAD src0_sel:WORD_1
	v_pk_fma_f32 v[8:9], v[4:5], v[8:9], 0 op_sel_hi:[0,1,0]
	v_mov_b32_e32 v4, v5
	v_pk_fma_f32 v[4:5], v[4:5], v[6:7], v[8:9] op_sel_hi:[0,1,1]
	global_store_dwordx2 v[2:3], v[4:5], off
	v_mov_b32_e32 v2, 0
.LBB25_134:                             ;   in Loop: Header=BB25_12 Depth=1
	s_or_b64 exec, exec, s[8:9]
	s_movk_i32 s8, 0x47
	v_cmp_gt_i32_e64 s[8:9], s8, v2
	s_mov_b64 s[12:13], -1
	s_and_saveexec_b64 s[84:85], s[8:9]
; %bb.135:                              ;   in Loop: Header=BB25_12 Depth=1
	v_cmp_eq_u32_e64 s[8:9], 0, v2
	s_orn2_b64 s[12:13], s[8:9], exec
; %bb.136:                              ;   in Loop: Header=BB25_12 Depth=1
	s_or_b64 exec, exec, s[84:85]
	s_and_b64 exec, exec, s[12:13]
	s_cbranch_execz .LBB25_209
; %bb.137:                              ;   in Loop: Header=BB25_12 Depth=1
	v_add_u32_e32 v3, s11, v188
	v_or_b32_e32 v2, s62, v74
	v_cmp_gt_i32_e64 s[8:9], s36, v3
	v_cmp_gt_i32_e64 s[12:13], s86, v2
	s_and_b64 s[12:13], s[8:9], s[12:13]
	v_mov_b32_e32 v2, 0x47
	s_and_saveexec_b64 s[8:9], s[12:13]
	s_cbranch_execz .LBB25_139
; %bb.138:                              ;   in Loop: Header=BB25_12 Depth=1
	v_mad_u64_u32 v[2:3], s[12:13], v3, s37, v[74:75]
	v_add_u32_e32 v3, 0, v151
	ds_read2st64_b32 v[4:5], v3 offset0:1 offset1:18
	v_add_u32_e32 v3, v142, v151
	ds_read2st64_b32 v[6:7], v3 offset1:17
	v_lshl_add_u32 v2, v2, 6, v46
	v_ashrrev_i32_e32 v3, 31, v2
	v_lshl_add_u64 v[2:3], v[2:3], 3, s[72:73]
	s_waitcnt lgkmcnt(0)
	v_cvt_f32_f16_e32 v8, v6
	v_cvt_f32_f16_sdwa v9, v6 dst_sel:DWORD dst_unused:UNUSED_PAD src0_sel:WORD_1
	v_cvt_f32_f16_e32 v6, v7
	v_cvt_f32_f16_sdwa v7, v7 dst_sel:DWORD dst_unused:UNUSED_PAD src0_sel:WORD_1
	v_pk_fma_f32 v[8:9], v[4:5], v[8:9], 0 op_sel_hi:[0,1,0]
	v_mov_b32_e32 v4, v5
	v_pk_fma_f32 v[4:5], v[4:5], v[6:7], v[8:9] op_sel_hi:[0,1,1]
	global_store_dwordx2 v[2:3], v[4:5], off
	v_mov_b32_e32 v2, 0
.LBB25_139:                             ;   in Loop: Header=BB25_12 Depth=1
	s_or_b64 exec, exec, s[8:9]
	s_movk_i32 s8, 0x47
	v_cmp_gt_i32_e64 s[8:9], s8, v2
	s_mov_b64 s[12:13], -1
	s_and_saveexec_b64 s[84:85], s[8:9]
; %bb.140:                              ;   in Loop: Header=BB25_12 Depth=1
	v_cmp_eq_u32_e64 s[8:9], 0, v2
	s_orn2_b64 s[12:13], s[8:9], exec
; %bb.141:                              ;   in Loop: Header=BB25_12 Depth=1
	s_or_b64 exec, exec, s[84:85]
	s_and_b64 exec, exec, s[12:13]
	s_cbranch_execz .LBB25_209
; %bb.142:                              ;   in Loop: Header=BB25_12 Depth=1
	v_add_u32_e32 v3, s11, v152
	v_cmp_gt_i32_e64 s[8:9], s36, v3
	s_and_b64 s[12:13], s[8:9], vcc
	v_mov_b32_e32 v2, 0x47
	s_and_saveexec_b64 s[8:9], s[12:13]
	s_cbranch_execz .LBB25_144
; %bb.143:                              ;   in Loop: Header=BB25_12 Depth=1
	v_mad_u64_u32 v[2:3], s[12:13], v3, s37, v[94:95]
	v_add_u32_e32 v3, 0, v153
	ds_read2st64_b32 v[4:5], v3 offset0:1 offset1:18
	v_add_u32_e32 v3, v142, v153
	ds_read2st64_b32 v[6:7], v3 offset1:17
	v_lshl_add_u32 v2, v2, 6, v46
	v_ashrrev_i32_e32 v3, 31, v2
	v_lshl_add_u64 v[2:3], v[2:3], 3, s[72:73]
	s_waitcnt lgkmcnt(0)
	v_cvt_f32_f16_e32 v8, v6
	v_cvt_f32_f16_sdwa v9, v6 dst_sel:DWORD dst_unused:UNUSED_PAD src0_sel:WORD_1
	v_cvt_f32_f16_e32 v6, v7
	v_cvt_f32_f16_sdwa v7, v7 dst_sel:DWORD dst_unused:UNUSED_PAD src0_sel:WORD_1
	v_pk_fma_f32 v[8:9], v[4:5], v[8:9], 0 op_sel_hi:[0,1,0]
	v_mov_b32_e32 v4, v5
	v_pk_fma_f32 v[4:5], v[4:5], v[6:7], v[8:9] op_sel_hi:[0,1,1]
	global_store_dwordx2 v[2:3], v[4:5], off
	v_mov_b32_e32 v2, 0
.LBB25_144:                             ;   in Loop: Header=BB25_12 Depth=1
	s_or_b64 exec, exec, s[8:9]
	s_movk_i32 s8, 0x47
	v_cmp_gt_i32_e64 s[8:9], s8, v2
	s_mov_b64 s[12:13], -1
	s_and_saveexec_b64 s[84:85], s[8:9]
; %bb.145:                              ;   in Loop: Header=BB25_12 Depth=1
	v_cmp_eq_u32_e64 s[8:9], 0, v2
	s_orn2_b64 s[12:13], s[8:9], exec
; %bb.146:                              ;   in Loop: Header=BB25_12 Depth=1
	s_or_b64 exec, exec, s[84:85]
	s_and_b64 exec, exec, s[12:13]
	s_cbranch_execz .LBB25_209
; %bb.147:                              ;   in Loop: Header=BB25_12 Depth=1
	v_add_u32_e32 v3, s11, v189
	v_or_b32_e32 v2, s62, v76
	v_cmp_gt_i32_e64 s[8:9], s36, v3
	v_cmp_gt_i32_e64 s[12:13], s86, v2
	s_and_b64 s[12:13], s[8:9], s[12:13]
	v_mov_b32_e32 v2, 0x47
	s_and_saveexec_b64 s[8:9], s[12:13]
	s_cbranch_execz .LBB25_149
; %bb.148:                              ;   in Loop: Header=BB25_12 Depth=1
	v_mad_u64_u32 v[2:3], s[12:13], v3, s37, v[76:77]
	v_add_u32_e32 v3, 0, v154
	ds_read2st64_b32 v[4:5], v3 offset0:1 offset1:18
	v_add_u32_e32 v3, v142, v154
	ds_read2st64_b32 v[6:7], v3 offset1:17
	v_lshl_add_u32 v2, v2, 6, v46
	v_ashrrev_i32_e32 v3, 31, v2
	v_lshl_add_u64 v[2:3], v[2:3], 3, s[72:73]
	s_waitcnt lgkmcnt(0)
	v_cvt_f32_f16_e32 v8, v6
	v_cvt_f32_f16_sdwa v9, v6 dst_sel:DWORD dst_unused:UNUSED_PAD src0_sel:WORD_1
	v_cvt_f32_f16_e32 v6, v7
	v_cvt_f32_f16_sdwa v7, v7 dst_sel:DWORD dst_unused:UNUSED_PAD src0_sel:WORD_1
	v_pk_fma_f32 v[8:9], v[4:5], v[8:9], 0 op_sel_hi:[0,1,0]
	v_mov_b32_e32 v4, v5
	v_pk_fma_f32 v[4:5], v[4:5], v[6:7], v[8:9] op_sel_hi:[0,1,1]
	global_store_dwordx2 v[2:3], v[4:5], off
	v_mov_b32_e32 v2, 0
.LBB25_149:                             ;   in Loop: Header=BB25_12 Depth=1
	s_or_b64 exec, exec, s[8:9]
	s_movk_i32 s8, 0x47
	v_cmp_gt_i32_e64 s[8:9], s8, v2
	s_mov_b64 s[12:13], -1
	s_and_saveexec_b64 s[84:85], s[8:9]
; %bb.150:                              ;   in Loop: Header=BB25_12 Depth=1
	v_cmp_eq_u32_e64 s[8:9], 0, v2
	s_orn2_b64 s[12:13], s[8:9], exec
; %bb.151:                              ;   in Loop: Header=BB25_12 Depth=1
	s_or_b64 exec, exec, s[84:85]
	s_and_b64 exec, exec, s[12:13]
	s_cbranch_execz .LBB25_209
; %bb.152:                              ;   in Loop: Header=BB25_12 Depth=1
	v_add_u32_e32 v3, s11, v155
	v_cmp_gt_i32_e64 s[8:9], s36, v3
	s_and_b64 s[12:13], s[8:9], vcc
	v_mov_b32_e32 v2, 0x47
	s_and_saveexec_b64 s[8:9], s[12:13]
	s_cbranch_execz .LBB25_154
; %bb.153:                              ;   in Loop: Header=BB25_12 Depth=1
	v_mad_u64_u32 v[2:3], s[12:13], v3, s37, v[94:95]
	v_add_u32_e32 v3, 0, v156
	ds_read2st64_b32 v[4:5], v3 offset0:1 offset1:18
	v_add_u32_e32 v3, v142, v156
	ds_read2st64_b32 v[6:7], v3 offset1:17
	v_lshl_add_u32 v2, v2, 6, v46
	v_ashrrev_i32_e32 v3, 31, v2
	v_lshl_add_u64 v[2:3], v[2:3], 3, s[72:73]
	s_waitcnt lgkmcnt(0)
	v_cvt_f32_f16_e32 v8, v6
	v_cvt_f32_f16_sdwa v9, v6 dst_sel:DWORD dst_unused:UNUSED_PAD src0_sel:WORD_1
	v_cvt_f32_f16_e32 v6, v7
	v_cvt_f32_f16_sdwa v7, v7 dst_sel:DWORD dst_unused:UNUSED_PAD src0_sel:WORD_1
	v_pk_fma_f32 v[8:9], v[4:5], v[8:9], 0 op_sel_hi:[0,1,0]
	v_mov_b32_e32 v4, v5
	v_pk_fma_f32 v[4:5], v[4:5], v[6:7], v[8:9] op_sel_hi:[0,1,1]
	global_store_dwordx2 v[2:3], v[4:5], off
	v_mov_b32_e32 v2, 0
.LBB25_154:                             ;   in Loop: Header=BB25_12 Depth=1
	s_or_b64 exec, exec, s[8:9]
	s_movk_i32 s8, 0x47
	v_cmp_gt_i32_e64 s[8:9], s8, v2
	s_mov_b64 s[12:13], -1
	s_and_saveexec_b64 s[84:85], s[8:9]
; %bb.155:                              ;   in Loop: Header=BB25_12 Depth=1
	v_cmp_eq_u32_e64 s[8:9], 0, v2
	s_orn2_b64 s[12:13], s[8:9], exec
; %bb.156:                              ;   in Loop: Header=BB25_12 Depth=1
	s_or_b64 exec, exec, s[84:85]
	s_and_b64 exec, exec, s[12:13]
	s_cbranch_execz .LBB25_209
; %bb.157:                              ;   in Loop: Header=BB25_12 Depth=1
	v_add_u32_e32 v3, s11, v190
	v_or_b32_e32 v2, s62, v78
	v_cmp_gt_i32_e64 s[8:9], s36, v3
	v_cmp_gt_i32_e64 s[12:13], s86, v2
	s_and_b64 s[12:13], s[8:9], s[12:13]
	v_mov_b32_e32 v2, 0x47
	s_and_saveexec_b64 s[8:9], s[12:13]
	s_cbranch_execz .LBB25_159
; %bb.158:                              ;   in Loop: Header=BB25_12 Depth=1
	v_mad_u64_u32 v[2:3], s[12:13], v3, s37, v[78:79]
	v_add_u32_e32 v3, 0, v157
	ds_read2st64_b32 v[4:5], v3 offset0:1 offset1:18
	v_add_u32_e32 v3, v142, v157
	ds_read2st64_b32 v[6:7], v3 offset1:17
	v_lshl_add_u32 v2, v2, 6, v46
	v_ashrrev_i32_e32 v3, 31, v2
	v_lshl_add_u64 v[2:3], v[2:3], 3, s[72:73]
	s_waitcnt lgkmcnt(0)
	v_cvt_f32_f16_e32 v8, v6
	v_cvt_f32_f16_sdwa v9, v6 dst_sel:DWORD dst_unused:UNUSED_PAD src0_sel:WORD_1
	v_cvt_f32_f16_e32 v6, v7
	v_cvt_f32_f16_sdwa v7, v7 dst_sel:DWORD dst_unused:UNUSED_PAD src0_sel:WORD_1
	v_pk_fma_f32 v[8:9], v[4:5], v[8:9], 0 op_sel_hi:[0,1,0]
	v_mov_b32_e32 v4, v5
	v_pk_fma_f32 v[4:5], v[4:5], v[6:7], v[8:9] op_sel_hi:[0,1,1]
	global_store_dwordx2 v[2:3], v[4:5], off
	v_mov_b32_e32 v2, 0
.LBB25_159:                             ;   in Loop: Header=BB25_12 Depth=1
	s_or_b64 exec, exec, s[8:9]
	s_movk_i32 s8, 0x47
	v_cmp_gt_i32_e64 s[8:9], s8, v2
	s_mov_b64 s[12:13], -1
	s_and_saveexec_b64 s[84:85], s[8:9]
; %bb.160:                              ;   in Loop: Header=BB25_12 Depth=1
	v_cmp_eq_u32_e64 s[8:9], 0, v2
	s_orn2_b64 s[12:13], s[8:9], exec
; %bb.161:                              ;   in Loop: Header=BB25_12 Depth=1
	s_or_b64 exec, exec, s[84:85]
	s_and_b64 exec, exec, s[12:13]
	s_cbranch_execz .LBB25_209
; %bb.162:                              ;   in Loop: Header=BB25_12 Depth=1
	v_add_u32_e32 v3, s11, v158
	v_cmp_gt_i32_e64 s[8:9], s36, v3
	s_and_b64 s[12:13], s[8:9], vcc
	v_mov_b32_e32 v2, 0x47
	s_and_saveexec_b64 s[8:9], s[12:13]
	s_cbranch_execz .LBB25_164
; %bb.163:                              ;   in Loop: Header=BB25_12 Depth=1
	v_mad_u64_u32 v[2:3], s[12:13], v3, s37, v[94:95]
	v_add_u32_e32 v3, 0, v159
	ds_read2st64_b32 v[4:5], v3 offset0:1 offset1:18
	v_add_u32_e32 v3, v142, v159
	ds_read2st64_b32 v[6:7], v3 offset1:17
	v_lshl_add_u32 v2, v2, 6, v46
	v_ashrrev_i32_e32 v3, 31, v2
	v_lshl_add_u64 v[2:3], v[2:3], 3, s[72:73]
	s_waitcnt lgkmcnt(0)
	v_cvt_f32_f16_e32 v8, v6
	v_cvt_f32_f16_sdwa v9, v6 dst_sel:DWORD dst_unused:UNUSED_PAD src0_sel:WORD_1
	v_cvt_f32_f16_e32 v6, v7
	v_cvt_f32_f16_sdwa v7, v7 dst_sel:DWORD dst_unused:UNUSED_PAD src0_sel:WORD_1
	v_pk_fma_f32 v[8:9], v[4:5], v[8:9], 0 op_sel_hi:[0,1,0]
	v_mov_b32_e32 v4, v5
	v_pk_fma_f32 v[4:5], v[4:5], v[6:7], v[8:9] op_sel_hi:[0,1,1]
	global_store_dwordx2 v[2:3], v[4:5], off
	v_mov_b32_e32 v2, 0
.LBB25_164:                             ;   in Loop: Header=BB25_12 Depth=1
	s_or_b64 exec, exec, s[8:9]
	s_movk_i32 s8, 0x47
	v_cmp_gt_i32_e64 s[8:9], s8, v2
	s_mov_b64 s[12:13], -1
	s_and_saveexec_b64 s[84:85], s[8:9]
; %bb.165:                              ;   in Loop: Header=BB25_12 Depth=1
	v_cmp_eq_u32_e64 s[8:9], 0, v2
	s_orn2_b64 s[12:13], s[8:9], exec
; %bb.166:                              ;   in Loop: Header=BB25_12 Depth=1
	s_or_b64 exec, exec, s[84:85]
	s_and_b64 exec, exec, s[12:13]
	s_cbranch_execz .LBB25_209
; %bb.167:                              ;   in Loop: Header=BB25_12 Depth=1
	v_add_u32_e32 v3, s11, v191
	v_or_b32_e32 v2, s62, v80
	v_cmp_gt_i32_e64 s[8:9], s36, v3
	v_cmp_gt_i32_e64 s[12:13], s86, v2
	s_and_b64 s[12:13], s[8:9], s[12:13]
	v_mov_b32_e32 v2, 0x47
	s_and_saveexec_b64 s[8:9], s[12:13]
	s_cbranch_execz .LBB25_169
; %bb.168:                              ;   in Loop: Header=BB25_12 Depth=1
	v_mad_u64_u32 v[2:3], s[12:13], v3, s37, v[80:81]
	v_add_u32_e32 v3, 0, v160
	ds_read2st64_b32 v[4:5], v3 offset0:1 offset1:18
	v_add_u32_e32 v3, v142, v160
	ds_read2st64_b32 v[6:7], v3 offset1:17
	v_lshl_add_u32 v2, v2, 6, v46
	v_ashrrev_i32_e32 v3, 31, v2
	v_lshl_add_u64 v[2:3], v[2:3], 3, s[72:73]
	s_waitcnt lgkmcnt(0)
	v_cvt_f32_f16_e32 v8, v6
	v_cvt_f32_f16_sdwa v9, v6 dst_sel:DWORD dst_unused:UNUSED_PAD src0_sel:WORD_1
	v_cvt_f32_f16_e32 v6, v7
	v_cvt_f32_f16_sdwa v7, v7 dst_sel:DWORD dst_unused:UNUSED_PAD src0_sel:WORD_1
	v_pk_fma_f32 v[8:9], v[4:5], v[8:9], 0 op_sel_hi:[0,1,0]
	v_mov_b32_e32 v4, v5
	v_pk_fma_f32 v[4:5], v[4:5], v[6:7], v[8:9] op_sel_hi:[0,1,1]
	global_store_dwordx2 v[2:3], v[4:5], off
	v_mov_b32_e32 v2, 0
.LBB25_169:                             ;   in Loop: Header=BB25_12 Depth=1
	s_or_b64 exec, exec, s[8:9]
	s_movk_i32 s8, 0x47
	v_cmp_gt_i32_e64 s[8:9], s8, v2
	s_mov_b64 s[12:13], -1
	s_and_saveexec_b64 s[84:85], s[8:9]
; %bb.170:                              ;   in Loop: Header=BB25_12 Depth=1
	v_cmp_eq_u32_e64 s[8:9], 0, v2
	s_orn2_b64 s[12:13], s[8:9], exec
; %bb.171:                              ;   in Loop: Header=BB25_12 Depth=1
	s_or_b64 exec, exec, s[84:85]
	s_and_b64 exec, exec, s[12:13]
	s_cbranch_execz .LBB25_209
; %bb.172:                              ;   in Loop: Header=BB25_12 Depth=1
	v_add_u32_e32 v3, s11, v161
	v_cmp_gt_i32_e64 s[8:9], s36, v3
	s_and_b64 s[12:13], s[8:9], vcc
	v_mov_b32_e32 v2, 0x47
	s_and_saveexec_b64 s[8:9], s[12:13]
	s_cbranch_execz .LBB25_174
; %bb.173:                              ;   in Loop: Header=BB25_12 Depth=1
	v_mad_u64_u32 v[2:3], s[12:13], v3, s37, v[94:95]
	v_add_u32_e32 v3, 0, v162
	ds_read2st64_b32 v[4:5], v3 offset0:1 offset1:18
	v_add_u32_e32 v3, v142, v162
	ds_read2st64_b32 v[6:7], v3 offset1:17
	v_lshl_add_u32 v2, v2, 6, v46
	v_ashrrev_i32_e32 v3, 31, v2
	v_lshl_add_u64 v[2:3], v[2:3], 3, s[72:73]
	s_waitcnt lgkmcnt(0)
	v_cvt_f32_f16_e32 v8, v6
	v_cvt_f32_f16_sdwa v9, v6 dst_sel:DWORD dst_unused:UNUSED_PAD src0_sel:WORD_1
	v_cvt_f32_f16_e32 v6, v7
	v_cvt_f32_f16_sdwa v7, v7 dst_sel:DWORD dst_unused:UNUSED_PAD src0_sel:WORD_1
	v_pk_fma_f32 v[8:9], v[4:5], v[8:9], 0 op_sel_hi:[0,1,0]
	v_mov_b32_e32 v4, v5
	v_pk_fma_f32 v[4:5], v[4:5], v[6:7], v[8:9] op_sel_hi:[0,1,1]
	global_store_dwordx2 v[2:3], v[4:5], off
	v_mov_b32_e32 v2, 0
.LBB25_174:                             ;   in Loop: Header=BB25_12 Depth=1
	s_or_b64 exec, exec, s[8:9]
	s_movk_i32 s8, 0x47
	v_cmp_gt_i32_e64 s[8:9], s8, v2
	s_mov_b64 s[12:13], -1
	s_and_saveexec_b64 s[84:85], s[8:9]
; %bb.175:                              ;   in Loop: Header=BB25_12 Depth=1
	v_cmp_eq_u32_e64 s[8:9], 0, v2
	s_orn2_b64 s[12:13], s[8:9], exec
; %bb.176:                              ;   in Loop: Header=BB25_12 Depth=1
	s_or_b64 exec, exec, s[84:85]
	s_and_b64 exec, exec, s[12:13]
	s_cbranch_execz .LBB25_209
; %bb.177:                              ;   in Loop: Header=BB25_12 Depth=1
	v_add_u32_e32 v3, s11, v192
	v_or_b32_e32 v2, s62, v82
	v_cmp_gt_i32_e64 s[8:9], s36, v3
	v_cmp_gt_i32_e64 s[12:13], s86, v2
	s_and_b64 s[12:13], s[8:9], s[12:13]
	v_mov_b32_e32 v2, 0x47
	s_and_saveexec_b64 s[8:9], s[12:13]
	s_cbranch_execz .LBB25_179
; %bb.178:                              ;   in Loop: Header=BB25_12 Depth=1
	v_mad_u64_u32 v[2:3], s[12:13], v3, s37, v[82:83]
	v_add_u32_e32 v3, 0, v163
	ds_read2st64_b32 v[4:5], v3 offset0:1 offset1:18
	v_add_u32_e32 v3, v142, v163
	ds_read2st64_b32 v[6:7], v3 offset1:17
	v_lshl_add_u32 v2, v2, 6, v46
	v_ashrrev_i32_e32 v3, 31, v2
	v_lshl_add_u64 v[2:3], v[2:3], 3, s[72:73]
	s_waitcnt lgkmcnt(0)
	v_cvt_f32_f16_e32 v8, v6
	v_cvt_f32_f16_sdwa v9, v6 dst_sel:DWORD dst_unused:UNUSED_PAD src0_sel:WORD_1
	v_cvt_f32_f16_e32 v6, v7
	v_cvt_f32_f16_sdwa v7, v7 dst_sel:DWORD dst_unused:UNUSED_PAD src0_sel:WORD_1
	v_pk_fma_f32 v[8:9], v[4:5], v[8:9], 0 op_sel_hi:[0,1,0]
	v_mov_b32_e32 v4, v5
	v_pk_fma_f32 v[4:5], v[4:5], v[6:7], v[8:9] op_sel_hi:[0,1,1]
	global_store_dwordx2 v[2:3], v[4:5], off
	v_mov_b32_e32 v2, 0
.LBB25_179:                             ;   in Loop: Header=BB25_12 Depth=1
	s_or_b64 exec, exec, s[8:9]
	s_movk_i32 s8, 0x47
	v_cmp_gt_i32_e64 s[8:9], s8, v2
	s_mov_b64 s[12:13], -1
	s_and_saveexec_b64 s[84:85], s[8:9]
; %bb.180:                              ;   in Loop: Header=BB25_12 Depth=1
	v_cmp_eq_u32_e64 s[8:9], 0, v2
	s_orn2_b64 s[12:13], s[8:9], exec
; %bb.181:                              ;   in Loop: Header=BB25_12 Depth=1
	s_or_b64 exec, exec, s[84:85]
	s_and_b64 exec, exec, s[12:13]
	s_cbranch_execz .LBB25_209
; %bb.182:                              ;   in Loop: Header=BB25_12 Depth=1
	v_add_u32_e32 v3, s11, v164
	v_cmp_gt_i32_e64 s[8:9], s36, v3
	s_and_b64 s[12:13], s[8:9], vcc
	v_mov_b32_e32 v2, 0x47
	s_and_saveexec_b64 s[8:9], s[12:13]
	s_cbranch_execz .LBB25_184
; %bb.183:                              ;   in Loop: Header=BB25_12 Depth=1
	v_mad_u64_u32 v[2:3], s[12:13], v3, s37, v[94:95]
	v_add_u32_e32 v3, 0, v165
	ds_read2st64_b32 v[4:5], v3 offset0:1 offset1:18
	v_add_u32_e32 v3, v142, v165
	ds_read2st64_b32 v[6:7], v3 offset1:17
	v_lshl_add_u32 v2, v2, 6, v46
	v_ashrrev_i32_e32 v3, 31, v2
	v_lshl_add_u64 v[2:3], v[2:3], 3, s[72:73]
	s_waitcnt lgkmcnt(0)
	v_cvt_f32_f16_e32 v8, v6
	v_cvt_f32_f16_sdwa v9, v6 dst_sel:DWORD dst_unused:UNUSED_PAD src0_sel:WORD_1
	v_cvt_f32_f16_e32 v6, v7
	v_cvt_f32_f16_sdwa v7, v7 dst_sel:DWORD dst_unused:UNUSED_PAD src0_sel:WORD_1
	v_pk_fma_f32 v[8:9], v[4:5], v[8:9], 0 op_sel_hi:[0,1,0]
	v_mov_b32_e32 v4, v5
	v_pk_fma_f32 v[4:5], v[4:5], v[6:7], v[8:9] op_sel_hi:[0,1,1]
	global_store_dwordx2 v[2:3], v[4:5], off
	v_mov_b32_e32 v2, 0
.LBB25_184:                             ;   in Loop: Header=BB25_12 Depth=1
	s_or_b64 exec, exec, s[8:9]
	s_movk_i32 s8, 0x47
	v_cmp_gt_i32_e64 s[8:9], s8, v2
	s_mov_b64 s[12:13], -1
	s_and_saveexec_b64 s[84:85], s[8:9]
; %bb.185:                              ;   in Loop: Header=BB25_12 Depth=1
	v_cmp_eq_u32_e64 s[8:9], 0, v2
	s_orn2_b64 s[12:13], s[8:9], exec
; %bb.186:                              ;   in Loop: Header=BB25_12 Depth=1
	s_or_b64 exec, exec, s[84:85]
	s_and_b64 exec, exec, s[12:13]
	s_cbranch_execz .LBB25_209
; %bb.187:                              ;   in Loop: Header=BB25_12 Depth=1
	v_add_u32_e32 v3, s11, v193
	v_or_b32_e32 v2, s62, v84
	v_cmp_gt_i32_e64 s[8:9], s36, v3
	v_cmp_gt_i32_e64 s[12:13], s86, v2
	s_and_b64 s[12:13], s[8:9], s[12:13]
	v_mov_b32_e32 v2, 0x47
	s_and_saveexec_b64 s[8:9], s[12:13]
	s_cbranch_execz .LBB25_189
; %bb.188:                              ;   in Loop: Header=BB25_12 Depth=1
	v_mad_u64_u32 v[2:3], s[12:13], v3, s37, v[84:85]
	v_add_u32_e32 v3, 0, v166
	ds_read2st64_b32 v[4:5], v3 offset0:1 offset1:18
	v_add_u32_e32 v3, v142, v166
	ds_read2st64_b32 v[6:7], v3 offset1:17
	v_lshl_add_u32 v2, v2, 6, v46
	v_ashrrev_i32_e32 v3, 31, v2
	v_lshl_add_u64 v[2:3], v[2:3], 3, s[72:73]
	s_waitcnt lgkmcnt(0)
	v_cvt_f32_f16_e32 v8, v6
	v_cvt_f32_f16_sdwa v9, v6 dst_sel:DWORD dst_unused:UNUSED_PAD src0_sel:WORD_1
	v_cvt_f32_f16_e32 v6, v7
	v_cvt_f32_f16_sdwa v7, v7 dst_sel:DWORD dst_unused:UNUSED_PAD src0_sel:WORD_1
	v_pk_fma_f32 v[8:9], v[4:5], v[8:9], 0 op_sel_hi:[0,1,0]
	v_mov_b32_e32 v4, v5
	v_pk_fma_f32 v[4:5], v[4:5], v[6:7], v[8:9] op_sel_hi:[0,1,1]
	global_store_dwordx2 v[2:3], v[4:5], off
	v_mov_b32_e32 v2, 0
.LBB25_189:                             ;   in Loop: Header=BB25_12 Depth=1
	s_or_b64 exec, exec, s[8:9]
	s_movk_i32 s8, 0x47
	v_cmp_gt_i32_e64 s[8:9], s8, v2
	s_mov_b64 s[12:13], -1
	s_and_saveexec_b64 s[84:85], s[8:9]
; %bb.190:                              ;   in Loop: Header=BB25_12 Depth=1
	v_cmp_eq_u32_e64 s[8:9], 0, v2
	s_orn2_b64 s[12:13], s[8:9], exec
; %bb.191:                              ;   in Loop: Header=BB25_12 Depth=1
	s_or_b64 exec, exec, s[84:85]
	s_and_b64 exec, exec, s[12:13]
	s_cbranch_execz .LBB25_209
; %bb.192:                              ;   in Loop: Header=BB25_12 Depth=1
	v_add_u32_e32 v3, s11, v167
	v_cmp_gt_i32_e64 s[8:9], s36, v3
	s_and_b64 s[12:13], s[8:9], vcc
	v_mov_b32_e32 v2, 0x47
	s_and_saveexec_b64 s[8:9], s[12:13]
	s_cbranch_execz .LBB25_194
; %bb.193:                              ;   in Loop: Header=BB25_12 Depth=1
	v_mad_u64_u32 v[2:3], s[12:13], v3, s37, v[94:95]
	v_add_u32_e32 v3, 0, v168
	ds_read2st64_b32 v[4:5], v3 offset0:1 offset1:18
	v_add_u32_e32 v3, v142, v168
	ds_read2st64_b32 v[6:7], v3 offset1:17
	v_lshl_add_u32 v2, v2, 6, v46
	v_ashrrev_i32_e32 v3, 31, v2
	v_lshl_add_u64 v[2:3], v[2:3], 3, s[72:73]
	s_waitcnt lgkmcnt(0)
	v_cvt_f32_f16_e32 v8, v6
	v_cvt_f32_f16_sdwa v9, v6 dst_sel:DWORD dst_unused:UNUSED_PAD src0_sel:WORD_1
	v_cvt_f32_f16_e32 v6, v7
	v_cvt_f32_f16_sdwa v7, v7 dst_sel:DWORD dst_unused:UNUSED_PAD src0_sel:WORD_1
	v_pk_fma_f32 v[8:9], v[4:5], v[8:9], 0 op_sel_hi:[0,1,0]
	v_mov_b32_e32 v4, v5
	v_pk_fma_f32 v[4:5], v[4:5], v[6:7], v[8:9] op_sel_hi:[0,1,1]
	global_store_dwordx2 v[2:3], v[4:5], off
	v_mov_b32_e32 v2, 0
.LBB25_194:                             ;   in Loop: Header=BB25_12 Depth=1
	s_or_b64 exec, exec, s[8:9]
	s_movk_i32 s8, 0x47
	v_cmp_gt_i32_e64 s[8:9], s8, v2
	s_mov_b64 s[12:13], -1
	s_and_saveexec_b64 s[84:85], s[8:9]
; %bb.195:                              ;   in Loop: Header=BB25_12 Depth=1
	v_cmp_eq_u32_e64 s[8:9], 0, v2
	s_orn2_b64 s[12:13], s[8:9], exec
; %bb.196:                              ;   in Loop: Header=BB25_12 Depth=1
	s_or_b64 exec, exec, s[84:85]
	s_and_b64 exec, exec, s[12:13]
	s_cbranch_execz .LBB25_209
; %bb.197:                              ;   in Loop: Header=BB25_12 Depth=1
	v_add_u32_e32 v3, s11, v194
	v_or_b32_e32 v2, s62, v86
	v_cmp_gt_i32_e64 s[8:9], s36, v3
	v_cmp_gt_i32_e64 s[12:13], s86, v2
	s_and_b64 s[12:13], s[8:9], s[12:13]
	v_mov_b32_e32 v2, 0x47
	s_and_saveexec_b64 s[8:9], s[12:13]
	s_cbranch_execz .LBB25_199
; %bb.198:                              ;   in Loop: Header=BB25_12 Depth=1
	v_mad_u64_u32 v[2:3], s[12:13], v3, s37, v[86:87]
	v_add_u32_e32 v3, 0, v169
	ds_read2st64_b32 v[4:5], v3 offset0:1 offset1:18
	v_add_u32_e32 v3, v142, v169
	ds_read2st64_b32 v[6:7], v3 offset1:17
	v_lshl_add_u32 v2, v2, 6, v46
	v_ashrrev_i32_e32 v3, 31, v2
	v_lshl_add_u64 v[2:3], v[2:3], 3, s[72:73]
	s_waitcnt lgkmcnt(0)
	v_cvt_f32_f16_e32 v8, v6
	v_cvt_f32_f16_sdwa v9, v6 dst_sel:DWORD dst_unused:UNUSED_PAD src0_sel:WORD_1
	v_cvt_f32_f16_e32 v6, v7
	v_cvt_f32_f16_sdwa v7, v7 dst_sel:DWORD dst_unused:UNUSED_PAD src0_sel:WORD_1
	v_pk_fma_f32 v[8:9], v[4:5], v[8:9], 0 op_sel_hi:[0,1,0]
	v_mov_b32_e32 v4, v5
	v_pk_fma_f32 v[4:5], v[4:5], v[6:7], v[8:9] op_sel_hi:[0,1,1]
	global_store_dwordx2 v[2:3], v[4:5], off
	v_mov_b32_e32 v2, 0
.LBB25_199:                             ;   in Loop: Header=BB25_12 Depth=1
	s_or_b64 exec, exec, s[8:9]
	s_movk_i32 s8, 0x47
	v_cmp_gt_i32_e64 s[8:9], s8, v2
	s_mov_b64 s[12:13], -1
	s_and_saveexec_b64 s[84:85], s[8:9]
; %bb.200:                              ;   in Loop: Header=BB25_12 Depth=1
	v_cmp_eq_u32_e64 s[8:9], 0, v2
	s_orn2_b64 s[12:13], s[8:9], exec
; %bb.201:                              ;   in Loop: Header=BB25_12 Depth=1
	s_or_b64 exec, exec, s[84:85]
	s_and_b64 exec, exec, s[12:13]
	s_cbranch_execz .LBB25_209
; %bb.202:                              ;   in Loop: Header=BB25_12 Depth=1
	v_add_u32_e32 v3, s11, v170
	v_cmp_gt_i32_e64 s[8:9], s36, v3
	s_and_b64 s[12:13], s[8:9], vcc
	v_mov_b32_e32 v2, 0x47
	s_and_saveexec_b64 s[8:9], s[12:13]
	s_cbranch_execz .LBB25_204
; %bb.203:                              ;   in Loop: Header=BB25_12 Depth=1
	v_mad_u64_u32 v[2:3], s[12:13], v3, s37, v[94:95]
	v_add_u32_e32 v3, 0, v171
	ds_read2st64_b32 v[4:5], v3 offset0:1 offset1:18
	v_add_u32_e32 v3, v142, v171
	ds_read2st64_b32 v[6:7], v3 offset1:17
	v_lshl_add_u32 v2, v2, 6, v46
	v_ashrrev_i32_e32 v3, 31, v2
	v_lshl_add_u64 v[2:3], v[2:3], 3, s[72:73]
	s_waitcnt lgkmcnt(0)
	v_cvt_f32_f16_e32 v8, v6
	v_cvt_f32_f16_sdwa v9, v6 dst_sel:DWORD dst_unused:UNUSED_PAD src0_sel:WORD_1
	v_cvt_f32_f16_e32 v6, v7
	v_cvt_f32_f16_sdwa v7, v7 dst_sel:DWORD dst_unused:UNUSED_PAD src0_sel:WORD_1
	v_pk_fma_f32 v[8:9], v[4:5], v[8:9], 0 op_sel_hi:[0,1,0]
	v_mov_b32_e32 v4, v5
	v_pk_fma_f32 v[4:5], v[4:5], v[6:7], v[8:9] op_sel_hi:[0,1,1]
	global_store_dwordx2 v[2:3], v[4:5], off
	v_mov_b32_e32 v2, 0
.LBB25_204:                             ;   in Loop: Header=BB25_12 Depth=1
	s_or_b64 exec, exec, s[8:9]
	s_movk_i32 s8, 0x47
	v_cmp_gt_i32_e32 vcc, s8, v2
	s_mov_b64 s[8:9], -1
	s_and_saveexec_b64 s[12:13], vcc
; %bb.205:                              ;   in Loop: Header=BB25_12 Depth=1
	v_cmp_eq_u32_e32 vcc, 0, v2
	s_orn2_b64 s[8:9], vcc, exec
; %bb.206:                              ;   in Loop: Header=BB25_12 Depth=1
	s_or_b64 exec, exec, s[12:13]
	s_and_b64 exec, exec, s[8:9]
	s_cbranch_execz .LBB25_209
; %bb.207:                              ;   in Loop: Header=BB25_12 Depth=1
	v_add_u32_e32 v2, s11, v195
	v_or_b32_e32 v3, s62, v88
	v_cmp_gt_i32_e32 vcc, s36, v2
	v_cmp_gt_i32_e64 s[8:9], s86, v3
	s_and_b64 s[8:9], vcc, s[8:9]
	s_and_b64 exec, exec, s[8:9]
	s_cbranch_execz .LBB25_209
; %bb.208:                              ;   in Loop: Header=BB25_12 Depth=1
	v_mad_u64_u32 v[2:3], s[8:9], v2, s37, v[88:89]
	v_add_u32_e32 v3, 0, v172
	ds_read2st64_b32 v[4:5], v3 offset0:1 offset1:18
	v_add_u32_e32 v3, v142, v172
	ds_read2st64_b32 v[6:7], v3 offset1:17
	v_lshl_add_u32 v2, v2, 6, v46
	v_ashrrev_i32_e32 v3, 31, v2
	v_lshl_add_u64 v[2:3], v[2:3], 3, s[72:73]
	s_waitcnt lgkmcnt(0)
	v_cvt_f32_f16_e32 v8, v6
	v_cvt_f32_f16_sdwa v9, v6 dst_sel:DWORD dst_unused:UNUSED_PAD src0_sel:WORD_1
	v_cvt_f32_f16_e32 v6, v7
	v_cvt_f32_f16_sdwa v7, v7 dst_sel:DWORD dst_unused:UNUSED_PAD src0_sel:WORD_1
	v_pk_fma_f32 v[8:9], v[4:5], v[8:9], 0 op_sel_hi:[0,1,0]
	v_mov_b32_e32 v4, v5
	v_pk_fma_f32 v[4:5], v[4:5], v[6:7], v[8:9] op_sel_hi:[0,1,1]
	global_store_dwordx2 v[2:3], v[4:5], off
.LBB25_209:                             ;   in Loop: Header=BB25_12 Depth=1
	s_or_b64 exec, exec, s[82:83]
	s_barrier
	s_branch .LBB25_11
.LBB25_210:                             ;   in Loop: Header=BB25_12 Depth=1
	s_lshl_b32 s82, s10, 3
	v_add_u32_e32 v2, s82, v178
	v_cmp_le_i32_e64 s[8:9], s36, v2
	v_cmp_le_i32_e64 s[12:13], s86, v93
	v_cmp_gt_i32_e32 vcc, s86, v93
	s_or_b64 s[8:9], s[8:9], s[12:13]
	s_and_saveexec_b64 s[10:11], s[8:9]
	s_xor_b64 s[8:9], exec, s[10:11]
; %bb.211:                              ;   in Loop: Header=BB25_12 Depth=1
	v_add_u32_e32 v2, v142, v179
	ds_write_b32 v2, v53
                                        ; implicit-def: $vgpr2
; %bb.212:                              ;   in Loop: Header=BB25_12 Depth=1
	s_andn2_saveexec_b64 s[8:9], s[8:9]
	s_cbranch_execz .LBB25_214
; %bb.213:                              ;   in Loop: Header=BB25_12 Depth=1
	v_mad_u64_u32 v[2:3], s[10:11], v2, s55, v[92:93]
	v_ashrrev_i32_e32 v3, 31, v2
	v_lshl_add_u64 v[2:3], v[2:3], 3, s[80:81]
	global_load_dwordx2 v[2:3], v[2:3], off
	s_waitcnt vmcnt(0)
	v_cvt_pk_f16_f32 v2, v2, v3
	v_pk_mul_f16 v2, v2, v174
	v_add_u32_e32 v3, v142, v179
	ds_write_b32 v3, v2
.LBB25_214:                             ;   in Loop: Header=BB25_12 Depth=1
	s_or_b64 exec, exec, s[8:9]
	v_add_u32_e32 v2, s82, v180
	v_cmp_le_i32_e64 s[8:9], s36, v2
	s_xor_b64 s[12:13], vcc, -1
	s_or_b64 s[8:9], s[8:9], s[12:13]
	s_and_saveexec_b64 s[10:11], s[8:9]
	s_xor_b64 s[8:9], exec, s[10:11]
; %bb.215:                              ;   in Loop: Header=BB25_12 Depth=1
	v_add_u32_e32 v2, v142, v179
	ds_write_b32 v2, v53 offset:1088
                                        ; implicit-def: $vgpr2
; %bb.216:                              ;   in Loop: Header=BB25_12 Depth=1
	s_andn2_saveexec_b64 s[8:9], s[8:9]
	s_cbranch_execz .LBB25_218
; %bb.217:                              ;   in Loop: Header=BB25_12 Depth=1
	v_mad_u64_u32 v[2:3], s[10:11], v2, s55, v[92:93]
	v_ashrrev_i32_e32 v3, 31, v2
	v_lshl_add_u64 v[2:3], v[2:3], 3, s[80:81]
	global_load_dwordx2 v[2:3], v[2:3], off
	s_waitcnt vmcnt(0)
	v_cvt_pk_f16_f32 v2, v2, v3
	v_pk_mul_f16 v2, v2, v174
	v_add_u32_e32 v3, v142, v179
	ds_write_b32 v3, v2 offset:1088
.LBB25_218:                             ;   in Loop: Header=BB25_12 Depth=1
	s_or_b64 exec, exec, s[8:9]
	v_add_u32_e32 v2, s82, v181
	v_cmp_le_i32_e32 vcc, s36, v2
	s_or_b64 s[8:9], vcc, s[12:13]
	s_and_saveexec_b64 s[10:11], s[8:9]
	s_xor_b64 s[8:9], exec, s[10:11]
; %bb.219:                              ;   in Loop: Header=BB25_12 Depth=1
	v_add_u32_e32 v2, v142, v179
	ds_write_b32 v2, v53 offset:2176
                                        ; implicit-def: $vgpr2
; %bb.220:                              ;   in Loop: Header=BB25_12 Depth=1
	s_andn2_saveexec_b64 s[8:9], s[8:9]
	s_cbranch_execz .LBB25_222
; %bb.221:                              ;   in Loop: Header=BB25_12 Depth=1
	v_mad_u64_u32 v[2:3], s[10:11], v2, s55, v[92:93]
	v_ashrrev_i32_e32 v3, 31, v2
	v_lshl_add_u64 v[2:3], v[2:3], 3, s[80:81]
	global_load_dwordx2 v[2:3], v[2:3], off
	s_waitcnt vmcnt(0)
	v_cvt_pk_f16_f32 v2, v2, v3
	v_pk_mul_f16 v2, v2, v174
	v_add_u32_e32 v3, v142, v179
	ds_write_b32 v3, v2 offset:2176
.LBB25_222:                             ;   in Loop: Header=BB25_12 Depth=1
	s_or_b64 exec, exec, s[8:9]
	v_add_u32_e32 v2, s82, v182
	v_cmp_le_i32_e32 vcc, s36, v2
	s_or_b64 s[8:9], vcc, s[12:13]
	;; [unrolled: 24-line block ×6, first 2 shown]
	s_and_saveexec_b64 s[10:11], s[8:9]
	s_xor_b64 s[8:9], exec, s[10:11]
; %bb.239:                              ;   in Loop: Header=BB25_12 Depth=1
	v_add_u32_e32 v2, v142, v179
	ds_write_b32 v2, v53 offset:7616
                                        ; implicit-def: $vgpr2
; %bb.240:                              ;   in Loop: Header=BB25_12 Depth=1
	s_andn2_saveexec_b64 s[8:9], s[8:9]
	s_cbranch_execz .LBB25_242
; %bb.241:                              ;   in Loop: Header=BB25_12 Depth=1
	v_mad_u64_u32 v[2:3], s[10:11], v2, s55, v[92:93]
	v_ashrrev_i32_e32 v3, 31, v2
	v_lshl_add_u64 v[2:3], v[2:3], 3, s[80:81]
	global_load_dwordx2 v[2:3], v[2:3], off
	s_waitcnt vmcnt(0)
	v_cvt_pk_f16_f32 v2, v2, v3
	v_pk_mul_f16 v2, v2, v174
	v_add_u32_e32 v3, v142, v179
	ds_write_b32 v3, v2 offset:7616
.LBB25_242:                             ;   in Loop: Header=BB25_12 Depth=1
	s_or_b64 exec, exec, s[8:9]
	s_waitcnt lgkmcnt(0)
	s_barrier
	ds_read2_b64 v[14:17], v95 offset1:4
	ds_read2_b64 v[10:13], v95 offset0:8 offset1:12
	ds_read2_b64 v[6:9], v95 offset0:16 offset1:20
	;; [unrolled: 1-line block ×3, first 2 shown]
	s_cmp_gt_i32 s97, 1
	s_mov_b64 s[8:9], -1
	s_waitcnt lgkmcnt(0)
	s_barrier
	s_cbranch_scc1 .LBB25_244
; %bb.243:                              ;   in Loop: Header=BB25_12 Depth=1
	s_mov_b64 s[8:9], 0
.LBB25_244:                             ;   in Loop: Header=BB25_12 Depth=1
	v_add_u32_e32 v18, s82, v136
	v_mul_hi_u32 v19, s44, v18
	v_add_u32_e32 v19, v18, v19
	v_lshrrev_b32_e32 v19, s45, v19
	v_mul_lo_u32 v19, v19, s36
	s_andn2_b64 vcc, exec, s[8:9]
	v_sub_u32_e32 v52, v18, v19
	s_cbranch_vccnz .LBB25_280
; %bb.245:                              ;   in Loop: Header=BB25_12 Depth=1
	v_and_b32_e32 v18, 64, v197
	v_add_u32_e32 v18, 64, v18
	v_xor_b32_e32 v19, 32, v197
	v_cmp_lt_i32_e32 vcc, v19, v18
	v_readlane_b32 s8, v212, 23
	v_readlane_b32 s9, v212, 24
	v_cndmask_b32_e32 v19, v197, v19, vcc
	v_lshlrev_b32_e32 v200, 2, v19
	v_xor_b32_e32 v19, 16, v197
	v_cmp_lt_i32_e32 vcc, v19, v18
	s_add_i32 s10, s97, -1
	v_mov_b32_e32 v133, 0
	v_cndmask_b32_e32 v18, v197, v19, vcc
	v_lshlrev_b32_e32 v201, 2, v18
	v_mov_b64_e32 v[18:19], s[78:79]
	v_mad_i64_i32 v[18:19], s[8:9], s8, v52, v[18:19]
	s_add_u32 s8, s66, s42
	s_addc_u32 s9, s60, s51
	v_lshl_add_u64 v[116:117], v[98:99], 0, s[8:9]
	v_lshl_add_u64 v[118:119], v[100:101], 0, s[8:9]
	;; [unrolled: 1-line block ×4, first 2 shown]
	s_add_u32 s8, s99, s56
	s_addc_u32 s9, s98, s59
	v_lshl_add_u64 v[114:115], v[96:97], 0, v[18:19]
	v_lshl_add_u64 v[124:125], v[106:107], 0, s[8:9]
	;; [unrolled: 1-line block ×5, first 2 shown]
	v_mov_b32_e32 v27, 0xfeffffff
	v_mov_b32_e32 v26, 0
	s_mov_b32 s11, s10
	v_mov_b32_e32 v132, 0
	v_mov_b32_e32 v43, 0
	;; [unrolled: 1-line block ×15, first 2 shown]
.LBB25_246:                             ;   Parent Loop BB25_12 Depth=1
                                        ; =>  This Inner Loop Header: Depth=2
	global_load_dword v18, v[114:115], off
	v_lshl_add_u64 v[22:23], v[126:127], 0, v[72:73]
	v_lshl_add_u64 v[24:25], v[128:129], 0, v[72:73]
	;; [unrolled: 1-line block ×3, first 2 shown]
	v_add_u32_e32 v30, v173, v143
	s_waitcnt vmcnt(0)
	ds_write_b32 v137, v18 offset:17408
	v_lshl_add_u64 v[18:19], v[124:125], 0, v[72:73]
	global_load_dwordx4 v[18:21], v[18:19], off
	s_waitcnt vmcnt(0)
	ds_write_b128 v138, v[18:21]
	global_load_dwordx4 v[18:21], v[22:23], off
	s_waitcnt vmcnt(0)
	ds_write_b128 v175, v[18:21]
	;; [unrolled: 3-line block ×4, first 2 shown]
	s_waitcnt lgkmcnt(0)
	s_barrier
	ds_read2_b64 v[18:21], v30 offset1:4
	s_waitcnt lgkmcnt(0)
	v_mfma_f32_16x16x16_f16 v[22:25], v[18:19], v[14:15], 0
	v_mfma_f32_16x16x16_f16 v[18:21], v[20:21], v[16:17], v[22:25]
	s_nop 6
	ds_read2_b64 v[22:25], v30 offset0:8 offset1:12
	s_waitcnt lgkmcnt(0)
	v_mfma_f32_16x16x16_f16 v[18:21], v[22:23], v[10:11], v[18:21]
	v_mfma_f32_16x16x16_f16 v[18:21], v[24:25], v[12:13], v[18:21]
	ds_read2_b64 v[22:25], v30 offset0:16 offset1:20
	s_waitcnt lgkmcnt(0)
	v_mfma_f32_16x16x16_f16 v[18:21], v[22:23], v[6:7], v[18:21]
	v_mfma_f32_16x16x16_f16 v[18:21], v[24:25], v[8:9], v[18:21]
	ds_read2_b64 v[22:25], v30 offset0:24 offset1:28
	v_add_u32_e32 v30, 0x2000, v30
	s_waitcnt lgkmcnt(0)
	v_mfma_f32_16x16x16_f16 v[18:21], v[22:23], v[2:3], v[18:21]
	v_mfma_f32_16x16x16_f16 v[18:21], v[24:25], v[4:5], v[18:21]
	ds_read2_b64 v[22:25], v30 offset0:64 offset1:68
	s_waitcnt lgkmcnt(0)
	v_mfma_f32_16x16x16_f16 v[202:205], v[22:23], v[14:15], 0
	s_nop 4
	v_cmp_nlt_f32_e64 s[8:9], |v18|, s39
	v_mfma_f32_16x16x16_f16 v[22:25], v[24:25], v[16:17], v[202:205]
	s_nop 2
	ds_read2_b64 v[202:205], v30 offset0:72 offset1:76
	s_waitcnt lgkmcnt(0)
	v_mfma_f32_16x16x16_f16 v[22:25], v[202:203], v[10:11], v[22:25]
	v_mfma_f32_16x16x16_f16 v[22:25], v[204:205], v[12:13], v[22:25]
	ds_read2_b64 v[202:205], v30 offset0:80 offset1:84
	s_waitcnt lgkmcnt(0)
	v_mfma_f32_16x16x16_f16 v[22:25], v[202:203], v[6:7], v[22:25]
	v_mfma_f32_16x16x16_f16 v[22:25], v[204:205], v[8:9], v[22:25]
	ds_read2_b64 v[202:205], v30 offset0:88 offset1:92
	s_waitcnt lgkmcnt(0)
	s_barrier
	v_mfma_f32_16x16x16_f16 v[22:25], v[202:203], v[2:3], v[22:25]
                                        ; implicit-def: $vgpr30
	v_mfma_f32_16x16x16_f16 v[22:25], v[204:205], v[4:5], v[22:25]
	s_and_saveexec_b64 s[12:13], s[8:9]
	s_xor_b64 s[8:9], exec, s[12:13]
	s_cbranch_execz .LBB25_248
; %bb.247:                              ;   in Loop: Header=BB25_246 Depth=2
	v_add_f32_e64 v30, |v18|, |v18|
	v_mul_f32_e32 v41, 0x3fb8aa3b, v30
	v_rndne_f32_e32 v44, v41
	v_sub_f32_e32 v45, v41, v44
	v_fma_f32 v41, v30, s67, -v41
	v_fmac_f32_e32 v41, 0x32a5705f, v30
	v_add_f32_e32 v41, v45, v41
	v_cvt_i32_f32_e32 v44, v44
	v_exp_f32_e32 v41, v41
	v_cmp_ngt_f32_e32 vcc, s33, v30
	v_ldexp_f32 v41, v41, v44
	s_nop 0
	v_cndmask_b32_e32 v41, 0, v41, vcc
	v_cmp_nlt_f32_e32 vcc, s6, v30
	s_nop 1
	v_cndmask_b32_e32 v30, v198, v41, vcc
	v_add_f32_e32 v30, 1.0, v30
	v_rcp_f32_e32 v30, v30
	s_nop 0
	v_fma_f32 v30, v30, -2.0, 1.0
.LBB25_248:                             ;   in Loop: Header=BB25_246 Depth=2
	s_andn2_saveexec_b64 s[8:9], s[8:9]
; %bb.249:                              ;   in Loop: Header=BB25_246 Depth=2
	v_mul_f32_e32 v30, v18, v18
	v_fmamk_f32 v41, v30, 0xbbbac73d, v196
	v_fmaak_f32 v41, v30, v41, 0xbd5c1c4e
	v_fmaak_f32 v41, v30, v41, 0x3e088382
	;; [unrolled: 1-line block ×3, first 2 shown]
	v_mul_f32_e64 v41, |v18|, v41
	v_fma_f32 v30, v30, v41, |v18|
; %bb.250:                              ;   in Loop: Header=BB25_246 Depth=2
	s_or_b64 exec, exec, s[8:9]
	v_cmp_nlt_f32_e64 s[8:9], |v19|, s39
                                        ; implicit-def: $vgpr41
	s_and_saveexec_b64 s[12:13], s[8:9]
	s_xor_b64 s[8:9], exec, s[12:13]
	s_cbranch_execz .LBB25_252
; %bb.251:                              ;   in Loop: Header=BB25_246 Depth=2
	v_add_f32_e64 v41, |v19|, |v19|
	v_mul_f32_e32 v44, 0x3fb8aa3b, v41
	v_rndne_f32_e32 v45, v44
	v_sub_f32_e32 v93, v44, v45
	v_fma_f32 v44, v41, s67, -v44
	v_fmac_f32_e32 v44, 0x32a5705f, v41
	v_add_f32_e32 v44, v93, v44
	v_cvt_i32_f32_e32 v45, v45
	v_exp_f32_e32 v44, v44
	v_cmp_ngt_f32_e32 vcc, s33, v41
	v_ldexp_f32 v44, v44, v45
	s_nop 0
	v_cndmask_b32_e32 v44, 0, v44, vcc
	v_cmp_nlt_f32_e32 vcc, s6, v41
	s_nop 1
	v_cndmask_b32_e32 v41, v198, v44, vcc
	v_add_f32_e32 v41, 1.0, v41
	v_rcp_f32_e32 v41, v41
	s_nop 0
	v_fma_f32 v41, v41, -2.0, 1.0
.LBB25_252:                             ;   in Loop: Header=BB25_246 Depth=2
	s_andn2_saveexec_b64 s[8:9], s[8:9]
; %bb.253:                              ;   in Loop: Header=BB25_246 Depth=2
	v_mul_f32_e32 v41, v19, v19
	v_fmamk_f32 v44, v41, 0xbbbac73d, v196
	v_fmaak_f32 v44, v41, v44, 0xbd5c1c4e
	v_fmaak_f32 v44, v41, v44, 0x3e088382
	;; [unrolled: 1-line block ×3, first 2 shown]
	v_mul_f32_e64 v44, |v19|, v44
	v_fma_f32 v41, v41, v44, |v19|
; %bb.254:                              ;   in Loop: Header=BB25_246 Depth=2
	s_or_b64 exec, exec, s[8:9]
	v_cmp_nlt_f32_e64 s[8:9], |v20|, s39
                                        ; implicit-def: $vgpr44
	s_and_saveexec_b64 s[12:13], s[8:9]
	s_xor_b64 s[8:9], exec, s[12:13]
	s_cbranch_execz .LBB25_256
; %bb.255:                              ;   in Loop: Header=BB25_246 Depth=2
	v_add_f32_e64 v44, |v20|, |v20|
	v_mul_f32_e32 v45, 0x3fb8aa3b, v44
	v_rndne_f32_e32 v93, v45
	v_sub_f32_e32 v134, v45, v93
	v_fma_f32 v45, v44, s67, -v45
	v_fmac_f32_e32 v45, 0x32a5705f, v44
	v_add_f32_e32 v45, v134, v45
	v_cvt_i32_f32_e32 v93, v93
	v_exp_f32_e32 v45, v45
	v_cmp_ngt_f32_e32 vcc, s33, v44
	v_ldexp_f32 v45, v45, v93
	s_nop 0
	v_cndmask_b32_e32 v45, 0, v45, vcc
	v_cmp_nlt_f32_e32 vcc, s6, v44
	s_nop 1
	v_cndmask_b32_e32 v44, v198, v45, vcc
	v_add_f32_e32 v44, 1.0, v44
	v_rcp_f32_e32 v44, v44
	s_nop 0
	v_fma_f32 v44, v44, -2.0, 1.0
.LBB25_256:                             ;   in Loop: Header=BB25_246 Depth=2
	s_andn2_saveexec_b64 s[8:9], s[8:9]
; %bb.257:                              ;   in Loop: Header=BB25_246 Depth=2
	v_mul_f32_e32 v44, v20, v20
	v_fmamk_f32 v45, v44, 0xbbbac73d, v196
	v_fmaak_f32 v45, v44, v45, 0xbd5c1c4e
	v_fmaak_f32 v45, v44, v45, 0x3e088382
	;; [unrolled: 1-line block ×3, first 2 shown]
	v_mul_f32_e64 v45, |v20|, v45
	v_fma_f32 v44, v44, v45, |v20|
; %bb.258:                              ;   in Loop: Header=BB25_246 Depth=2
	s_or_b64 exec, exec, s[8:9]
	v_cmp_nlt_f32_e64 s[8:9], |v21|, s39
                                        ; implicit-def: $vgpr45
	s_and_saveexec_b64 s[12:13], s[8:9]
	s_xor_b64 s[8:9], exec, s[12:13]
	s_cbranch_execz .LBB25_260
; %bb.259:                              ;   in Loop: Header=BB25_246 Depth=2
	v_add_f32_e64 v45, |v21|, |v21|
	v_mul_f32_e32 v93, 0x3fb8aa3b, v45
	v_rndne_f32_e32 v134, v93
	v_sub_f32_e32 v135, v93, v134
	v_fma_f32 v93, v45, s67, -v93
	v_fmac_f32_e32 v93, 0x32a5705f, v45
	v_add_f32_e32 v93, v135, v93
	v_cvt_i32_f32_e32 v134, v134
	v_exp_f32_e32 v93, v93
	v_cmp_ngt_f32_e32 vcc, s33, v45
	v_ldexp_f32 v93, v93, v134
	s_nop 0
	v_cndmask_b32_e32 v93, 0, v93, vcc
	v_cmp_nlt_f32_e32 vcc, s6, v45
	s_nop 1
	v_cndmask_b32_e32 v45, v198, v93, vcc
	v_add_f32_e32 v45, 1.0, v45
	v_rcp_f32_e32 v45, v45
	s_nop 0
	v_fma_f32 v45, v45, -2.0, 1.0
.LBB25_260:                             ;   in Loop: Header=BB25_246 Depth=2
	s_andn2_saveexec_b64 s[8:9], s[8:9]
; %bb.261:                              ;   in Loop: Header=BB25_246 Depth=2
	v_mul_f32_e32 v45, v21, v21
	v_fmamk_f32 v93, v45, 0xbbbac73d, v196
	v_fmaak_f32 v93, v45, v93, 0xbd5c1c4e
	v_fmaak_f32 v93, v45, v93, 0x3e088382
	;; [unrolled: 1-line block ×3, first 2 shown]
	v_mul_f32_e64 v93, |v21|, v93
	v_fma_f32 v45, v45, v93, |v21|
; %bb.262:                              ;   in Loop: Header=BB25_246 Depth=2
	s_or_b64 exec, exec, s[8:9]
	v_cmp_nlt_f32_e64 s[8:9], |v22|, s39
                                        ; implicit-def: $vgpr93
	s_and_saveexec_b64 s[12:13], s[8:9]
	s_xor_b64 s[8:9], exec, s[12:13]
	s_cbranch_execz .LBB25_264
; %bb.263:                              ;   in Loop: Header=BB25_246 Depth=2
	v_add_f32_e64 v93, |v22|, |v22|
	v_mul_f32_e32 v134, 0x3fb8aa3b, v93
	v_rndne_f32_e32 v135, v134
	v_sub_f32_e32 v199, v134, v135
	v_fma_f32 v134, v93, s67, -v134
	v_fmac_f32_e32 v134, 0x32a5705f, v93
	v_add_f32_e32 v134, v199, v134
	v_cvt_i32_f32_e32 v135, v135
	v_exp_f32_e32 v134, v134
	v_cmp_ngt_f32_e32 vcc, s33, v93
	v_ldexp_f32 v134, v134, v135
	s_nop 0
	v_cndmask_b32_e32 v134, 0, v134, vcc
	v_cmp_nlt_f32_e32 vcc, s6, v93
	s_nop 1
	v_cndmask_b32_e32 v93, v198, v134, vcc
	v_add_f32_e32 v93, 1.0, v93
	v_rcp_f32_e32 v93, v93
	s_nop 0
	v_fma_f32 v93, v93, -2.0, 1.0
.LBB25_264:                             ;   in Loop: Header=BB25_246 Depth=2
	s_andn2_saveexec_b64 s[8:9], s[8:9]
; %bb.265:                              ;   in Loop: Header=BB25_246 Depth=2
	v_mul_f32_e32 v93, v22, v22
	v_fmamk_f32 v134, v93, 0xbbbac73d, v196
	v_fmaak_f32 v134, v93, v134, 0xbd5c1c4e
	v_fmaak_f32 v134, v93, v134, 0x3e088382
	;; [unrolled: 1-line block ×3, first 2 shown]
	v_mul_f32_e64 v134, |v22|, v134
	v_fma_f32 v93, v93, v134, |v22|
; %bb.266:                              ;   in Loop: Header=BB25_246 Depth=2
	s_or_b64 exec, exec, s[8:9]
	v_cmp_nlt_f32_e64 s[8:9], |v23|, s39
                                        ; implicit-def: $vgpr134
	s_and_saveexec_b64 s[12:13], s[8:9]
	s_xor_b64 s[8:9], exec, s[12:13]
	s_cbranch_execz .LBB25_268
; %bb.267:                              ;   in Loop: Header=BB25_246 Depth=2
	v_add_f32_e64 v134, |v23|, |v23|
	v_mul_f32_e32 v135, 0x3fb8aa3b, v134
	v_rndne_f32_e32 v199, v135
	v_sub_f32_e32 v202, v135, v199
	v_fma_f32 v135, v134, s67, -v135
	v_fmac_f32_e32 v135, 0x32a5705f, v134
	v_add_f32_e32 v135, v202, v135
	v_cvt_i32_f32_e32 v199, v199
	v_exp_f32_e32 v135, v135
	v_cmp_ngt_f32_e32 vcc, s33, v134
	v_ldexp_f32 v135, v135, v199
	s_nop 0
	v_cndmask_b32_e32 v135, 0, v135, vcc
	v_cmp_nlt_f32_e32 vcc, s6, v134
	s_nop 1
	v_cndmask_b32_e32 v134, v198, v135, vcc
	v_add_f32_e32 v134, 1.0, v134
	v_rcp_f32_e32 v134, v134
	s_nop 0
	v_fma_f32 v134, v134, -2.0, 1.0
.LBB25_268:                             ;   in Loop: Header=BB25_246 Depth=2
	s_andn2_saveexec_b64 s[8:9], s[8:9]
; %bb.269:                              ;   in Loop: Header=BB25_246 Depth=2
	v_mul_f32_e32 v134, v23, v23
	v_fmamk_f32 v135, v134, 0xbbbac73d, v196
	v_fmaak_f32 v135, v134, v135, 0xbd5c1c4e
	v_fmaak_f32 v135, v134, v135, 0x3e088382
	;; [unrolled: 1-line block ×3, first 2 shown]
	v_mul_f32_e64 v135, |v23|, v135
	v_fma_f32 v134, v134, v135, |v23|
; %bb.270:                              ;   in Loop: Header=BB25_246 Depth=2
	s_or_b64 exec, exec, s[8:9]
	v_cmp_nlt_f32_e64 s[8:9], |v24|, s39
                                        ; implicit-def: $vgpr135
	s_and_saveexec_b64 s[12:13], s[8:9]
	s_xor_b64 s[8:9], exec, s[12:13]
	s_cbranch_execz .LBB25_272
; %bb.271:                              ;   in Loop: Header=BB25_246 Depth=2
	v_add_f32_e64 v135, |v24|, |v24|
	v_mul_f32_e32 v199, 0x3fb8aa3b, v135
	v_rndne_f32_e32 v202, v199
	v_sub_f32_e32 v203, v199, v202
	v_fma_f32 v199, v135, s67, -v199
	v_fmac_f32_e32 v199, 0x32a5705f, v135
	v_add_f32_e32 v199, v203, v199
	v_cvt_i32_f32_e32 v202, v202
	v_exp_f32_e32 v199, v199
	v_cmp_ngt_f32_e32 vcc, s33, v135
	v_ldexp_f32 v199, v199, v202
	s_nop 0
	v_cndmask_b32_e32 v199, 0, v199, vcc
	v_cmp_nlt_f32_e32 vcc, s6, v135
	s_nop 1
	v_cndmask_b32_e32 v135, v198, v199, vcc
	v_add_f32_e32 v135, 1.0, v135
	v_rcp_f32_e32 v135, v135
	s_nop 0
	v_fma_f32 v135, v135, -2.0, 1.0
.LBB25_272:                             ;   in Loop: Header=BB25_246 Depth=2
	s_andn2_saveexec_b64 s[8:9], s[8:9]
; %bb.273:                              ;   in Loop: Header=BB25_246 Depth=2
	v_mul_f32_e32 v135, v24, v24
	v_fmamk_f32 v199, v135, 0xbbbac73d, v196
	v_fmaak_f32 v199, v135, v199, 0xbd5c1c4e
	v_fmaak_f32 v199, v135, v199, 0x3e088382
	;; [unrolled: 1-line block ×3, first 2 shown]
	v_mul_f32_e64 v199, |v24|, v199
	v_fma_f32 v135, v135, v199, |v24|
; %bb.274:                              ;   in Loop: Header=BB25_246 Depth=2
	s_or_b64 exec, exec, s[8:9]
	v_cmp_nlt_f32_e64 s[8:9], |v25|, s39
                                        ; implicit-def: $vgpr199
	s_and_saveexec_b64 s[12:13], s[8:9]
	s_xor_b64 s[8:9], exec, s[12:13]
	s_cbranch_execz .LBB25_276
; %bb.275:                              ;   in Loop: Header=BB25_246 Depth=2
	v_add_f32_e64 v199, |v25|, |v25|
	v_mul_f32_e32 v202, 0x3fb8aa3b, v199
	v_rndne_f32_e32 v203, v202
	v_sub_f32_e32 v204, v202, v203
	v_fma_f32 v202, v199, s67, -v202
	v_fmac_f32_e32 v202, 0x32a5705f, v199
	v_add_f32_e32 v202, v204, v202
	v_cvt_i32_f32_e32 v203, v203
	v_exp_f32_e32 v202, v202
	v_cmp_ngt_f32_e32 vcc, s33, v199
	v_ldexp_f32 v202, v202, v203
	s_nop 0
	v_cndmask_b32_e32 v202, 0, v202, vcc
	v_cmp_nlt_f32_e32 vcc, s6, v199
	s_nop 1
	v_cndmask_b32_e32 v199, v198, v202, vcc
	v_add_f32_e32 v199, 1.0, v199
	v_rcp_f32_e32 v199, v199
	s_nop 0
	v_fma_f32 v199, v199, -2.0, 1.0
.LBB25_276:                             ;   in Loop: Header=BB25_246 Depth=2
	s_andn2_saveexec_b64 s[8:9], s[8:9]
; %bb.277:                              ;   in Loop: Header=BB25_246 Depth=2
	v_mul_f32_e32 v199, v25, v25
	v_fmamk_f32 v202, v199, 0xbbbac73d, v196
	v_fmaak_f32 v202, v199, v202, 0xbd5c1c4e
	v_fmaak_f32 v202, v199, v202, 0x3e088382
	v_fmaak_f32 v202, v199, v202, 0xbeaaaa99
	v_mul_f32_e64 v202, |v25|, v202
	v_fma_f32 v199, v199, v202, |v25|
; %bb.278:                              ;   in Loop: Header=BB25_246 Depth=2
	s_or_b64 exec, exec, s[8:9]
	v_bfi_b32 v30, s7, v30, v18
	v_add_u32_e32 v18, 0x4400, v139
	v_bfi_b32 v41, s7, v41, v19
	ds_read2_b32 v[18:19], v18 offset1:1
	v_bfi_b32 v21, s7, v45, v21
	v_bfi_b32 v20, s7, v44, v20
	;; [unrolled: 1-line block ×4, first 2 shown]
	s_waitcnt lgkmcnt(0)
	v_fma_mix_f32 v20, s3, v20, v19 op_sel_hi:[0,0,1]
	v_fma_mix_f32 v19, s3, v21, v19 op_sel:[0,0,1] op_sel_hi:[0,0,1]
	ds_read_b32 v21, v145 offset:17408
	v_bfi_b32 v24, s7, v135, v24
	v_bfi_b32 v25, s7, v199, v25
	v_fma_mix_f32 v30, s3, v30, v18 op_sel_hi:[0,0,1]
	v_fma_mix_f32 v18, s3, v41, v18 op_sel:[0,0,1] op_sel_hi:[0,0,1]
	s_waitcnt lgkmcnt(0)
	v_fma_mix_f32 v44, s3, v22, v21 op_sel_hi:[0,0,1]
	ds_read_b32 v22, v146 offset:17408
	v_fma_mix_f32 v21, s3, v23, v21 op_sel:[0,0,1] op_sel_hi:[0,0,1]
	v_add_f32_e32 v23, 0x40051340, v18
	s_add_i32 s11, s11, -1
	s_mov_b64 s[8:9], 0x80
	s_waitcnt lgkmcnt(0)
	v_fma_mix_f32 v134, s3, v24, v22 op_sel_hi:[0,0,1]
	v_fma_mix_f32 v25, s3, v25, v22 op_sel:[0,0,1] op_sel_hi:[0,0,1]
	v_add_f32_e32 v22, 0x40051340, v30
	v_max3_f32 v22, v27, v22, v23
	v_add_f32_e32 v23, 0x40051340, v20
	v_add_f32_e32 v24, 0x40051340, v19
	v_max3_f32 v22, v22, v23, v24
	v_add_f32_e32 v23, 0x40051340, v44
	;; [unrolled: 3-line block ×3, first 2 shown]
	v_add_f32_e32 v24, 0x40051340, v25
	v_max3_f32 v22, v22, v23, v24
	ds_bpermute_b32 v23, v200, v22
	v_lshl_add_u64 v[114:115], v[114:115], 0, s[8:9]
	v_lshl_add_u64 v[124:125], v[124:125], 0, s[70:71]
	;; [unrolled: 1-line block ×4, first 2 shown]
	s_waitcnt lgkmcnt(0)
	v_max_f32_e32 v23, v23, v23
	v_max_f32_e32 v22, v22, v23
	ds_bpermute_b32 v23, v201, v22
	v_lshl_add_u64 v[130:131], v[130:131], 0, s[70:71]
	s_cmp_lg_u32 s11, 0
	s_waitcnt lgkmcnt(0)
	v_max_f32_e32 v23, v23, v23
	v_max_f32_e32 v93, v22, v23
	v_sub_f32_e32 v22, v30, v93
	v_mul_f32_e32 v23, 0x3fb8aa3b, v22
	v_fma_f32 v24, v22, s67, -v23
	v_rndne_f32_e32 v30, v23
	v_fmac_f32_e32 v24, 0x32a5705f, v22
	v_sub_f32_e32 v23, v23, v30
	v_add_f32_e32 v23, v23, v24
	v_exp_f32_e32 v23, v23
	v_cvt_i32_f32_e32 v24, v30
	v_cmp_ngt_f32_e32 vcc, s33, v22
	v_sub_f32_e32 v18, v18, v93
	v_sub_f32_e32 v20, v20, v93
	v_ldexp_f32 v23, v23, v24
	v_cndmask_b32_e32 v23, 0, v23, vcc
	v_cmp_nlt_f32_e32 vcc, s6, v22
	v_sub_f32_e32 v19, v19, v93
	s_nop 0
	v_cndmask_b32_e32 v22, v198, v23, vcc
	v_mul_f32_e32 v23, 0x3fb8aa3b, v18
	v_fma_f32 v24, v18, s67, -v23
	v_rndne_f32_e32 v30, v23
	v_fmac_f32_e32 v24, 0x32a5705f, v18
	v_sub_f32_e32 v23, v23, v30
	v_add_f32_e32 v23, v23, v24
	v_exp_f32_e32 v23, v23
	v_cvt_i32_f32_e32 v24, v30
	v_cmp_ngt_f32_e32 vcc, s33, v18
	v_ldexp_f32 v23, v23, v24
	v_mul_f32_e32 v24, 0x3fb8aa3b, v20
	v_fma_f32 v30, v20, s67, -v24
	v_rndne_f32_e32 v41, v24
	v_fmac_f32_e32 v30, 0x32a5705f, v20
	v_sub_f32_e32 v24, v24, v41
	v_add_f32_e32 v24, v24, v30
	v_exp_f32_e32 v24, v24
	v_cvt_i32_f32_e32 v30, v41
	v_cndmask_b32_e32 v23, 0, v23, vcc
	v_cmp_nlt_f32_e32 vcc, s6, v18
	v_ldexp_f32 v24, v24, v30
	s_nop 0
	v_cndmask_b32_e32 v23, v198, v23, vcc
	v_cmp_ngt_f32_e32 vcc, s33, v20
	v_add_f32_e32 v18, v22, v23
	s_nop 0
	v_cndmask_b32_e32 v24, 0, v24, vcc
	v_cmp_nlt_f32_e32 vcc, s6, v20
	v_mul_f32_e32 v20, 0x3fb8aa3b, v19
	v_fma_f32 v30, v19, s67, -v20
	v_rndne_f32_e32 v41, v20
	v_fmac_f32_e32 v30, 0x32a5705f, v19
	v_sub_f32_e32 v20, v20, v41
	v_add_f32_e32 v20, v20, v30
	v_exp_f32_e32 v20, v20
	v_cvt_i32_f32_e32 v30, v41
	v_cndmask_b32_e32 v24, v198, v24, vcc
	v_cmp_ngt_f32_e32 vcc, s33, v19
	v_add_f32_e32 v18, v24, v18
	v_ldexp_f32 v20, v20, v30
	v_cndmask_b32_e32 v20, 0, v20, vcc
	v_cmp_nlt_f32_e32 vcc, s6, v19
	v_sub_f32_e32 v19, v44, v93
	s_nop 0
	v_cndmask_b32_e32 v41, v198, v20, vcc
	v_mul_f32_e32 v20, 0x3fb8aa3b, v19
	v_fma_f32 v30, v19, s67, -v20
	v_rndne_f32_e32 v44, v20
	v_fmac_f32_e32 v30, 0x32a5705f, v19
	v_sub_f32_e32 v20, v20, v44
	v_add_f32_e32 v20, v20, v30
	v_exp_f32_e32 v20, v20
	v_cvt_i32_f32_e32 v30, v44
	v_cmp_ngt_f32_e32 vcc, s33, v19
	v_add_f32_e32 v18, v41, v18
	v_ldexp_f32 v20, v20, v30
	v_cndmask_b32_e32 v20, 0, v20, vcc
	v_cmp_nlt_f32_e32 vcc, s6, v19
	v_sub_f32_e32 v19, v21, v93
	s_nop 0
	v_cndmask_b32_e32 v44, v198, v20, vcc
	v_mul_f32_e32 v20, 0x3fb8aa3b, v19
	v_fma_f32 v21, v19, s67, -v20
	v_rndne_f32_e32 v30, v20
	v_fmac_f32_e32 v21, 0x32a5705f, v19
	v_sub_f32_e32 v20, v20, v30
	v_add_f32_e32 v20, v20, v21
	v_exp_f32_e32 v20, v20
	v_cvt_i32_f32_e32 v21, v30
	v_cmp_ngt_f32_e32 vcc, s33, v19
	v_add_f32_e32 v18, v44, v18
	v_ldexp_f32 v20, v20, v21
	v_cndmask_b32_e32 v20, 0, v20, vcc
	v_cmp_nlt_f32_e32 vcc, s6, v19
	v_sub_f32_e32 v19, v134, v93
	v_lshl_add_u64 v[134:135], v[122:123], 0, v[72:73]
	v_cndmask_b32_e32 v45, v198, v20, vcc
	v_mul_f32_e32 v20, 0x3fb8aa3b, v19
	v_fma_f32 v21, v19, s67, -v20
	v_rndne_f32_e32 v30, v20
	v_fmac_f32_e32 v21, 0x32a5705f, v19
	v_sub_f32_e32 v20, v20, v30
	v_add_f32_e32 v20, v20, v21
	v_exp_f32_e32 v20, v20
	v_cvt_i32_f32_e32 v21, v30
	v_cmp_ngt_f32_e32 vcc, s33, v19
	v_add_f32_e32 v18, v45, v18
	v_lshl_add_u64 v[122:123], v[122:123], 0, s[68:69]
	v_ldexp_f32 v20, v20, v21
	v_cndmask_b32_e32 v20, 0, v20, vcc
	v_cmp_nlt_f32_e32 vcc, s6, v19
	v_sub_f32_e32 v19, v25, v93
	s_nop 0
	v_cndmask_b32_e32 v204, v198, v20, vcc
	v_mul_f32_e32 v20, 0x3fb8aa3b, v19
	v_fma_f32 v21, v19, s67, -v20
	v_rndne_f32_e32 v25, v20
	v_fmac_f32_e32 v21, 0x32a5705f, v19
	v_sub_f32_e32 v20, v20, v25
	v_add_f32_e32 v20, v20, v21
	v_exp_f32_e32 v20, v20
	v_cvt_i32_f32_e32 v21, v25
	v_cmp_ngt_f32_e32 vcc, s33, v19
	v_add_f32_e32 v18, v204, v18
	v_ldexp_f32 v20, v20, v21
	v_cndmask_b32_e32 v20, 0, v20, vcc
	v_cmp_nlt_f32_e32 vcc, s6, v19
	s_nop 1
	v_cndmask_b32_e32 v205, v198, v20, vcc
	v_add_f32_e32 v199, v205, v18
	v_sub_f32_e32 v18, v27, v93
	v_mul_f32_e32 v19, 0x3fb8aa3b, v18
	v_fma_f32 v20, v18, s67, -v19
	v_rndne_f32_e32 v21, v19
	v_fmac_f32_e32 v20, 0x32a5705f, v18
	v_sub_f32_e32 v19, v19, v21
	v_add_f32_e32 v19, v19, v20
	v_exp_f32_e32 v19, v19
	v_cvt_i32_f32_e32 v20, v21
	v_cmp_ngt_f32_e32 vcc, s33, v18
	v_ldexp_f32 v19, v19, v20
	s_nop 0
	v_cndmask_b32_e32 v19, 0, v19, vcc
	v_cmp_nlt_f32_e32 vcc, s6, v18
	s_nop 1
	v_cndmask_b32_e32 v19, v198, v19, vcc
	v_cmp_le_f32_e32 vcc, s87, v18
	s_nop 1
	v_cndmask_b32_e32 v18, 0, v19, vcc
	v_fmac_f32_e32 v199, v26, v18
	v_cvt_f16_f32_e32 v18, v18
	v_mul_u32_u24_e32 v18, 0x10001, v18
	v_pk_mul_f16 v40, v40, v18
	v_pk_mul_f16 v37, v37, v18
	;; [unrolled: 1-line block ×16, first 2 shown]
	v_lshl_add_u64 v[18:19], v[116:117], 0, v[72:73]
	global_load_dwordx4 v[18:21], v[18:19], off
	v_lshl_add_u64 v[28:29], v[118:119], 0, v[72:73]
	v_lshl_add_u64 v[132:133], v[120:121], 0, v[72:73]
	v_cvt_f32_f16_e32 v206, v26
	v_cvt_f32_f16_sdwa v207, v26 dst_sel:DWORD dst_unused:UNUSED_PAD src0_sel:WORD_1
	v_lshl_add_u64 v[116:117], v[116:117], 0, s[68:69]
	v_lshl_add_u64 v[118:119], v[118:119], 0, s[68:69]
	;; [unrolled: 1-line block ×3, first 2 shown]
	s_waitcnt vmcnt(0)
	ds_write_b128 v138, v[18:21]
	global_load_dwordx4 v[18:21], v[28:29], off
	s_waitcnt vmcnt(0)
	ds_write_b128 v175, v[18:21]
	global_load_dwordx4 v[18:21], v[132:133], off
	v_cvt_pk_f16_f32 v133, v204, v205
	v_cvt_pk_f16_f32 v132, v44, v45
	v_cvt_f32_f16_e32 v204, v27
	v_cvt_f32_f16_sdwa v205, v27 dst_sel:DWORD dst_unused:UNUSED_PAD src0_sel:WORD_1
	s_waitcnt vmcnt(0)
	ds_write_b128 v176, v[18:21]
	global_load_dwordx4 v[18:21], v[134:135], off
	v_cvt_pk_f16_f32 v135, v24, v41
	v_cvt_pk_f16_f32 v134, v22, v23
	s_waitcnt vmcnt(0)
	ds_write_b128 v177, v[18:21]
	s_waitcnt lgkmcnt(0)
	s_barrier
	ds_read_u16 v28, v140 offset:272
	ds_read_u16 v29, v140 offset:544
	ds_read_u16 v31, v141
	ds_read_u16 v36, v141 offset:32
	v_cvt_f32_f16_e32 v20, v37
	v_cvt_f32_f16_sdwa v21, v37 dst_sel:DWORD dst_unused:UNUSED_PAD src0_sel:WORD_1
	v_cvt_f32_f16_e32 v18, v40
	s_waitcnt lgkmcnt(1)
	v_perm_b32 v29, v31, v29, s2
	ds_read_u16 v31, v140
	ds_read_u16 v37, v140 offset:32
	v_cvt_f32_f16_sdwa v19, v40 dst_sel:DWORD dst_unused:UNUSED_PAD src0_sel:WORD_1
	s_waitcnt lgkmcnt(1)
	v_perm_b32 v28, v28, v31, s2
	s_nop 1
	v_mfma_f32_16x16x16_f16 v[18:21], v[28:29], v[134:135], v[18:21]
	ds_read_u16 v22, v140 offset:8704
	ds_read_u16 v24, v140 offset:8976
	;; [unrolled: 1-line block ×4, first 2 shown]
	s_nop 3
	v_cvt_f16_f32_e32 v18, v18
	v_cvt_f16_f32_e32 v19, v19
	;; [unrolled: 1-line block ×4, first 2 shown]
	s_waitcnt lgkmcnt(0)
	v_perm_b32 v23, v28, v23, s2
	ds_read_u16 v28, v140 offset:304
	ds_read_u16 v29, v140 offset:576
	v_perm_b32 v22, v24, v22, s2
	v_cvt_f32_f16_e32 v18, v18
	v_cvt_f32_f16_e32 v19, v19
	;; [unrolled: 1-line block ×4, first 2 shown]
	s_waitcnt lgkmcnt(0)
	v_perm_b32 v29, v36, v29, s2
	v_perm_b32 v28, v28, v37, s2
	v_mfma_f32_16x16x16_f16 v[18:21], v[22:23], v[132:133], v[18:21]
	v_cvt_f32_f16_e32 v22, v33
	v_cvt_f32_f16_sdwa v23, v33 dst_sel:DWORD dst_unused:UNUSED_PAD src0_sel:WORD_1
	v_cvt_f32_f16_e32 v24, v25
	v_cvt_f32_f16_sdwa v25, v25 dst_sel:DWORD dst_unused:UNUSED_PAD src0_sel:WORD_1
	s_nop 1
	v_mfma_f32_16x16x16_f16 v[22:25], v[28:29], v[134:135], v[22:25]
	ds_read_u16 v28, v140 offset:8736
	ds_read_u16 v31, v140 offset:9008
	;; [unrolled: 1-line block ×4, first 2 shown]
	s_nop 3
	v_cvt_f16_f32_e32 v22, v22
	v_cvt_f16_f32_e32 v23, v23
	;; [unrolled: 1-line block ×4, first 2 shown]
	s_waitcnt lgkmcnt(0)
	v_perm_b32 v29, v33, v29, s2
	v_perm_b32 v28, v31, v28, s2
	v_cvt_f32_f16_e32 v22, v22
	v_cvt_f32_f16_e32 v23, v23
	;; [unrolled: 1-line block ×4, first 2 shown]
	s_nop 1
	v_mfma_f32_16x16x16_f16 v[22:25], v[28:29], v[132:133], v[22:25]
	ds_read_u16 v28, v140 offset:64
	ds_read_u16 v29, v140 offset:336
	;; [unrolled: 1-line block ×4, first 2 shown]
	s_waitcnt lgkmcnt(2)
	v_perm_b32 v26, v29, v28, s2
	s_waitcnt lgkmcnt(0)
	v_perm_b32 v27, v33, v31, s2
	ds_read_u16 v31, v140 offset:8768
	ds_read_u16 v33, v140 offset:9040
	;; [unrolled: 1-line block ×4, first 2 shown]
	v_mfma_f32_16x16x16_f16 v[26:29], v[26:27], v[134:135], v[204:207]
	s_waitcnt lgkmcnt(0)
	v_perm_b32 v37, v37, v36, s2
	v_perm_b32 v36, v33, v31, s2
	v_cvt_f32_f16_e32 v206, v30
	s_nop 3
	v_cvt_f16_f32_e32 v26, v26
	v_cvt_f16_f32_e32 v27, v27
	;; [unrolled: 1-line block ×4, first 2 shown]
	v_cvt_f32_f16_e32 v26, v26
	v_cvt_f32_f16_e32 v27, v27
	;; [unrolled: 1-line block ×4, first 2 shown]
	v_cvt_f32_f16_sdwa v207, v30 dst_sel:DWORD dst_unused:UNUSED_PAD src0_sel:WORD_1
	v_cvt_f32_f16_e32 v204, v32
	v_mfma_f32_16x16x16_f16 v[26:29], v[36:37], v[132:133], v[26:29]
	ds_read_u16 v33, v140 offset:96
	ds_read_u16 v36, v140 offset:368
	;; [unrolled: 1-line block ×4, first 2 shown]
	v_cvt_f32_f16_sdwa v205, v32 dst_sel:DWORD dst_unused:UNUSED_PAD src0_sel:WORD_1
	s_waitcnt lgkmcnt(2)
	v_perm_b32 v30, v36, v33, s2
	s_nop 0
	v_cvt_pk_f16_f32 v28, v28, v29
	s_waitcnt lgkmcnt(0)
	v_perm_b32 v31, v37, v31, s2
	ds_read_u16 v36, v140 offset:8800
	ds_read_u16 v40, v140 offset:9072
	;; [unrolled: 1-line block ×4, first 2 shown]
	v_mfma_f32_16x16x16_f16 v[30:33], v[30:31], v[134:135], v[204:207]
	s_waitcnt lgkmcnt(0)
	v_perm_b32 v37, v41, v37, s2
	v_perm_b32 v36, v40, v36, s2
	v_cvt_f32_f16_e32 v204, v35
	s_nop 3
	v_cvt_f16_f32_e32 v30, v30
	v_cvt_f16_f32_e32 v31, v31
	v_cvt_f16_f32_e32 v32, v32
	v_cvt_f16_f32_e32 v33, v33
	v_cvt_f32_f16_e32 v30, v30
	v_cvt_f32_f16_e32 v31, v31
	;; [unrolled: 1-line block ×4, first 2 shown]
	v_cvt_f32_f16_sdwa v205, v35 dst_sel:DWORD dst_unused:UNUSED_PAD src0_sel:WORD_1
	v_cvt_f32_f16_e32 v206, v34
	v_mfma_f32_16x16x16_f16 v[30:33], v[36:37], v[132:133], v[30:33]
	ds_read_u16 v36, v140 offset:128
	ds_read_u16 v37, v140 offset:400
	ds_read_u16 v40, v140 offset:672
	ds_read_u16 v41, v141 offset:128
	v_cvt_f32_f16_sdwa v207, v34 dst_sel:DWORD dst_unused:UNUSED_PAD src0_sel:WORD_1
	v_cvt_pk_f16_f32 v29, v24, v25
	s_waitcnt lgkmcnt(2)
	v_perm_b32 v34, v37, v36, s2
	s_waitcnt lgkmcnt(0)
	v_perm_b32 v35, v41, v40, s2
	ds_read_u16 v40, v140 offset:8832
	ds_read_u16 v44, v140 offset:9104
	;; [unrolled: 1-line block ×4, first 2 shown]
	v_mfma_f32_16x16x16_f16 v[34:37], v[34:35], v[134:135], v[204:207]
	s_waitcnt lgkmcnt(0)
	v_perm_b32 v41, v45, v41, s2
	v_perm_b32 v40, v44, v40, s2
	v_cvt_f32_f16_e32 v204, v39
	s_nop 3
	v_cvt_f16_f32_e32 v34, v34
	v_cvt_f16_f32_e32 v35, v35
	;; [unrolled: 1-line block ×4, first 2 shown]
	v_cvt_f32_f16_e32 v34, v34
	v_cvt_f32_f16_e32 v35, v35
	;; [unrolled: 1-line block ×4, first 2 shown]
	v_cvt_f32_f16_sdwa v205, v39 dst_sel:DWORD dst_unused:UNUSED_PAD src0_sel:WORD_1
	v_cvt_f32_f16_e32 v206, v38
	v_mfma_f32_16x16x16_f16 v[34:37], v[40:41], v[132:133], v[34:37]
	ds_read_u16 v40, v140 offset:160
	ds_read_u16 v41, v140 offset:432
	;; [unrolled: 1-line block ×4, first 2 shown]
	v_cvt_f32_f16_sdwa v207, v38 dst_sel:DWORD dst_unused:UNUSED_PAD src0_sel:WORD_1
	s_waitcnt lgkmcnt(2)
	v_perm_b32 v38, v41, v40, s2
	s_nop 0
	v_cvt_pk_f16_f32 v35, v34, v35
	s_waitcnt lgkmcnt(0)
	v_perm_b32 v39, v45, v44, s2
	v_cvt_pk_f16_f32 v34, v36, v37
	v_cvt_pk_f16_f32 v36, v30, v31
	v_mfma_f32_16x16x16_f16 v[38:41], v[38:39], v[134:135], v[204:207]
	ds_read_u16 v44, v140 offset:8864
	s_nop 1
	ds_read_u16 v204, v140 offset:9136
	ds_read_u16 v45, v140 offset:9408
	;; [unrolled: 1-line block ×3, first 2 shown]
	v_cvt_f32_f16_e32 v206, v42
	v_cvt_f32_f16_sdwa v207, v42 dst_sel:DWORD dst_unused:UNUSED_PAD src0_sel:WORD_1
	v_cvt_f16_f32_e32 v38, v38
	v_cvt_f16_f32_e32 v39, v39
	;; [unrolled: 1-line block ×4, first 2 shown]
	s_waitcnt lgkmcnt(0)
	v_perm_b32 v45, v205, v45, s2
	v_perm_b32 v44, v204, v44, s2
	v_cvt_f32_f16_e32 v38, v38
	v_cvt_f32_f16_e32 v39, v39
	;; [unrolled: 1-line block ×5, first 2 shown]
	v_cvt_f32_f16_sdwa v205, v43 dst_sel:DWORD dst_unused:UNUSED_PAD src0_sel:WORD_1
	v_mfma_f32_16x16x16_f16 v[38:41], v[44:45], v[132:133], v[38:41]
	ds_read_u16 v44, v140 offset:192
	ds_read_u16 v45, v140 offset:464
	;; [unrolled: 1-line block ×4, first 2 shown]
	v_cvt_pk_f16_f32 v31, v32, v33
	v_cvt_pk_f16_f32 v32, v26, v27
	s_waitcnt lgkmcnt(2)
	v_perm_b32 v42, v45, v44, s2
	v_cvt_pk_f16_f32 v39, v38, v39
	s_waitcnt lgkmcnt(0)
	v_perm_b32 v43, v209, v208, s2
	v_cvt_pk_f16_f32 v38, v40, v41
	v_cvt_pk_f16_f32 v33, v22, v23
	v_mfma_f32_16x16x16_f16 v[42:45], v[42:43], v[134:135], v[204:207]
	s_nop 2
	ds_read_u16 v204, v140 offset:8896
	ds_read_u16 v206, v140 offset:9168
	;; [unrolled: 1-line block ×8, first 2 shown]
	v_cvt_pk_f16_f32 v40, v18, v19
	v_cvt_f16_f32_e32 v42, v42
	v_cvt_f16_f32_e32 v43, v43
	v_cvt_f16_f32_e32 v44, v44
	v_cvt_f16_f32_e32 v45, v45
	s_waitcnt lgkmcnt(4)
	v_perm_b32 v205, v207, v205, s2
	v_perm_b32 v204, v206, v204, s2
	v_cvt_f32_f16_e32 v42, v42
	v_cvt_f32_f16_e32 v43, v43
	;; [unrolled: 1-line block ×5, first 2 shown]
	v_cvt_f32_f16_sdwa v207, v202 dst_sel:DWORD dst_unused:UNUSED_PAD src0_sel:WORD_1
	v_mfma_f32_16x16x16_f16 v[42:45], v[204:205], v[132:133], v[42:45]
	v_cvt_f32_f16_e32 v204, v203
	v_cvt_f32_f16_sdwa v205, v203 dst_sel:DWORD dst_unused:UNUSED_PAD src0_sel:WORD_1
	s_waitcnt lgkmcnt(0)
	v_perm_b32 v203, v211, v210, s2
	v_perm_b32 v202, v209, v208, s2
	s_nop 2
	v_cvt_pk_f16_f32 v43, v42, v43
	v_cvt_pk_f16_f32 v42, v44, v45
	v_mfma_f32_16x16x16_f16 v[202:205], v[202:203], v[134:135], v[204:207]
	ds_read_u16 v134, v140 offset:8928
	ds_read_u16 v135, v140 offset:9200
	s_nop 0
	ds_read_u16 v206, v140 offset:9472
	ds_read_u16 v207, v141 offset:8928
	v_cvt_pk_f16_f32 v37, v20, v21
	s_waitcnt lgkmcnt(0)
	s_nop 0
	v_cvt_f16_f32_e32 v202, v202
	v_cvt_f16_f32_e32 v203, v203
	v_cvt_f16_f32_e32 v204, v204
	v_cvt_f16_f32_e32 v205, v205
	v_perm_b32 v207, v207, v206, s2
	v_perm_b32 v206, v135, v134, s2
	v_cvt_f32_f16_e32 v202, v202
	v_cvt_f32_f16_e32 v203, v203
	v_cvt_f32_f16_e32 v204, v204
	v_cvt_f32_f16_e32 v205, v205
	s_barrier
	s_nop 0
	v_mfma_f32_16x16x16_f16 v[132:135], v[206:207], v[132:133], v[202:205]
	s_nop 7
	v_cvt_pk_f16_f32 v133, v132, v133
	v_cvt_pk_f16_f32 v132, v134, v135
	s_cbranch_scc0 .LBB25_281
; %bb.279:                              ;   in Loop: Header=BB25_246 Depth=2
	v_mov_b32_e32 v26, v199
	v_mov_b32_e32 v27, v93
	s_branch .LBB25_246
.LBB25_280:                             ;   in Loop: Header=BB25_12 Depth=1
	v_mov_b32_e32 v93, 0xfeffffff
	v_mov_b32_e32 v199, 0
	s_mov_b64 s[8:9], 0
	v_mov_b32_e32 v37, 0
	v_mov_b32_e32 v40, 0
	;; [unrolled: 1-line block ×16, first 2 shown]
	s_branch .LBB25_282
.LBB25_281:                             ;   in Loop: Header=BB25_12 Depth=1
	s_lshl_b32 s60, s10, 6
	s_mov_b64 s[8:9], s[60:61]
.LBB25_282:                             ;   in Loop: Header=BB25_12 Depth=1
	v_mad_i64_i32 v[18:19], s[10:11], v52, s38, 0
	s_lshl_b64 s[10:11], s[8:9], 1
	s_add_u32 s10, s76, s10
	s_addc_u32 s11, s77, s11
	v_lshl_add_u64 v[18:19], v[18:19], 1, s[10:11]
	v_lshlrev_b32_e32 v52, 1, v48
	v_lshl_add_u64 v[18:19], v[18:19], 0, v[52:53]
	global_load_dword v18, v[18:19], off
	s_mul_i32 s9, s8, s35
	s_mul_hi_u32 s10, s8, s34
	s_add_i32 s11, s10, s9
	s_mul_i32 s10, s8, s34
	s_lshl_b64 s[10:11], s[10:11], 2
	s_add_u32 s10, s65, s10
	s_addc_u32 s11, s96, s11
	v_lshlrev_b32_e32 v52, 2, v50
	v_lshl_add_u64 v[20:21], v[56:57], 2, s[10:11]
	v_lshl_add_u64 v[22:23], v[20:21], 0, v[52:53]
	;; [unrolled: 1-line block ×6, first 2 shown]
	s_waitcnt vmcnt(0)
	ds_write_b32 v137, v18 offset:17408
	v_lshl_add_u64 v[18:19], v[54:55], 2, s[10:11]
	v_lshl_add_u64 v[18:19], v[18:19], 0, v[52:53]
	global_load_dwordx4 v[18:21], v[18:19], off
	s_waitcnt vmcnt(0)
	ds_write_b128 v138, v[18:21]
	global_load_dwordx4 v[18:21], v[22:23], off
	s_waitcnt vmcnt(0)
	ds_write_b128 v175, v[18:21]
	;; [unrolled: 3-line block ×3, first 2 shown]
	global_load_dwordx4 v[18:21], v[26:27], off
	v_add_u32_e32 v26, v173, v143
	s_waitcnt vmcnt(0)
	ds_write_b128 v177, v[18:21]
	s_waitcnt lgkmcnt(0)
	s_barrier
	ds_read2_b64 v[18:21], v26 offset1:4
	s_waitcnt lgkmcnt(0)
	v_mfma_f32_16x16x16_f16 v[22:25], v[18:19], v[14:15], 0
	v_mfma_f32_16x16x16_f16 v[18:21], v[20:21], v[16:17], v[22:25]
	s_nop 6
	ds_read2_b64 v[22:25], v26 offset0:8 offset1:12
	s_waitcnt lgkmcnt(0)
	v_mfma_f32_16x16x16_f16 v[18:21], v[22:23], v[10:11], v[18:21]
	v_mfma_f32_16x16x16_f16 v[18:21], v[24:25], v[12:13], v[18:21]
	ds_read2_b64 v[22:25], v26 offset0:16 offset1:20
	s_waitcnt lgkmcnt(0)
	v_mfma_f32_16x16x16_f16 v[18:21], v[22:23], v[6:7], v[18:21]
	v_mfma_f32_16x16x16_f16 v[18:21], v[24:25], v[8:9], v[18:21]
	ds_read2_b64 v[22:25], v26 offset0:24 offset1:28
	v_add_u32_e32 v26, 0x2000, v26
	s_waitcnt lgkmcnt(0)
	v_mfma_f32_16x16x16_f16 v[18:21], v[22:23], v[2:3], v[18:21]
	v_mfma_f32_16x16x16_f16 v[18:21], v[24:25], v[4:5], v[18:21]
	ds_read2_b64 v[22:25], v26 offset0:64 offset1:68
	s_waitcnt lgkmcnt(0)
	v_mfma_f32_16x16x16_f16 v[114:117], v[22:23], v[14:15], 0
	s_nop 4
	v_cmp_nlt_f32_e64 s[10:11], |v18|, s39
	v_mfma_f32_16x16x16_f16 v[14:17], v[24:25], v[16:17], v[114:117]
	ds_read2_b64 v[22:25], v26 offset0:72 offset1:76
	s_waitcnt lgkmcnt(0)
	v_mfma_f32_16x16x16_f16 v[14:17], v[22:23], v[10:11], v[14:17]
	v_mfma_f32_16x16x16_f16 v[10:13], v[24:25], v[12:13], v[14:17]
	s_nop 6
	ds_read2_b64 v[14:17], v26 offset0:80 offset1:84
	s_waitcnt lgkmcnt(0)
	v_mfma_f32_16x16x16_f16 v[10:13], v[14:15], v[6:7], v[10:13]
	v_mfma_f32_16x16x16_f16 v[6:9], v[16:17], v[8:9], v[10:13]
	s_nop 6
	ds_read2_b64 v[10:13], v26 offset0:88 offset1:92
	s_waitcnt lgkmcnt(0)
	v_mfma_f32_16x16x16_f16 v[6:9], v[10:11], v[2:3], v[6:9]
	s_barrier
	v_mfma_f32_16x16x16_f16 v[2:5], v[12:13], v[4:5], v[6:9]
                                        ; implicit-def: $vgpr6
	s_and_saveexec_b64 s[12:13], s[10:11]
	s_xor_b64 s[12:13], exec, s[12:13]
	s_cbranch_execz .LBB25_284
; %bb.283:                              ;   in Loop: Header=BB25_12 Depth=1
	s_nop 2
	v_add_f32_e64 v6, |v18|, |v18|
	v_mul_f32_e32 v7, 0x3fb8aa3b, v6
	v_rndne_f32_e32 v8, v7
	v_sub_f32_e32 v9, v7, v8
	v_fma_f32 v7, v6, s67, -v7
	v_fmac_f32_e32 v7, 0x32a5705f, v6
	v_add_f32_e32 v7, v9, v7
	v_cvt_i32_f32_e32 v8, v8
	v_exp_f32_e32 v7, v7
	v_cmp_ngt_f32_e32 vcc, s33, v6
	v_ldexp_f32 v7, v7, v8
	s_nop 0
	v_cndmask_b32_e32 v7, 0, v7, vcc
	v_cmp_nlt_f32_e32 vcc, s6, v6
	s_nop 1
	v_cndmask_b32_e32 v6, v198, v7, vcc
	v_add_f32_e32 v6, 1.0, v6
	v_rcp_f32_e32 v6, v6
	s_nop 0
	v_fma_f32 v6, v6, -2.0, 1.0
.LBB25_284:                             ;   in Loop: Header=BB25_12 Depth=1
	s_andn2_saveexec_b64 s[12:13], s[12:13]
; %bb.285:                              ;   in Loop: Header=BB25_12 Depth=1
	s_nop 1
	v_mul_f32_e32 v6, v18, v18
	v_fmamk_f32 v7, v6, 0xbbbac73d, v196
	v_fmaak_f32 v7, v6, v7, 0xbd5c1c4e
	v_fmaak_f32 v7, v6, v7, 0x3e088382
	;; [unrolled: 1-line block ×3, first 2 shown]
	v_mul_f32_e64 v7, |v18|, v7
	v_fma_f32 v6, v6, v7, |v18|
; %bb.286:                              ;   in Loop: Header=BB25_12 Depth=1
	s_or_b64 exec, exec, s[12:13]
	v_cmp_nlt_f32_e64 s[10:11], |v19|, s39
                                        ; implicit-def: $vgpr7
	s_and_saveexec_b64 s[12:13], s[10:11]
	s_xor_b64 s[12:13], exec, s[12:13]
	s_cbranch_execz .LBB25_288
; %bb.287:                              ;   in Loop: Header=BB25_12 Depth=1
	v_add_f32_e64 v7, |v19|, |v19|
	v_mul_f32_e32 v8, 0x3fb8aa3b, v7
	v_rndne_f32_e32 v9, v8
	v_sub_f32_e32 v10, v8, v9
	v_fma_f32 v8, v7, s67, -v8
	v_fmac_f32_e32 v8, 0x32a5705f, v7
	v_add_f32_e32 v8, v10, v8
	v_cvt_i32_f32_e32 v9, v9
	v_exp_f32_e32 v8, v8
	v_cmp_ngt_f32_e32 vcc, s33, v7
	v_ldexp_f32 v8, v8, v9
	s_nop 0
	v_cndmask_b32_e32 v8, 0, v8, vcc
	v_cmp_nlt_f32_e32 vcc, s6, v7
	s_nop 1
	v_cndmask_b32_e32 v7, v198, v8, vcc
	v_add_f32_e32 v7, 1.0, v7
	v_rcp_f32_e32 v7, v7
	s_nop 0
	v_fma_f32 v7, v7, -2.0, 1.0
.LBB25_288:                             ;   in Loop: Header=BB25_12 Depth=1
	s_andn2_saveexec_b64 s[12:13], s[12:13]
; %bb.289:                              ;   in Loop: Header=BB25_12 Depth=1
	v_mul_f32_e32 v7, v19, v19
	v_fmamk_f32 v8, v7, 0xbbbac73d, v196
	v_fmaak_f32 v8, v7, v8, 0xbd5c1c4e
	v_fmaak_f32 v8, v7, v8, 0x3e088382
	;; [unrolled: 1-line block ×3, first 2 shown]
	v_mul_f32_e64 v8, |v19|, v8
	v_fma_f32 v7, v7, v8, |v19|
; %bb.290:                              ;   in Loop: Header=BB25_12 Depth=1
	s_or_b64 exec, exec, s[12:13]
	v_cmp_nlt_f32_e64 s[10:11], |v20|, s39
                                        ; implicit-def: $vgpr8
	s_and_saveexec_b64 s[12:13], s[10:11]
	s_xor_b64 s[12:13], exec, s[12:13]
	s_cbranch_execz .LBB25_292
; %bb.291:                              ;   in Loop: Header=BB25_12 Depth=1
	v_add_f32_e64 v8, |v20|, |v20|
	v_mul_f32_e32 v9, 0x3fb8aa3b, v8
	v_rndne_f32_e32 v10, v9
	v_sub_f32_e32 v11, v9, v10
	v_fma_f32 v9, v8, s67, -v9
	v_fmac_f32_e32 v9, 0x32a5705f, v8
	v_add_f32_e32 v9, v11, v9
	v_cvt_i32_f32_e32 v10, v10
	v_exp_f32_e32 v9, v9
	v_cmp_ngt_f32_e32 vcc, s33, v8
	v_ldexp_f32 v9, v9, v10
	s_nop 0
	v_cndmask_b32_e32 v9, 0, v9, vcc
	v_cmp_nlt_f32_e32 vcc, s6, v8
	s_nop 1
	v_cndmask_b32_e32 v8, v198, v9, vcc
	v_add_f32_e32 v8, 1.0, v8
	v_rcp_f32_e32 v8, v8
	s_nop 0
	v_fma_f32 v8, v8, -2.0, 1.0
.LBB25_292:                             ;   in Loop: Header=BB25_12 Depth=1
	s_andn2_saveexec_b64 s[12:13], s[12:13]
; %bb.293:                              ;   in Loop: Header=BB25_12 Depth=1
	v_mul_f32_e32 v8, v20, v20
	v_fmamk_f32 v9, v8, 0xbbbac73d, v196
	v_fmaak_f32 v9, v8, v9, 0xbd5c1c4e
	v_fmaak_f32 v9, v8, v9, 0x3e088382
	;; [unrolled: 1-line block ×3, first 2 shown]
	v_mul_f32_e64 v9, |v20|, v9
	v_fma_f32 v8, v8, v9, |v20|
; %bb.294:                              ;   in Loop: Header=BB25_12 Depth=1
	s_or_b64 exec, exec, s[12:13]
	v_cmp_nlt_f32_e64 s[10:11], |v21|, s39
                                        ; implicit-def: $vgpr9
	s_and_saveexec_b64 s[12:13], s[10:11]
	s_xor_b64 s[12:13], exec, s[12:13]
	s_cbranch_execz .LBB25_296
; %bb.295:                              ;   in Loop: Header=BB25_12 Depth=1
	v_add_f32_e64 v9, |v21|, |v21|
	v_mul_f32_e32 v10, 0x3fb8aa3b, v9
	v_rndne_f32_e32 v11, v10
	v_sub_f32_e32 v12, v10, v11
	v_fma_f32 v10, v9, s67, -v10
	v_fmac_f32_e32 v10, 0x32a5705f, v9
	v_add_f32_e32 v10, v12, v10
	v_cvt_i32_f32_e32 v11, v11
	v_exp_f32_e32 v10, v10
	v_cmp_ngt_f32_e32 vcc, s33, v9
	v_ldexp_f32 v10, v10, v11
	s_nop 0
	v_cndmask_b32_e32 v10, 0, v10, vcc
	v_cmp_nlt_f32_e32 vcc, s6, v9
	s_nop 1
	v_cndmask_b32_e32 v9, v198, v10, vcc
	v_add_f32_e32 v9, 1.0, v9
	v_rcp_f32_e32 v9, v9
	s_nop 0
	v_fma_f32 v9, v9, -2.0, 1.0
.LBB25_296:                             ;   in Loop: Header=BB25_12 Depth=1
	s_andn2_saveexec_b64 s[12:13], s[12:13]
; %bb.297:                              ;   in Loop: Header=BB25_12 Depth=1
	v_mul_f32_e32 v9, v21, v21
	v_fmamk_f32 v10, v9, 0xbbbac73d, v196
	v_fmaak_f32 v10, v9, v10, 0xbd5c1c4e
	v_fmaak_f32 v10, v9, v10, 0x3e088382
	;; [unrolled: 1-line block ×3, first 2 shown]
	v_mul_f32_e64 v10, |v21|, v10
	v_fma_f32 v9, v9, v10, |v21|
; %bb.298:                              ;   in Loop: Header=BB25_12 Depth=1
	s_or_b64 exec, exec, s[12:13]
	v_cmp_nlt_f32_e64 s[10:11], |v2|, s39
                                        ; implicit-def: $vgpr10
	s_and_saveexec_b64 s[12:13], s[10:11]
	s_xor_b64 s[12:13], exec, s[12:13]
	s_cbranch_execz .LBB25_300
; %bb.299:                              ;   in Loop: Header=BB25_12 Depth=1
	v_add_f32_e64 v10, |v2|, |v2|
	v_mul_f32_e32 v11, 0x3fb8aa3b, v10
	v_rndne_f32_e32 v12, v11
	v_sub_f32_e32 v13, v11, v12
	v_fma_f32 v11, v10, s67, -v11
	v_fmac_f32_e32 v11, 0x32a5705f, v10
	v_add_f32_e32 v11, v13, v11
	v_cvt_i32_f32_e32 v12, v12
	v_exp_f32_e32 v11, v11
	v_cmp_ngt_f32_e32 vcc, s33, v10
	v_ldexp_f32 v11, v11, v12
	s_nop 0
	v_cndmask_b32_e32 v11, 0, v11, vcc
	v_cmp_nlt_f32_e32 vcc, s6, v10
	s_nop 1
	v_cndmask_b32_e32 v10, v198, v11, vcc
	v_add_f32_e32 v10, 1.0, v10
	v_rcp_f32_e32 v10, v10
	s_nop 0
	v_fma_f32 v10, v10, -2.0, 1.0
.LBB25_300:                             ;   in Loop: Header=BB25_12 Depth=1
	s_andn2_saveexec_b64 s[12:13], s[12:13]
; %bb.301:                              ;   in Loop: Header=BB25_12 Depth=1
	v_mul_f32_e32 v10, v2, v2
	v_fmamk_f32 v11, v10, 0xbbbac73d, v196
	v_fmaak_f32 v11, v10, v11, 0xbd5c1c4e
	v_fmaak_f32 v11, v10, v11, 0x3e088382
	;; [unrolled: 1-line block ×3, first 2 shown]
	v_mul_f32_e64 v11, |v2|, v11
	v_fma_f32 v10, v10, v11, |v2|
; %bb.302:                              ;   in Loop: Header=BB25_12 Depth=1
	s_or_b64 exec, exec, s[12:13]
	v_cmp_nlt_f32_e64 s[10:11], |v3|, s39
                                        ; implicit-def: $vgpr11
	s_and_saveexec_b64 s[12:13], s[10:11]
	s_xor_b64 s[12:13], exec, s[12:13]
	s_cbranch_execz .LBB25_304
; %bb.303:                              ;   in Loop: Header=BB25_12 Depth=1
	v_add_f32_e64 v11, |v3|, |v3|
	v_mul_f32_e32 v12, 0x3fb8aa3b, v11
	v_rndne_f32_e32 v13, v12
	v_sub_f32_e32 v14, v12, v13
	v_fma_f32 v12, v11, s67, -v12
	v_fmac_f32_e32 v12, 0x32a5705f, v11
	v_add_f32_e32 v12, v14, v12
	v_cvt_i32_f32_e32 v13, v13
	v_exp_f32_e32 v12, v12
	v_cmp_ngt_f32_e32 vcc, s33, v11
	v_ldexp_f32 v12, v12, v13
	s_nop 0
	v_cndmask_b32_e32 v12, 0, v12, vcc
	v_cmp_nlt_f32_e32 vcc, s6, v11
	s_nop 1
	v_cndmask_b32_e32 v11, v198, v12, vcc
	v_add_f32_e32 v11, 1.0, v11
	v_rcp_f32_e32 v11, v11
	s_nop 0
	v_fma_f32 v11, v11, -2.0, 1.0
.LBB25_304:                             ;   in Loop: Header=BB25_12 Depth=1
	s_andn2_saveexec_b64 s[12:13], s[12:13]
; %bb.305:                              ;   in Loop: Header=BB25_12 Depth=1
	v_mul_f32_e32 v11, v3, v3
	v_fmamk_f32 v12, v11, 0xbbbac73d, v196
	v_fmaak_f32 v12, v11, v12, 0xbd5c1c4e
	v_fmaak_f32 v12, v11, v12, 0x3e088382
	;; [unrolled: 1-line block ×3, first 2 shown]
	v_mul_f32_e64 v12, |v3|, v12
	v_fma_f32 v11, v11, v12, |v3|
; %bb.306:                              ;   in Loop: Header=BB25_12 Depth=1
	s_or_b64 exec, exec, s[12:13]
	v_cmp_nlt_f32_e64 s[10:11], |v4|, s39
                                        ; implicit-def: $vgpr12
	s_and_saveexec_b64 s[12:13], s[10:11]
	s_xor_b64 s[12:13], exec, s[12:13]
	s_cbranch_execz .LBB25_308
; %bb.307:                              ;   in Loop: Header=BB25_12 Depth=1
	v_add_f32_e64 v12, |v4|, |v4|
	v_mul_f32_e32 v13, 0x3fb8aa3b, v12
	v_rndne_f32_e32 v14, v13
	v_sub_f32_e32 v15, v13, v14
	v_fma_f32 v13, v12, s67, -v13
	v_fmac_f32_e32 v13, 0x32a5705f, v12
	v_add_f32_e32 v13, v15, v13
	v_cvt_i32_f32_e32 v14, v14
	v_exp_f32_e32 v13, v13
	v_cmp_ngt_f32_e32 vcc, s33, v12
	v_ldexp_f32 v13, v13, v14
	s_nop 0
	v_cndmask_b32_e32 v13, 0, v13, vcc
	v_cmp_nlt_f32_e32 vcc, s6, v12
	s_nop 1
	v_cndmask_b32_e32 v12, v198, v13, vcc
	v_add_f32_e32 v12, 1.0, v12
	v_rcp_f32_e32 v12, v12
	s_nop 0
	v_fma_f32 v12, v12, -2.0, 1.0
.LBB25_308:                             ;   in Loop: Header=BB25_12 Depth=1
	s_andn2_saveexec_b64 s[12:13], s[12:13]
; %bb.309:                              ;   in Loop: Header=BB25_12 Depth=1
	v_mul_f32_e32 v12, v4, v4
	v_fmamk_f32 v13, v12, 0xbbbac73d, v196
	v_fmaak_f32 v13, v12, v13, 0xbd5c1c4e
	v_fmaak_f32 v13, v12, v13, 0x3e088382
	v_fmaak_f32 v13, v12, v13, 0xbeaaaa99
	v_mul_f32_e64 v13, |v4|, v13
	v_fma_f32 v12, v12, v13, |v4|
; %bb.310:                              ;   in Loop: Header=BB25_12 Depth=1
	s_or_b64 exec, exec, s[12:13]
	v_cmp_nlt_f32_e64 s[10:11], |v5|, s39
                                        ; implicit-def: $vgpr13
	s_and_saveexec_b64 s[12:13], s[10:11]
	s_xor_b64 s[12:13], exec, s[12:13]
	s_cbranch_execz .LBB25_312
; %bb.311:                              ;   in Loop: Header=BB25_12 Depth=1
	v_add_f32_e64 v13, |v5|, |v5|
	v_mul_f32_e32 v14, 0x3fb8aa3b, v13
	v_rndne_f32_e32 v15, v14
	v_sub_f32_e32 v16, v14, v15
	v_fma_f32 v14, v13, s67, -v14
	v_fmac_f32_e32 v14, 0x32a5705f, v13
	v_add_f32_e32 v14, v16, v14
	v_cvt_i32_f32_e32 v15, v15
	v_exp_f32_e32 v14, v14
	v_cmp_ngt_f32_e32 vcc, s33, v13
	v_ldexp_f32 v14, v14, v15
	s_nop 0
	v_cndmask_b32_e32 v14, 0, v14, vcc
	v_cmp_nlt_f32_e32 vcc, s6, v13
	s_nop 1
	v_cndmask_b32_e32 v13, v198, v14, vcc
	v_add_f32_e32 v13, 1.0, v13
	v_rcp_f32_e32 v13, v13
	s_nop 0
	v_fma_f32 v13, v13, -2.0, 1.0
.LBB25_312:                             ;   in Loop: Header=BB25_12 Depth=1
	s_andn2_saveexec_b64 s[12:13], s[12:13]
; %bb.313:                              ;   in Loop: Header=BB25_12 Depth=1
	v_mul_f32_e32 v13, v5, v5
	v_fmamk_f32 v14, v13, 0xbbbac73d, v196
	v_fmaak_f32 v14, v13, v14, 0xbd5c1c4e
	v_fmaak_f32 v14, v13, v14, 0x3e088382
	;; [unrolled: 1-line block ×3, first 2 shown]
	v_mul_f32_e64 v14, |v5|, v14
	v_fma_f32 v13, v13, v14, |v5|
; %bb.314:                              ;   in Loop: Header=BB25_12 Depth=1
	s_or_b64 exec, exec, s[12:13]
	v_bfi_b32 v10, s7, v10, v2
	v_add_u32_e32 v2, 0x4400, v139
	v_bfi_b32 v11, s7, v11, v3
	ds_read2_b32 v[2:3], v2 offset1:1
	v_bfi_b32 v6, s7, v6, v18
	v_bfi_b32 v7, s7, v7, v19
	;; [unrolled: 1-line block ×3, first 2 shown]
	ds_read_b32 v12, v145 offset:17408
	s_waitcnt lgkmcnt(1)
	v_fma_mix_f32 v6, s3, v6, v2 op_sel_hi:[0,0,1]
	v_fma_mix_f32 v2, s3, v7, v2 op_sel:[0,0,1] op_sel_hi:[0,0,1]
	ds_read_b32 v7, v146 offset:17408
	v_bfi_b32 v9, s7, v9, v21
	v_bfi_b32 v8, s7, v8, v20
	;; [unrolled: 1-line block ×3, first 2 shown]
	v_fma_mix_f32 v8, s3, v8, v3 op_sel_hi:[0,0,1]
	v_fma_mix_f32 v3, s3, v9, v3 op_sel:[0,0,1] op_sel_hi:[0,0,1]
	s_waitcnt lgkmcnt(0)
	v_fma_mix_f32 v17, s3, v4, v7 op_sel_hi:[0,0,1]
	v_fma_mix_f32 v18, s3, v5, v7 op_sel:[0,0,1] op_sel_hi:[0,0,1]
	v_add_f32_e32 v4, 0x40051340, v6
	v_add_f32_e32 v5, 0x40051340, v2
	v_fma_mix_f32 v9, s3, v10, v12 op_sel_hi:[0,0,1]
	v_fma_mix_f32 v16, s3, v11, v12 op_sel:[0,0,1] op_sel_hi:[0,0,1]
	v_max3_f32 v4, v93, v4, v5
	v_add_f32_e32 v5, 0x40051340, v8
	v_add_f32_e32 v7, 0x40051340, v3
	v_max3_f32 v4, v4, v5, v7
	v_add_f32_e32 v5, 0x40051340, v9
	v_add_f32_e32 v7, 0x40051340, v16
	v_max3_f32 v4, v4, v5, v7
	v_add_f32_e32 v5, 0x40051340, v17
	v_add_f32_e32 v7, 0x40051340, v18
	v_max3_f32 v4, v4, v5, v7
	v_and_b32_e32 v5, 64, v197
	v_add_u32_e32 v5, 64, v5
	v_xor_b32_e32 v7, 32, v197
	v_cmp_lt_i32_e32 vcc, v7, v5
	s_mul_i32 s9, s8, s15
	s_mul_hi_u32 s10, s8, s14
	v_cndmask_b32_e32 v7, v197, v7, vcc
	v_lshlrev_b32_e32 v27, 2, v7
	ds_bpermute_b32 v7, v27, v4
	s_add_i32 s9, s10, s9
	s_mul_i32 s8, s8, s14
	s_lshl_b64 s[8:9], s[8:9], 2
	s_add_u32 s8, s63, s8
	s_waitcnt lgkmcnt(0)
	v_max_f32_e32 v7, v7, v7
	v_max_f32_e32 v4, v4, v7
	v_xor_b32_e32 v7, 16, v197
	v_cmp_lt_i32_e32 vcc, v7, v5
	s_addc_u32 s9, s64, s9
	s_cmp_lg_u64 s[74:75], 0
	v_cndmask_b32_e32 v5, v197, v7, vcc
	v_lshlrev_b32_e32 v30, 2, v5
	ds_bpermute_b32 v5, v30, v4
	s_waitcnt lgkmcnt(0)
	v_max_f32_e32 v5, v5, v5
	v_max_f32_e32 v26, v4, v5
	v_sub_f32_e32 v4, v6, v26
	v_mul_f32_e32 v5, 0x3fb8aa3b, v4
	v_fma_f32 v6, v4, s67, -v5
	v_rndne_f32_e32 v7, v5
	v_fmac_f32_e32 v6, 0x32a5705f, v4
	v_sub_f32_e32 v5, v5, v7
	v_add_f32_e32 v5, v5, v6
	v_exp_f32_e32 v5, v5
	v_cvt_i32_f32_e32 v6, v7
	v_sub_f32_e32 v2, v2, v26
	v_cmp_ngt_f32_e32 vcc, s33, v4
	v_sub_f32_e32 v3, v3, v26
	v_ldexp_f32 v5, v5, v6
	v_mul_f32_e32 v6, 0x3fb8aa3b, v2
	v_fma_f32 v7, v2, s67, -v6
	v_rndne_f32_e32 v10, v6
	v_fmac_f32_e32 v7, 0x32a5705f, v2
	v_sub_f32_e32 v6, v6, v10
	v_add_f32_e32 v6, v6, v7
	v_exp_f32_e32 v6, v6
	v_cvt_i32_f32_e32 v7, v10
	v_cndmask_b32_e32 v5, 0, v5, vcc
	v_cmp_nlt_f32_e32 vcc, s6, v4
	v_sub_f32_e32 v41, v9, v26
	v_ldexp_f32 v4, v6, v7
	v_cndmask_b32_e32 v19, v198, v5, vcc
	v_sub_f32_e32 v5, v8, v26
	v_mul_f32_e32 v6, 0x3fb8aa3b, v5
	v_fma_f32 v7, v5, s67, -v6
	v_rndne_f32_e32 v8, v6
	v_fmac_f32_e32 v7, 0x32a5705f, v5
	v_sub_f32_e32 v6, v6, v8
	v_add_f32_e32 v6, v6, v7
	v_exp_f32_e32 v6, v6
	v_cvt_i32_f32_e32 v7, v8
	v_cmp_ngt_f32_e32 vcc, s33, v2
	s_nop 1
	v_cndmask_b32_e32 v4, 0, v4, vcc
	v_cmp_nlt_f32_e32 vcc, s6, v2
	s_nop 1
	v_cndmask_b32_e32 v24, v198, v4, vcc
	v_ldexp_f32 v4, v6, v7
	v_mul_f32_e32 v6, 0x3fb8aa3b, v3
	v_fma_f32 v7, v3, s67, -v6
	v_rndne_f32_e32 v8, v6
	v_fmac_f32_e32 v7, 0x32a5705f, v3
	v_sub_f32_e32 v6, v6, v8
	v_add_f32_e32 v6, v6, v7
	v_exp_f32_e32 v6, v6
	v_cvt_i32_f32_e32 v7, v8
	v_cmp_ngt_f32_e32 vcc, s33, v5
	v_add_f32_e32 v2, v19, v24
	s_nop 0
	v_cndmask_b32_e32 v4, 0, v4, vcc
	v_cmp_nlt_f32_e32 vcc, s6, v5
	v_mul_f32_e32 v5, 0x3fb8aa3b, v41
	s_nop 0
	v_cndmask_b32_e32 v25, v198, v4, vcc
	v_ldexp_f32 v4, v6, v7
	v_fma_f32 v6, v41, s67, -v5
	v_rndne_f32_e32 v7, v5
	v_fmac_f32_e32 v6, 0x32a5705f, v41
	v_sub_f32_e32 v5, v5, v7
	v_add_f32_e32 v5, v5, v6
	v_exp_f32_e32 v5, v5
	v_cvt_i32_f32_e32 v6, v7
	v_cmp_ngt_f32_e32 vcc, s33, v3
	v_add_f32_e32 v2, v25, v2
	s_nop 0
	v_cndmask_b32_e32 v4, 0, v4, vcc
	v_cmp_nlt_f32_e32 vcc, s6, v3
	s_nop 1
	v_cndmask_b32_e32 v44, v198, v4, vcc
	v_add_f32_e32 v45, v44, v2
	v_ldexp_f32 v2, v5, v6
	v_cmp_ngt_f32_e32 vcc, s33, v41
	v_lshl_add_u64 v[4:5], v[64:65], 2, s[8:9]
	v_lshl_add_u64 v[6:7], v[4:5], 0, v[52:53]
	v_cndmask_b32_e32 v114, 0, v2, vcc
	v_lshl_add_u64 v[2:3], v[62:63], 2, s[8:9]
	v_lshl_add_u64 v[4:5], v[66:67], 2, s[8:9]
	;; [unrolled: 1-line block ×6, first 2 shown]
	global_load_dwordx4 v[2:5], v[2:3], off
	s_nop 0
	global_load_dwordx4 v[6:9], v[6:7], off
	s_nop 0
	;; [unrolled: 2-line block ×3, first 2 shown]
	global_load_dwordx4 v[20:23], v[14:15], off
	v_sub_f32_e32 v14, v16, v26
	v_mul_f32_e32 v15, 0x3fb8aa3b, v14
	v_fma_f32 v16, v14, s67, -v15
	v_rndne_f32_e32 v52, v15
	v_fmac_f32_e32 v16, 0x32a5705f, v14
	v_sub_f32_e32 v15, v15, v52
	v_add_f32_e32 v15, v15, v16
	v_exp_f32_e32 v15, v15
	v_cvt_i32_f32_e32 v16, v52
	v_cmp_nlt_f32_e32 vcc, s6, v41
	s_waitcnt vmcnt(3)
	ds_write_b128 v138, v[2:5]
	s_waitcnt vmcnt(2)
	ds_write_b128 v175, v[6:9]
	;; [unrolled: 2-line block ×4, first 2 shown]
	v_ldexp_f32 v15, v15, v16
	v_sub_f32_e32 v16, v17, v26
	v_cndmask_b32_e32 v52, v198, v114, vcc
	v_mul_f32_e32 v17, 0x3fb8aa3b, v16
	v_add_f32_e32 v41, v52, v45
	v_fma_f32 v45, v16, s67, -v17
	v_rndne_f32_e32 v114, v17
	v_fmac_f32_e32 v45, 0x32a5705f, v16
	v_sub_f32_e32 v17, v17, v114
	v_add_f32_e32 v17, v17, v45
	v_exp_f32_e32 v17, v17
	v_cvt_i32_f32_e32 v45, v114
	v_cmp_ngt_f32_e32 vcc, s33, v14
	s_waitcnt lgkmcnt(0)
	s_barrier
	v_cndmask_b32_e32 v15, 0, v15, vcc
	v_cmp_nlt_f32_e32 vcc, s6, v14
	ds_read_u16 v5, v140 offset:272
	ds_read_u16 v6, v140 offset:544
	ds_read_u16 v7, v141
	ds_read_u16 v8, v140
	v_cndmask_b32_e32 v114, v198, v15, vcc
	v_ldexp_f32 v15, v17, v45
	v_sub_f32_e32 v17, v18, v26
	v_mul_f32_e32 v18, 0x3fb8aa3b, v17
	v_add_f32_e32 v14, v114, v41
	v_fma_f32 v41, v17, s67, -v18
	v_rndne_f32_e32 v45, v18
	v_fmac_f32_e32 v41, 0x32a5705f, v17
	v_sub_f32_e32 v18, v18, v45
	v_add_f32_e32 v18, v18, v41
	v_exp_f32_e32 v18, v18
	v_cvt_i32_f32_e32 v41, v45
	v_cmp_ngt_f32_e32 vcc, s33, v16
	s_waitcnt lgkmcnt(1)
	v_perm_b32 v7, v7, v6, s2
	s_waitcnt lgkmcnt(0)
	v_perm_b32 v6, v5, v8, s2
	v_cndmask_b32_e32 v15, 0, v15, vcc
	v_cmp_nlt_f32_e32 vcc, s6, v16
	ds_read_u16 v9, v141 offset:32
	s_nop 0
	v_cndmask_b32_e32 v16, v198, v15, vcc
	v_ldexp_f32 v15, v18, v41
	v_sub_f32_e32 v18, v93, v26
	v_mul_f32_e32 v41, 0x3fb8aa3b, v18
	v_fma_f32 v45, v18, s67, -v41
	v_rndne_f32_e32 v93, v41
	v_fmac_f32_e32 v45, 0x32a5705f, v18
	v_sub_f32_e32 v41, v41, v93
	v_add_f32_e32 v41, v41, v45
	v_exp_f32_e32 v41, v41
	v_cvt_i32_f32_e32 v45, v93
	v_cmp_ngt_f32_e32 vcc, s33, v17
	v_cmp_ngt_f32_e64 s[8:9], s33, v18
	v_add_f32_e32 v14, v16, v14
	v_cndmask_b32_e32 v15, 0, v15, vcc
	v_cmp_nlt_f32_e32 vcc, s6, v17
	v_ldexp_f32 v17, v41, v45
	v_cndmask_b32_e64 v17, 0, v17, s[8:9]
	v_cmp_nlt_f32_e64 s[8:9], s6, v18
	v_cndmask_b32_e32 v45, v198, v15, vcc
	v_add_f32_e32 v41, v45, v14
	v_cndmask_b32_e64 v17, v198, v17, s[8:9]
	v_cmp_le_f32_e64 s[8:9], s87, v18
	s_nop 1
	v_cndmask_b32_e64 v17, 0, v17, s[8:9]
	v_cvt_f16_f32_e32 v18, v17
	v_fmac_f32_e32 v41, v199, v17
	ds_bpermute_b32 v27, v27, v41
	s_cselect_b64 s[8:9], -1, 0
	v_mul_u32_u24_e32 v93, 0x10001, v18
	v_pk_mul_f16 v17, v40, v93
	v_pk_mul_f16 v37, v37, v93
	v_cvt_f32_f16_e32 v2, v17
	v_cvt_f32_f16_sdwa v3, v17 dst_sel:DWORD dst_unused:UNUSED_PAD src0_sel:WORD_1
	v_cvt_f32_f16_e32 v4, v37
	v_cvt_f32_f16_sdwa v5, v37 dst_sel:DWORD dst_unused:UNUSED_PAD src0_sel:WORD_1
	v_pk_mul_f16 v40, v29, v93
	v_pk_mul_f16 v115, v28, v93
	v_cvt_pk_f16_f32 v29, v25, v44
	v_cvt_pk_f16_f32 v28, v19, v24
	v_pk_mul_f16 v33, v33, v93
	v_cvt_pk_f16_f32 v25, v16, v45
	v_mfma_f32_16x16x16_f16 v[2:5], v[6:7], v[28:29], v[2:5]
	ds_read_u16 v6, v140 offset:8704
	ds_read_u16 v7, v140 offset:9248
	;; [unrolled: 1-line block ×4, first 2 shown]
	v_cvt_pk_f16_f32 v24, v52, v114
	v_pk_mul_f16 v32, v32, v93
	s_nop 1
	v_cvt_f16_f32_e32 v2, v2
	v_cvt_f16_f32_e32 v3, v3
	;; [unrolled: 1-line block ×4, first 2 shown]
	s_waitcnt lgkmcnt(0)
	v_perm_b32 v6, v10, v6, s2
	ds_read_u16 v10, v140 offset:32
	ds_read_u16 v11, v140 offset:576
	;; [unrolled: 1-line block ×3, first 2 shown]
	v_perm_b32 v7, v8, v7, s2
	v_cvt_f32_f16_e32 v2, v2
	v_cvt_f32_f16_e32 v3, v3
	;; [unrolled: 1-line block ×4, first 2 shown]
	s_waitcnt lgkmcnt(1)
	v_perm_b32 v11, v9, v11, s2
	s_waitcnt lgkmcnt(0)
	v_perm_b32 v10, v12, v10, s2
	v_mfma_f32_16x16x16_f16 v[2:5], v[6:7], v[24:25], v[2:5]
	v_cvt_f32_f16_e32 v6, v33
	v_cvt_f32_f16_sdwa v7, v33 dst_sel:DWORD dst_unused:UNUSED_PAD src0_sel:WORD_1
	v_cvt_f32_f16_e32 v8, v40
	v_cvt_f32_f16_sdwa v9, v40 dst_sel:DWORD dst_unused:UNUSED_PAD src0_sel:WORD_1
	v_pk_mul_f16 v14, v31, v93
	s_nop 2
	v_cvt_f16_f32_e32 v4, v4
	v_mfma_f32_16x16x16_f16 v[6:9], v[10:11], v[28:29], v[6:9]
	ds_read_u16 v10, v140 offset:8736
	ds_read_u16 v11, v140 offset:9280
	;; [unrolled: 1-line block ×4, first 2 shown]
	v_cvt_f16_f32_e32 v5, v5
	v_pk_mul_f16 v15, v36, v93
	s_nop 1
	v_cvt_f16_f32_e32 v6, v6
	v_cvt_f16_f32_e32 v7, v7
	;; [unrolled: 1-line block ×4, first 2 shown]
	s_waitcnt lgkmcnt(0)
	v_perm_b32 v10, v13, v10, s2
	ds_read_u16 v13, v140 offset:64
	ds_read_u16 v16, v140 offset:608
	;; [unrolled: 1-line block ×4, first 2 shown]
	v_perm_b32 v11, v12, v11, s2
	v_cvt_f32_f16_e32 v6, v6
	v_cvt_f32_f16_e32 v7, v7
	;; [unrolled: 1-line block ×4, first 2 shown]
	s_waitcnt lgkmcnt(1)
	v_perm_b32 v17, v17, v16, s2
	s_waitcnt lgkmcnt(0)
	v_perm_b32 v16, v19, v13, s2
	v_mfma_f32_16x16x16_f16 v[6:9], v[10:11], v[24:25], v[6:9]
	v_cvt_f32_f16_e32 v10, v32
	v_cvt_f32_f16_sdwa v11, v32 dst_sel:DWORD dst_unused:UNUSED_PAD src0_sel:WORD_1
	v_cvt_f32_f16_e32 v12, v115
	v_cvt_f32_f16_sdwa v13, v115 dst_sel:DWORD dst_unused:UNUSED_PAD src0_sel:WORD_1
	v_perm_b32 v4, v5, v4, s2
	v_pk_mul_f16 v18, v35, v93
	v_mfma_f32_16x16x16_f16 v[10:13], v[16:17], v[28:29], v[10:13]
	ds_read_u16 v16, v140 offset:8768
	ds_read_u16 v17, v140 offset:9312
	ds_read_u16 v19, v141 offset:8768
	ds_read_u16 v31, v140 offset:9040
	v_pk_mul_f16 v40, v34, v93
	v_cvt_f32_f16_e32 v34, v15
	s_nop 1
	v_cvt_f16_f32_e32 v10, v10
	v_cvt_f16_f32_e32 v11, v11
	;; [unrolled: 1-line block ×4, first 2 shown]
	s_waitcnt lgkmcnt(1)
	v_perm_b32 v17, v19, v17, s2
	s_waitcnt lgkmcnt(0)
	v_perm_b32 v16, v31, v16, s2
	v_cvt_f32_f16_e32 v10, v10
	v_cvt_f32_f16_e32 v11, v11
	;; [unrolled: 1-line block ×4, first 2 shown]
	v_cvt_f32_f16_sdwa v35, v15 dst_sel:DWORD dst_unused:UNUSED_PAD src0_sel:WORD_1
	v_cvt_f32_f16_e32 v36, v14
	v_mfma_f32_16x16x16_f16 v[10:13], v[16:17], v[24:25], v[10:13]
	ds_read_u16 v5, v140 offset:96
	ds_read_u16 v16, v140 offset:640
	;; [unrolled: 1-line block ×4, first 2 shown]
	v_cvt_f32_f16_sdwa v37, v14 dst_sel:DWORD dst_unused:UNUSED_PAD src0_sel:WORD_1
	v_cvt_f32_f16_e32 v114, v18
	v_cvt_f32_f16_sdwa v115, v18 dst_sel:DWORD dst_unused:UNUSED_PAD src0_sel:WORD_1
	s_waitcnt lgkmcnt(1)
	v_perm_b32 v17, v17, v16, s2
	s_waitcnt lgkmcnt(0)
	v_perm_b32 v16, v19, v5, s2
	v_cvt_f16_f32_e32 v5, v8
	v_cvt_f16_f32_e32 v8, v9
	v_mfma_f32_16x16x16_f16 v[14:17], v[16:17], v[28:29], v[34:37]
	ds_read_u16 v19, v140 offset:8800
	s_nop 1
	ds_read_u16 v34, v140 offset:9344
	ds_read_u16 v35, v141 offset:8800
	;; [unrolled: 1-line block ×3, first 2 shown]
	v_perm_b32 v5, v8, v5, s2
	v_cvt_f32_f16_e32 v116, v40
	v_cvt_f16_f32_e32 v9, v14
	v_cvt_f16_f32_e32 v15, v15
	;; [unrolled: 1-line block ×4, first 2 shown]
	s_waitcnt lgkmcnt(1)
	v_perm_b32 v37, v35, v34, s2
	s_waitcnt lgkmcnt(0)
	v_perm_b32 v36, v36, v19, s2
	v_cvt_f32_f16_e32 v14, v9
	v_cvt_f32_f16_e32 v15, v15
	;; [unrolled: 1-line block ×4, first 2 shown]
	v_cvt_f32_f16_sdwa v117, v40 dst_sel:DWORD dst_unused:UNUSED_PAD src0_sel:WORD_1
	v_pk_mul_f16 v20, v38, v93
	v_mfma_f32_16x16x16_f16 v[14:17], v[36:37], v[24:25], v[14:17]
	ds_read_u16 v8, v140 offset:128
	ds_read_u16 v19, v140 offset:672
	;; [unrolled: 1-line block ×4, first 2 shown]
	v_pk_mul_f16 v22, v42, v93
	ds_read_u16 v37, v140 offset:8832
	ds_read_u16 v38, v140 offset:9376
	;; [unrolled: 1-line block ×4, first 2 shown]
	v_pk_mul_f16 v21, v39, v93
	s_waitcnt lgkmcnt(5)
	v_perm_b32 v19, v35, v19, s2
	s_waitcnt lgkmcnt(4)
	v_perm_b32 v18, v36, v8, s2
	v_cvt_f16_f32_e32 v8, v12
	v_cvt_f16_f32_e32 v36, v13
	v_mfma_f32_16x16x16_f16 v[114:117], v[18:19], v[28:29], v[114:117]
	v_perm_b32 v8, v36, v8, s2
	v_pk_mul_f16 v23, v43, v93
	v_pk_mul_f16 v39, v133, v93
	s_nop 4
	v_cvt_f16_f32_e32 v12, v114
	v_cvt_f16_f32_e32 v13, v115
	;; [unrolled: 1-line block ×4, first 2 shown]
	v_cvt_f32_f16_e32 v114, v12
	v_cvt_f32_f16_e32 v115, v13
	s_waitcnt lgkmcnt(1)
	v_perm_b32 v13, v40, v38, s2
	s_waitcnt lgkmcnt(0)
	v_perm_b32 v12, v42, v37, s2
	v_cvt_f32_f16_e32 v116, v18
	v_cvt_f32_f16_e32 v117, v19
	v_cvt_f16_f32_e32 v38, v16
	v_cvt_f16_f32_e32 v40, v17
	v_mfma_f32_16x16x16_f16 v[16:19], v[12:13], v[24:25], v[114:117]
	ds_read_u16 v12, v140 offset:160
	ds_read_u16 v13, v140 offset:704
	;; [unrolled: 1-line block ×4, first 2 shown]
	v_cvt_f32_f16_e32 v114, v21
	v_cvt_f32_f16_sdwa v115, v21 dst_sel:DWORD dst_unused:UNUSED_PAD src0_sel:WORD_1
	v_cvt_f32_f16_e32 v116, v20
	s_waitcnt lgkmcnt(1)
	v_perm_b32 v43, v36, v13, s2
	s_waitcnt lgkmcnt(0)
	v_perm_b32 v42, v37, v12, s2
	v_cvt_f32_f16_sdwa v117, v20 dst_sel:DWORD dst_unused:UNUSED_PAD src0_sel:WORD_1
	v_perm_b32 v12, v40, v38, s2
	v_pk_mul_f16 v44, v132, v93
	v_mfma_f32_16x16x16_f16 v[114:117], v[42:43], v[28:29], v[114:117]
	ds_read_u16 v40, v140 offset:8864
	ds_read_u16 v42, v140 offset:9408
	;; [unrolled: 1-line block ×4, first 2 shown]
	v_add_f32_e32 v27, v41, v27
	ds_bpermute_b32 v41, v30, v27
	s_nop 1
	v_cvt_f16_f32_e32 v20, v115
	v_cvt_f16_f32_e32 v21, v116
	v_cvt_f16_f32_e32 v13, v114
	v_cvt_f16_f32_e32 v38, v117
	v_cvt_f32_f16_e32 v115, v20
	v_cvt_f32_f16_e32 v116, v21
	s_waitcnt lgkmcnt(2)
	v_perm_b32 v21, v43, v42, s2
	s_waitcnt lgkmcnt(1)
	v_perm_b32 v20, v45, v40, s2
	ds_read_u16 v40, v140 offset:192
	ds_read_u16 v43, v140 offset:736
	;; [unrolled: 1-line block ×4, first 2 shown]
	v_cvt_f32_f16_e32 v114, v13
	v_cvt_f32_f16_e32 v117, v38
	v_cvt_f16_f32_e32 v13, v18
	s_waitcnt lgkmcnt(1)
	v_perm_b32 v119, v45, v43, s2
	s_waitcnt lgkmcnt(0)
	v_perm_b32 v118, v52, v40, s2
	v_cvt_f16_f32_e32 v42, v19
	v_mfma_f32_16x16x16_f16 v[18:21], v[20:21], v[24:25], v[114:117]
	v_cvt_f16_f32_e32 v31, v2
	v_cvt_f16_f32_e32 v32, v3
	;; [unrolled: 1-line block ×3, first 2 shown]
	v_cvt_f32_f16_e32 v114, v23
	v_cvt_f32_f16_sdwa v115, v23 dst_sel:DWORD dst_unused:UNUSED_PAD src0_sel:WORD_1
	v_cvt_f32_f16_e32 v116, v22
	v_cvt_f32_f16_sdwa v117, v22 dst_sel:DWORD dst_unused:UNUSED_PAD src0_sel:WORD_1
	v_cvt_f16_f32_e32 v9, v7
	v_cvt_f16_f32_e32 v34, v10
	v_mfma_f32_16x16x16_f16 v[114:117], v[118:119], v[28:29], v[114:117]
	v_cvt_f16_f32_e32 v35, v11
	v_cvt_f16_f32_e32 v36, v14
	;; [unrolled: 1-line block ×4, first 2 shown]
	s_nop 3
	v_cvt_f16_f32_e32 v45, v117
	ds_read_u16 v52, v140 offset:8896
	ds_read_u16 v93, v140 offset:9440
	;; [unrolled: 1-line block ×4, first 2 shown]
	v_cvt_f16_f32_e32 v22, v114
	v_cvt_f16_f32_e32 v23, v115
	;; [unrolled: 1-line block ×4, first 2 shown]
	v_cvt_f32_f16_e32 v114, v22
	v_cvt_f32_f16_e32 v115, v23
	s_waitcnt lgkmcnt(1)
	v_perm_b32 v23, v117, v93, s2
	s_waitcnt lgkmcnt(0)
	v_perm_b32 v22, v118, v52, s2
	v_cvt_f32_f16_e32 v116, v43
	v_cvt_f32_f16_e32 v117, v45
	v_cvt_f16_f32_e32 v45, v20
	v_cvt_f16_f32_e32 v52, v21
	v_mfma_f32_16x16x16_f16 v[20:23], v[22:23], v[24:25], v[114:117]
	ds_read_u16 v93, v140 offset:224
	s_nop 1
	ds_read_u16 v117, v140 offset:768
	ds_read_u16 v118, v141 offset:224
	;; [unrolled: 1-line block ×3, first 2 shown]
	v_cvt_f32_f16_e32 v114, v39
	v_cvt_f32_f16_sdwa v115, v39 dst_sel:DWORD dst_unused:UNUSED_PAD src0_sel:WORD_1
	v_cvt_f32_f16_e32 v116, v44
	s_waitcnt lgkmcnt(1)
	v_perm_b32 v119, v118, v117, s2
	s_waitcnt lgkmcnt(0)
	v_perm_b32 v118, v120, v93, s2
	v_cvt_f32_f16_sdwa v117, v44 dst_sel:DWORD dst_unused:UNUSED_PAD src0_sel:WORD_1
	v_perm_b32 v39, v52, v45, s2
	v_cvt_f16_f32_e32 v22, v22
	v_mfma_f32_16x16x16_f16 v[114:117], v[118:119], v[28:29], v[114:117]
	v_cvt_f16_f32_e32 v23, v23
	v_perm_b32 v13, v42, v13, s2
	v_cvt_f16_f32_e32 v42, v18
	v_cvt_f16_f32_e32 v43, v19
	s_nop 3
	v_cvt_f16_f32_e32 v44, v114
	v_cvt_f16_f32_e32 v45, v115
	ds_read_u16 v29, v140 offset:8928
	ds_read_u16 v93, v140 offset:9472
	ds_read_u16 v114, v141 offset:8928
	ds_read_u16 v115, v140 offset:9200
	v_cvt_f16_f32_e32 v52, v116
	v_cvt_f16_f32_e32 v28, v117
	v_cvt_f32_f16_e32 v116, v44
	v_cvt_f32_f16_e32 v117, v45
	s_waitcnt lgkmcnt(1)
	v_perm_b32 v45, v114, v93, s2
	s_waitcnt lgkmcnt(0)
	v_perm_b32 v44, v115, v29, s2
	v_cvt_f32_f16_e32 v118, v52
	v_cvt_f32_f16_e32 v119, v28
	v_perm_b32 v28, v23, v22, s2
	v_cvt_f16_f32_e32 v29, v20
	v_mfma_f32_16x16x16_f16 v[22:25], v[44:45], v[24:25], v[116:119]
	v_cvt_f16_f32_e32 v52, v21
	v_add_f32_e32 v27, v27, v41
	s_and_b64 s[10:11], s[0:1], s[8:9]
	v_perm_b32 v41, v43, v42, s2
	s_nop 3
	v_cvt_f16_f32_e32 v44, v22
	v_cvt_f16_f32_e32 v24, v24
	v_cvt_f16_f32_e32 v25, v25
	v_cvt_f16_f32_e32 v45, v23
	v_perm_b32 v29, v52, v29, s2
	v_perm_b32 v38, v40, v38, s2
	;; [unrolled: 1-line block ×8, first 2 shown]
	s_barrier
	s_and_saveexec_b64 s[8:9], s[10:11]
	s_cbranch_execz .LBB25_316
; %bb.315:                              ;   in Loop: Header=BB25_12 Depth=1
	v_lshlrev_b32_e32 v9, 2, v90
	global_load_dword v9, v9, s[74:75]
	v_cvt_pk_f16_f32 v25, v2, v3
	v_max_f32_e32 v2, v26, v26
	v_cvt_pk_f16_f32 v6, v6, v7
	v_cvt_pk_f16_f32 v7, v10, v11
	v_cvt_pk_f16_f32 v10, v14, v15
	v_cvt_pk_f16_f32 v11, v16, v17
	v_cvt_pk_f16_f32 v14, v18, v19
	s_waitcnt vmcnt(0)
	v_max_f32_e32 v3, v9, v9
	v_max_f32_e32 v2, v2, v3
	v_sub_f32_e32 v3, v26, v2
	v_sub_f32_e32 v9, v9, v2
	v_mul_f32_e32 v15, 0x3fb8aa3b, v3
	v_mul_f32_e32 v16, 0x3fb8aa3b, v9
	v_fma_f32 v17, v3, s67, -v15
	v_rndne_f32_e32 v18, v15
	v_fma_f32 v19, v9, s67, -v16
	v_rndne_f32_e32 v26, v16
	v_fmac_f32_e32 v17, 0x32a5705f, v3
	v_sub_f32_e32 v15, v15, v18
	v_fmac_f32_e32 v19, 0x32a5705f, v9
	v_sub_f32_e32 v16, v16, v26
	v_add_f32_e32 v15, v15, v17
	v_cvt_i32_f32_e32 v18, v18
	v_add_f32_e32 v16, v16, v19
	v_exp_f32_e32 v15, v15
	v_cvt_i32_f32_e32 v26, v26
	v_exp_f32_e32 v16, v16
	v_cmp_ngt_f32_e32 vcc, s33, v3
	v_ldexp_f32 v15, v15, v18
	v_cvt_pk_f16_f32 v17, v20, v21
	v_ldexp_f32 v16, v16, v26
	v_cndmask_b32_e32 v15, 0, v15, vcc
	v_cmp_ngt_f32_e32 vcc, s33, v9
	v_cvt_pk_f16_f32 v19, v22, v23
	s_nop 0
	v_cndmask_b32_e32 v16, 0, v16, vcc
	v_cmp_nlt_f32_e32 vcc, s6, v3
	s_nop 1
	v_cndmask_b32_e32 v15, v198, v15, vcc
	v_cmp_le_f32_e32 vcc, s87, v3
	s_nop 1
	v_cndmask_b32_e32 v15, 0, v15, vcc
	v_cvt_f16_f32_e32 v18, v15
	v_cmp_nlt_f32_e32 vcc, s6, v9
	s_nop 1
	v_cndmask_b32_e32 v3, v198, v16, vcc
	v_fmac_f32_e32 v3, v27, v15
	v_mul_u32_u24_e32 v15, 0x10001, v18
	v_pk_mul_f16 v31, v25, v15
	v_pk_mul_f16 v4, v4, v15
	;; [unrolled: 1-line block ×16, first 2 shown]
	v_mov_b64_e32 v[26:27], v[2:3]
.LBB25_316:                             ;   in Loop: Header=BB25_12 Depth=1
	s_or_b64 exec, exec, s[8:9]
	s_and_saveexec_b64 s[8:9], s[4:5]
; %bb.317:                              ;   in Loop: Header=BB25_12 Depth=1
	v_add_u32_e32 v2, 0, v147
	ds_write2_b32 v2, v26, v27 offset0:64 offset1:65
; %bb.318:                              ;   in Loop: Header=BB25_12 Depth=1
	s_or_b64 exec, exec, s[8:9]
	s_waitcnt lgkmcnt(0)
	s_barrier
	s_mov_b64 s[8:9], exec
	v_readlane_b32 s10, v212, 5
	v_readlane_b32 s11, v212, 6
	s_and_b64 s[10:11], s[8:9], s[10:11]
	s_xor_b64 s[8:9], s[10:11], s[8:9]
	s_mov_b64 exec, s[10:11]
	s_cbranch_execz .LBB25_320
; %bb.319:                              ;   in Loop: Header=BB25_12 Depth=1
	s_barrier
                                        ; implicit-def: $vgpr30
.LBB25_320:                             ;   in Loop: Header=BB25_12 Depth=1
	s_andn2_saveexec_b64 s[8:9], s[8:9]
	s_cbranch_execz .LBB25_324
; %bb.321:                              ;   in Loop: Header=BB25_12 Depth=1
	v_add_u32_e32 v6, 0, v148
	ds_read_b64 v[2:3], v6 offset:256
	s_waitcnt lgkmcnt(0)
	s_barrier
	ds_bpermute_b32 v7, v30, v2
	v_max_f32_e32 v10, v2, v2
	s_waitcnt lgkmcnt(0)
	v_max_f32_e32 v7, v7, v7
	v_max_f32_e32 v7, v10, v7
	v_sub_f32_e32 v2, v2, v7
	v_mul_f32_e32 v7, 0x3fb8aa3b, v2
	v_fma_f32 v10, v2, s67, -v7
	v_rndne_f32_e32 v11, v7
	v_fmac_f32_e32 v10, 0x32a5705f, v2
	v_sub_f32_e32 v7, v7, v11
	v_add_f32_e32 v7, v7, v10
	v_cvt_i32_f32_e32 v11, v11
	v_exp_f32_e32 v7, v7
	v_cmp_ngt_f32_e32 vcc, s33, v2
	v_ldexp_f32 v7, v7, v11
	s_nop 0
	v_cndmask_b32_e32 v7, 0, v7, vcc
	v_cmp_nlt_f32_e32 vcc, s6, v2
	s_nop 1
	v_cndmask_b32_e32 v2, v198, v7, vcc
	v_mul_f32_e32 v3, v3, v2
	ds_bpermute_b32 v7, v30, v3
	s_mov_b64 s[12:13], exec
	v_readlane_b32 s10, v212, 14
	v_readlane_b32 s11, v212, 15
	s_and_b64 s[10:11], s[12:13], s[10:11]
	s_mov_b64 exec, s[10:11]
	s_cbranch_execz .LBB25_323
; %bb.322:                              ;   in Loop: Header=BB25_12 Depth=1
	s_waitcnt lgkmcnt(0)
	v_add_f32_e32 v3, v3, v7
	ds_write_b64 v6, v[2:3] offset:256
.LBB25_323:                             ;   in Loop: Header=BB25_12 Depth=1
	s_or_b64 exec, exec, s[12:13]
.LBB25_324:                             ;   in Loop: Header=BB25_12 Depth=1
	s_or_b64 exec, exec, s[8:9]
	v_add_u32_e32 v2, v144, v149
	ds_write2_b32 v2, v31, v4 offset1:1
	ds_write2_b32 v2, v9, v5 offset0:8 offset1:9
	ds_write2_b32 v2, v34, v8 offset0:16 offset1:17
	;; [unrolled: 1-line block ×7, first 2 shown]
	s_waitcnt lgkmcnt(0)
	s_barrier
	s_and_saveexec_b64 s[74:75], s[0:1]
	s_cbranch_execz .LBB25_10
; %bb.325:                              ;   in Loop: Header=BB25_12 Depth=1
	v_add_u32_e32 v3, s82, v187
	v_or_b32_e32 v2, s62, v94
	v_cmp_gt_i32_e32 vcc, s36, v3
	v_cmp_gt_i32_e64 s[8:9], s86, v2
	s_and_b64 s[10:11], vcc, s[8:9]
	v_mov_b32_e32 v2, 0x47
	s_and_saveexec_b64 s[12:13], s[10:11]
	s_cbranch_execz .LBB25_327
; %bb.326:                              ;   in Loop: Header=BB25_12 Depth=1
	v_mad_u64_u32 v[2:3], s[10:11], v3, s37, v[94:95]
	v_add_u32_e32 v8, 0, v150
	v_add_u32_e32 v3, v142, v150
	ds_read2_b32 v[4:5], v8 offset0:64 offset1:65
	ds_read2st64_b32 v[6:7], v3 offset1:17
	ds_read_b32 v8, v8 offset:4608
	v_lshl_add_u32 v2, v2, 6, v46
	v_ashrrev_i32_e32 v3, 31, v2
	v_lshl_add_u64 v[2:3], v[2:3], 3, s[72:73]
	s_waitcnt lgkmcnt(1)
	v_cvt_f32_f16_e32 v10, v6
	v_cvt_f32_f16_sdwa v11, v6 dst_sel:DWORD dst_unused:UNUSED_PAD src0_sel:WORD_1
	v_cvt_f32_f16_e32 v6, v7
	v_cvt_f32_f16_sdwa v7, v7 dst_sel:DWORD dst_unused:UNUSED_PAD src0_sel:WORD_1
	v_pk_fma_f32 v[10:11], v[4:5], v[10:11], 0 op_sel_hi:[0,1,0]
	s_waitcnt lgkmcnt(0)
	v_pk_fma_f32 v[6:7], v[8:9], v[6:7], v[10:11] op_sel_hi:[0,1,1]
	v_div_scale_f32 v4, s[10:11], v5, v5, v7
	v_rcp_f32_e32 v8, v4
	s_nop 0
	v_fma_f32 v9, -v4, v8, 1.0
	v_fmac_f32_e32 v8, v9, v8
	v_div_scale_f32 v9, vcc, v7, v5, v7
	v_mul_f32_e32 v10, v9, v8
	v_fma_f32 v11, -v4, v10, v9
	v_fmac_f32_e32 v10, v11, v8
	v_fma_f32 v4, -v4, v10, v9
	v_div_fmas_f32 v4, v4, v8, v10
	v_div_fixup_f32 v7, v4, v5, v7
	v_div_scale_f32 v4, s[10:11], v5, v5, v6
	v_rcp_f32_e32 v8, v4
	s_nop 0
	v_fma_f32 v9, -v4, v8, 1.0
	v_fmac_f32_e32 v8, v9, v8
	v_div_scale_f32 v9, vcc, v6, v5, v6
	v_mul_f32_e32 v10, v9, v8
	v_fma_f32 v11, -v4, v10, v9
	v_fmac_f32_e32 v10, v11, v8
	v_fma_f32 v4, -v4, v10, v9
	v_div_fmas_f32 v4, v4, v8, v10
	v_div_fixup_f32 v6, v4, v5, v6
	global_store_dwordx2 v[2:3], v[6:7], off
	v_mov_b32_e32 v2, 0
.LBB25_327:                             ;   in Loop: Header=BB25_12 Depth=1
	s_or_b64 exec, exec, s[12:13]
	s_movk_i32 s10, 0x47
	v_cmp_gt_i32_e32 vcc, s10, v2
	s_mov_b64 s[12:13], -1
	s_and_saveexec_b64 s[76:77], vcc
; %bb.328:                              ;   in Loop: Header=BB25_12 Depth=1
	v_cmp_eq_u32_e32 vcc, 0, v2
	s_orn2_b64 s[12:13], vcc, exec
; %bb.329:                              ;   in Loop: Header=BB25_12 Depth=1
	s_or_b64 exec, exec, s[76:77]
	s_and_b64 exec, exec, s[12:13]
	s_cbranch_execz .LBB25_10
; %bb.330:                              ;   in Loop: Header=BB25_12 Depth=1
	v_add_u32_e32 v3, s82, v188
	v_or_b32_e32 v2, s62, v74
	v_cmp_gt_i32_e32 vcc, s36, v3
	v_cmp_gt_i32_e64 s[12:13], s86, v2
	s_and_b64 s[10:11], vcc, s[12:13]
	v_mov_b32_e32 v2, 0x47
	s_and_saveexec_b64 s[12:13], s[10:11]
	s_cbranch_execz .LBB25_332
; %bb.331:                              ;   in Loop: Header=BB25_12 Depth=1
	v_mad_u64_u32 v[2:3], s[10:11], v3, s37, v[74:75]
	v_add_u32_e32 v8, 0, v151
	v_add_u32_e32 v3, v142, v151
	ds_read2_b32 v[4:5], v8 offset0:64 offset1:65
	ds_read2st64_b32 v[6:7], v3 offset1:17
	ds_read_b32 v8, v8 offset:4608
	v_lshl_add_u32 v2, v2, 6, v46
	v_ashrrev_i32_e32 v3, 31, v2
	v_lshl_add_u64 v[2:3], v[2:3], 3, s[72:73]
	s_waitcnt lgkmcnt(1)
	v_cvt_f32_f16_e32 v10, v6
	v_cvt_f32_f16_sdwa v11, v6 dst_sel:DWORD dst_unused:UNUSED_PAD src0_sel:WORD_1
	v_cvt_f32_f16_e32 v6, v7
	v_cvt_f32_f16_sdwa v7, v7 dst_sel:DWORD dst_unused:UNUSED_PAD src0_sel:WORD_1
	v_pk_fma_f32 v[10:11], v[4:5], v[10:11], 0 op_sel_hi:[0,1,0]
	s_waitcnt lgkmcnt(0)
	v_pk_fma_f32 v[6:7], v[8:9], v[6:7], v[10:11] op_sel_hi:[0,1,1]
	v_div_scale_f32 v4, s[10:11], v5, v5, v7
	v_rcp_f32_e32 v8, v4
	s_nop 0
	v_fma_f32 v9, -v4, v8, 1.0
	v_fmac_f32_e32 v8, v9, v8
	v_div_scale_f32 v9, vcc, v7, v5, v7
	v_mul_f32_e32 v10, v9, v8
	v_fma_f32 v11, -v4, v10, v9
	v_fmac_f32_e32 v10, v11, v8
	v_fma_f32 v4, -v4, v10, v9
	v_div_fmas_f32 v4, v4, v8, v10
	v_div_fixup_f32 v7, v4, v5, v7
	v_div_scale_f32 v4, s[10:11], v5, v5, v6
	v_rcp_f32_e32 v8, v4
	s_nop 0
	v_fma_f32 v9, -v4, v8, 1.0
	v_fmac_f32_e32 v8, v9, v8
	v_div_scale_f32 v9, vcc, v6, v5, v6
	v_mul_f32_e32 v10, v9, v8
	v_fma_f32 v11, -v4, v10, v9
	v_fmac_f32_e32 v10, v11, v8
	v_fma_f32 v4, -v4, v10, v9
	v_div_fmas_f32 v4, v4, v8, v10
	v_div_fixup_f32 v6, v4, v5, v6
	global_store_dwordx2 v[2:3], v[6:7], off
	v_mov_b32_e32 v2, 0
.LBB25_332:                             ;   in Loop: Header=BB25_12 Depth=1
	s_or_b64 exec, exec, s[12:13]
	s_movk_i32 s10, 0x47
	v_cmp_gt_i32_e32 vcc, s10, v2
	s_mov_b64 s[12:13], -1
	s_and_saveexec_b64 s[76:77], vcc
; %bb.333:                              ;   in Loop: Header=BB25_12 Depth=1
	v_cmp_eq_u32_e32 vcc, 0, v2
	s_orn2_b64 s[12:13], vcc, exec
; %bb.334:                              ;   in Loop: Header=BB25_12 Depth=1
	s_or_b64 exec, exec, s[76:77]
	s_and_b64 exec, exec, s[12:13]
	s_cbranch_execz .LBB25_10
; %bb.335:                              ;   in Loop: Header=BB25_12 Depth=1
	v_add_u32_e32 v3, s82, v152
	v_cmp_gt_i32_e32 vcc, s36, v3
	s_and_b64 s[10:11], vcc, s[8:9]
	v_mov_b32_e32 v2, 0x47
	s_and_saveexec_b64 s[12:13], s[10:11]
	s_cbranch_execz .LBB25_337
; %bb.336:                              ;   in Loop: Header=BB25_12 Depth=1
	v_mad_u64_u32 v[2:3], s[10:11], v3, s37, v[94:95]
	v_add_u32_e32 v8, 0, v153
	v_add_u32_e32 v3, v142, v153
	ds_read2_b32 v[4:5], v8 offset0:64 offset1:65
	ds_read2st64_b32 v[6:7], v3 offset1:17
	ds_read_b32 v8, v8 offset:4608
	v_lshl_add_u32 v2, v2, 6, v46
	v_ashrrev_i32_e32 v3, 31, v2
	v_lshl_add_u64 v[2:3], v[2:3], 3, s[72:73]
	s_waitcnt lgkmcnt(1)
	v_cvt_f32_f16_e32 v10, v6
	v_cvt_f32_f16_sdwa v11, v6 dst_sel:DWORD dst_unused:UNUSED_PAD src0_sel:WORD_1
	v_cvt_f32_f16_e32 v6, v7
	v_cvt_f32_f16_sdwa v7, v7 dst_sel:DWORD dst_unused:UNUSED_PAD src0_sel:WORD_1
	v_pk_fma_f32 v[10:11], v[4:5], v[10:11], 0 op_sel_hi:[0,1,0]
	s_waitcnt lgkmcnt(0)
	v_pk_fma_f32 v[6:7], v[8:9], v[6:7], v[10:11] op_sel_hi:[0,1,1]
	v_div_scale_f32 v4, s[10:11], v5, v5, v7
	v_rcp_f32_e32 v8, v4
	s_nop 0
	v_fma_f32 v9, -v4, v8, 1.0
	v_fmac_f32_e32 v8, v9, v8
	v_div_scale_f32 v9, vcc, v7, v5, v7
	v_mul_f32_e32 v10, v9, v8
	v_fma_f32 v11, -v4, v10, v9
	v_fmac_f32_e32 v10, v11, v8
	v_fma_f32 v4, -v4, v10, v9
	v_div_fmas_f32 v4, v4, v8, v10
	v_div_fixup_f32 v7, v4, v5, v7
	v_div_scale_f32 v4, s[10:11], v5, v5, v6
	v_rcp_f32_e32 v8, v4
	s_nop 0
	v_fma_f32 v9, -v4, v8, 1.0
	v_fmac_f32_e32 v8, v9, v8
	v_div_scale_f32 v9, vcc, v6, v5, v6
	v_mul_f32_e32 v10, v9, v8
	v_fma_f32 v11, -v4, v10, v9
	v_fmac_f32_e32 v10, v11, v8
	v_fma_f32 v4, -v4, v10, v9
	v_div_fmas_f32 v4, v4, v8, v10
	v_div_fixup_f32 v6, v4, v5, v6
	global_store_dwordx2 v[2:3], v[6:7], off
	v_mov_b32_e32 v2, 0
.LBB25_337:                             ;   in Loop: Header=BB25_12 Depth=1
	s_or_b64 exec, exec, s[12:13]
	s_movk_i32 s10, 0x47
	v_cmp_gt_i32_e32 vcc, s10, v2
	s_mov_b64 s[12:13], -1
	s_and_saveexec_b64 s[76:77], vcc
; %bb.338:                              ;   in Loop: Header=BB25_12 Depth=1
	v_cmp_eq_u32_e32 vcc, 0, v2
	s_orn2_b64 s[12:13], vcc, exec
; %bb.339:                              ;   in Loop: Header=BB25_12 Depth=1
	s_or_b64 exec, exec, s[76:77]
	s_and_b64 exec, exec, s[12:13]
	s_cbranch_execz .LBB25_10
; %bb.340:                              ;   in Loop: Header=BB25_12 Depth=1
	v_add_u32_e32 v3, s82, v189
	v_or_b32_e32 v2, s62, v76
	v_cmp_gt_i32_e32 vcc, s36, v3
	v_cmp_gt_i32_e64 s[12:13], s86, v2
	s_and_b64 s[10:11], vcc, s[12:13]
	v_mov_b32_e32 v2, 0x47
	s_and_saveexec_b64 s[12:13], s[10:11]
	s_cbranch_execz .LBB25_342
; %bb.341:                              ;   in Loop: Header=BB25_12 Depth=1
	v_mad_u64_u32 v[2:3], s[10:11], v3, s37, v[76:77]
	v_add_u32_e32 v8, 0, v154
	v_add_u32_e32 v3, v142, v154
	ds_read2_b32 v[4:5], v8 offset0:64 offset1:65
	ds_read2st64_b32 v[6:7], v3 offset1:17
	ds_read_b32 v8, v8 offset:4608
	v_lshl_add_u32 v2, v2, 6, v46
	v_ashrrev_i32_e32 v3, 31, v2
	v_lshl_add_u64 v[2:3], v[2:3], 3, s[72:73]
	s_waitcnt lgkmcnt(1)
	v_cvt_f32_f16_e32 v10, v6
	v_cvt_f32_f16_sdwa v11, v6 dst_sel:DWORD dst_unused:UNUSED_PAD src0_sel:WORD_1
	v_cvt_f32_f16_e32 v6, v7
	v_cvt_f32_f16_sdwa v7, v7 dst_sel:DWORD dst_unused:UNUSED_PAD src0_sel:WORD_1
	v_pk_fma_f32 v[10:11], v[4:5], v[10:11], 0 op_sel_hi:[0,1,0]
	s_waitcnt lgkmcnt(0)
	v_pk_fma_f32 v[6:7], v[8:9], v[6:7], v[10:11] op_sel_hi:[0,1,1]
	v_div_scale_f32 v4, s[10:11], v5, v5, v7
	v_rcp_f32_e32 v8, v4
	s_nop 0
	v_fma_f32 v9, -v4, v8, 1.0
	v_fmac_f32_e32 v8, v9, v8
	v_div_scale_f32 v9, vcc, v7, v5, v7
	v_mul_f32_e32 v10, v9, v8
	v_fma_f32 v11, -v4, v10, v9
	v_fmac_f32_e32 v10, v11, v8
	v_fma_f32 v4, -v4, v10, v9
	v_div_fmas_f32 v4, v4, v8, v10
	v_div_fixup_f32 v7, v4, v5, v7
	v_div_scale_f32 v4, s[10:11], v5, v5, v6
	v_rcp_f32_e32 v8, v4
	s_nop 0
	v_fma_f32 v9, -v4, v8, 1.0
	v_fmac_f32_e32 v8, v9, v8
	v_div_scale_f32 v9, vcc, v6, v5, v6
	v_mul_f32_e32 v10, v9, v8
	v_fma_f32 v11, -v4, v10, v9
	v_fmac_f32_e32 v10, v11, v8
	v_fma_f32 v4, -v4, v10, v9
	v_div_fmas_f32 v4, v4, v8, v10
	v_div_fixup_f32 v6, v4, v5, v6
	global_store_dwordx2 v[2:3], v[6:7], off
	v_mov_b32_e32 v2, 0
.LBB25_342:                             ;   in Loop: Header=BB25_12 Depth=1
	s_or_b64 exec, exec, s[12:13]
	s_movk_i32 s10, 0x47
	v_cmp_gt_i32_e32 vcc, s10, v2
	s_mov_b64 s[12:13], -1
	s_and_saveexec_b64 s[76:77], vcc
; %bb.343:                              ;   in Loop: Header=BB25_12 Depth=1
	v_cmp_eq_u32_e32 vcc, 0, v2
	s_orn2_b64 s[12:13], vcc, exec
; %bb.344:                              ;   in Loop: Header=BB25_12 Depth=1
	s_or_b64 exec, exec, s[76:77]
	s_and_b64 exec, exec, s[12:13]
	s_cbranch_execz .LBB25_10
; %bb.345:                              ;   in Loop: Header=BB25_12 Depth=1
	v_add_u32_e32 v3, s82, v155
	v_cmp_gt_i32_e32 vcc, s36, v3
	s_and_b64 s[10:11], vcc, s[8:9]
	v_mov_b32_e32 v2, 0x47
	s_and_saveexec_b64 s[12:13], s[10:11]
	s_cbranch_execz .LBB25_347
; %bb.346:                              ;   in Loop: Header=BB25_12 Depth=1
	v_mad_u64_u32 v[2:3], s[10:11], v3, s37, v[94:95]
	v_add_u32_e32 v8, 0, v156
	v_add_u32_e32 v3, v142, v156
	ds_read2_b32 v[4:5], v8 offset0:64 offset1:65
	ds_read2st64_b32 v[6:7], v3 offset1:17
	ds_read_b32 v8, v8 offset:4608
	v_lshl_add_u32 v2, v2, 6, v46
	v_ashrrev_i32_e32 v3, 31, v2
	v_lshl_add_u64 v[2:3], v[2:3], 3, s[72:73]
	s_waitcnt lgkmcnt(1)
	v_cvt_f32_f16_e32 v10, v6
	v_cvt_f32_f16_sdwa v11, v6 dst_sel:DWORD dst_unused:UNUSED_PAD src0_sel:WORD_1
	v_cvt_f32_f16_e32 v6, v7
	v_cvt_f32_f16_sdwa v7, v7 dst_sel:DWORD dst_unused:UNUSED_PAD src0_sel:WORD_1
	v_pk_fma_f32 v[10:11], v[4:5], v[10:11], 0 op_sel_hi:[0,1,0]
	s_waitcnt lgkmcnt(0)
	v_pk_fma_f32 v[6:7], v[8:9], v[6:7], v[10:11] op_sel_hi:[0,1,1]
	v_div_scale_f32 v4, s[10:11], v5, v5, v7
	v_rcp_f32_e32 v8, v4
	s_nop 0
	v_fma_f32 v9, -v4, v8, 1.0
	v_fmac_f32_e32 v8, v9, v8
	v_div_scale_f32 v9, vcc, v7, v5, v7
	v_mul_f32_e32 v10, v9, v8
	v_fma_f32 v11, -v4, v10, v9
	v_fmac_f32_e32 v10, v11, v8
	v_fma_f32 v4, -v4, v10, v9
	v_div_fmas_f32 v4, v4, v8, v10
	v_div_fixup_f32 v7, v4, v5, v7
	v_div_scale_f32 v4, s[10:11], v5, v5, v6
	v_rcp_f32_e32 v8, v4
	s_nop 0
	v_fma_f32 v9, -v4, v8, 1.0
	v_fmac_f32_e32 v8, v9, v8
	v_div_scale_f32 v9, vcc, v6, v5, v6
	v_mul_f32_e32 v10, v9, v8
	v_fma_f32 v11, -v4, v10, v9
	v_fmac_f32_e32 v10, v11, v8
	v_fma_f32 v4, -v4, v10, v9
	v_div_fmas_f32 v4, v4, v8, v10
	v_div_fixup_f32 v6, v4, v5, v6
	global_store_dwordx2 v[2:3], v[6:7], off
	v_mov_b32_e32 v2, 0
.LBB25_347:                             ;   in Loop: Header=BB25_12 Depth=1
	s_or_b64 exec, exec, s[12:13]
	s_movk_i32 s10, 0x47
	v_cmp_gt_i32_e32 vcc, s10, v2
	s_mov_b64 s[12:13], -1
	s_and_saveexec_b64 s[76:77], vcc
; %bb.348:                              ;   in Loop: Header=BB25_12 Depth=1
	v_cmp_eq_u32_e32 vcc, 0, v2
	s_orn2_b64 s[12:13], vcc, exec
; %bb.349:                              ;   in Loop: Header=BB25_12 Depth=1
	s_or_b64 exec, exec, s[76:77]
	s_and_b64 exec, exec, s[12:13]
	s_cbranch_execz .LBB25_10
; %bb.350:                              ;   in Loop: Header=BB25_12 Depth=1
	v_add_u32_e32 v3, s82, v190
	v_or_b32_e32 v2, s62, v78
	v_cmp_gt_i32_e32 vcc, s36, v3
	v_cmp_gt_i32_e64 s[12:13], s86, v2
	s_and_b64 s[10:11], vcc, s[12:13]
	v_mov_b32_e32 v2, 0x47
	s_and_saveexec_b64 s[12:13], s[10:11]
	s_cbranch_execz .LBB25_352
; %bb.351:                              ;   in Loop: Header=BB25_12 Depth=1
	v_mad_u64_u32 v[2:3], s[10:11], v3, s37, v[78:79]
	v_add_u32_e32 v8, 0, v157
	v_add_u32_e32 v3, v142, v157
	ds_read2_b32 v[4:5], v8 offset0:64 offset1:65
	ds_read2st64_b32 v[6:7], v3 offset1:17
	ds_read_b32 v8, v8 offset:4608
	v_lshl_add_u32 v2, v2, 6, v46
	v_ashrrev_i32_e32 v3, 31, v2
	v_lshl_add_u64 v[2:3], v[2:3], 3, s[72:73]
	s_waitcnt lgkmcnt(1)
	v_cvt_f32_f16_e32 v10, v6
	v_cvt_f32_f16_sdwa v11, v6 dst_sel:DWORD dst_unused:UNUSED_PAD src0_sel:WORD_1
	v_cvt_f32_f16_e32 v6, v7
	v_cvt_f32_f16_sdwa v7, v7 dst_sel:DWORD dst_unused:UNUSED_PAD src0_sel:WORD_1
	v_pk_fma_f32 v[10:11], v[4:5], v[10:11], 0 op_sel_hi:[0,1,0]
	s_waitcnt lgkmcnt(0)
	v_pk_fma_f32 v[6:7], v[8:9], v[6:7], v[10:11] op_sel_hi:[0,1,1]
	v_div_scale_f32 v4, s[10:11], v5, v5, v7
	v_rcp_f32_e32 v8, v4
	s_nop 0
	v_fma_f32 v9, -v4, v8, 1.0
	v_fmac_f32_e32 v8, v9, v8
	v_div_scale_f32 v9, vcc, v7, v5, v7
	v_mul_f32_e32 v10, v9, v8
	v_fma_f32 v11, -v4, v10, v9
	v_fmac_f32_e32 v10, v11, v8
	v_fma_f32 v4, -v4, v10, v9
	v_div_fmas_f32 v4, v4, v8, v10
	v_div_fixup_f32 v7, v4, v5, v7
	v_div_scale_f32 v4, s[10:11], v5, v5, v6
	v_rcp_f32_e32 v8, v4
	s_nop 0
	v_fma_f32 v9, -v4, v8, 1.0
	v_fmac_f32_e32 v8, v9, v8
	v_div_scale_f32 v9, vcc, v6, v5, v6
	v_mul_f32_e32 v10, v9, v8
	v_fma_f32 v11, -v4, v10, v9
	v_fmac_f32_e32 v10, v11, v8
	v_fma_f32 v4, -v4, v10, v9
	v_div_fmas_f32 v4, v4, v8, v10
	v_div_fixup_f32 v6, v4, v5, v6
	global_store_dwordx2 v[2:3], v[6:7], off
	v_mov_b32_e32 v2, 0
.LBB25_352:                             ;   in Loop: Header=BB25_12 Depth=1
	s_or_b64 exec, exec, s[12:13]
	s_movk_i32 s10, 0x47
	v_cmp_gt_i32_e32 vcc, s10, v2
	s_mov_b64 s[12:13], -1
	s_and_saveexec_b64 s[76:77], vcc
; %bb.353:                              ;   in Loop: Header=BB25_12 Depth=1
	v_cmp_eq_u32_e32 vcc, 0, v2
	s_orn2_b64 s[12:13], vcc, exec
; %bb.354:                              ;   in Loop: Header=BB25_12 Depth=1
	s_or_b64 exec, exec, s[76:77]
	s_and_b64 exec, exec, s[12:13]
	s_cbranch_execz .LBB25_10
; %bb.355:                              ;   in Loop: Header=BB25_12 Depth=1
	v_add_u32_e32 v3, s82, v158
	v_cmp_gt_i32_e32 vcc, s36, v3
	s_and_b64 s[10:11], vcc, s[8:9]
	v_mov_b32_e32 v2, 0x47
	s_and_saveexec_b64 s[12:13], s[10:11]
	s_cbranch_execz .LBB25_357
; %bb.356:                              ;   in Loop: Header=BB25_12 Depth=1
	v_mad_u64_u32 v[2:3], s[10:11], v3, s37, v[94:95]
	v_add_u32_e32 v8, 0, v159
	v_add_u32_e32 v3, v142, v159
	ds_read2_b32 v[4:5], v8 offset0:64 offset1:65
	ds_read2st64_b32 v[6:7], v3 offset1:17
	ds_read_b32 v8, v8 offset:4608
	v_lshl_add_u32 v2, v2, 6, v46
	v_ashrrev_i32_e32 v3, 31, v2
	v_lshl_add_u64 v[2:3], v[2:3], 3, s[72:73]
	s_waitcnt lgkmcnt(1)
	v_cvt_f32_f16_e32 v10, v6
	v_cvt_f32_f16_sdwa v11, v6 dst_sel:DWORD dst_unused:UNUSED_PAD src0_sel:WORD_1
	v_cvt_f32_f16_e32 v6, v7
	v_cvt_f32_f16_sdwa v7, v7 dst_sel:DWORD dst_unused:UNUSED_PAD src0_sel:WORD_1
	v_pk_fma_f32 v[10:11], v[4:5], v[10:11], 0 op_sel_hi:[0,1,0]
	s_waitcnt lgkmcnt(0)
	v_pk_fma_f32 v[6:7], v[8:9], v[6:7], v[10:11] op_sel_hi:[0,1,1]
	v_div_scale_f32 v4, s[10:11], v5, v5, v7
	v_rcp_f32_e32 v8, v4
	s_nop 0
	v_fma_f32 v9, -v4, v8, 1.0
	v_fmac_f32_e32 v8, v9, v8
	v_div_scale_f32 v9, vcc, v7, v5, v7
	v_mul_f32_e32 v10, v9, v8
	v_fma_f32 v11, -v4, v10, v9
	v_fmac_f32_e32 v10, v11, v8
	v_fma_f32 v4, -v4, v10, v9
	v_div_fmas_f32 v4, v4, v8, v10
	v_div_fixup_f32 v7, v4, v5, v7
	v_div_scale_f32 v4, s[10:11], v5, v5, v6
	v_rcp_f32_e32 v8, v4
	s_nop 0
	v_fma_f32 v9, -v4, v8, 1.0
	v_fmac_f32_e32 v8, v9, v8
	v_div_scale_f32 v9, vcc, v6, v5, v6
	v_mul_f32_e32 v10, v9, v8
	v_fma_f32 v11, -v4, v10, v9
	v_fmac_f32_e32 v10, v11, v8
	v_fma_f32 v4, -v4, v10, v9
	v_div_fmas_f32 v4, v4, v8, v10
	v_div_fixup_f32 v6, v4, v5, v6
	global_store_dwordx2 v[2:3], v[6:7], off
	v_mov_b32_e32 v2, 0
.LBB25_357:                             ;   in Loop: Header=BB25_12 Depth=1
	s_or_b64 exec, exec, s[12:13]
	s_movk_i32 s10, 0x47
	v_cmp_gt_i32_e32 vcc, s10, v2
	s_mov_b64 s[12:13], -1
	s_and_saveexec_b64 s[76:77], vcc
; %bb.358:                              ;   in Loop: Header=BB25_12 Depth=1
	v_cmp_eq_u32_e32 vcc, 0, v2
	s_orn2_b64 s[12:13], vcc, exec
; %bb.359:                              ;   in Loop: Header=BB25_12 Depth=1
	s_or_b64 exec, exec, s[76:77]
	s_and_b64 exec, exec, s[12:13]
	s_cbranch_execz .LBB25_10
; %bb.360:                              ;   in Loop: Header=BB25_12 Depth=1
	v_add_u32_e32 v3, s82, v191
	v_or_b32_e32 v2, s62, v80
	v_cmp_gt_i32_e32 vcc, s36, v3
	v_cmp_gt_i32_e64 s[12:13], s86, v2
	s_and_b64 s[10:11], vcc, s[12:13]
	v_mov_b32_e32 v2, 0x47
	s_and_saveexec_b64 s[12:13], s[10:11]
	s_cbranch_execz .LBB25_362
; %bb.361:                              ;   in Loop: Header=BB25_12 Depth=1
	v_mad_u64_u32 v[2:3], s[10:11], v3, s37, v[80:81]
	v_add_u32_e32 v8, 0, v160
	v_add_u32_e32 v3, v142, v160
	ds_read2_b32 v[4:5], v8 offset0:64 offset1:65
	ds_read2st64_b32 v[6:7], v3 offset1:17
	ds_read_b32 v8, v8 offset:4608
	v_lshl_add_u32 v2, v2, 6, v46
	v_ashrrev_i32_e32 v3, 31, v2
	v_lshl_add_u64 v[2:3], v[2:3], 3, s[72:73]
	s_waitcnt lgkmcnt(1)
	v_cvt_f32_f16_e32 v10, v6
	v_cvt_f32_f16_sdwa v11, v6 dst_sel:DWORD dst_unused:UNUSED_PAD src0_sel:WORD_1
	v_cvt_f32_f16_e32 v6, v7
	v_cvt_f32_f16_sdwa v7, v7 dst_sel:DWORD dst_unused:UNUSED_PAD src0_sel:WORD_1
	v_pk_fma_f32 v[10:11], v[4:5], v[10:11], 0 op_sel_hi:[0,1,0]
	s_waitcnt lgkmcnt(0)
	v_pk_fma_f32 v[6:7], v[8:9], v[6:7], v[10:11] op_sel_hi:[0,1,1]
	v_div_scale_f32 v4, s[10:11], v5, v5, v7
	v_rcp_f32_e32 v8, v4
	s_nop 0
	v_fma_f32 v9, -v4, v8, 1.0
	v_fmac_f32_e32 v8, v9, v8
	v_div_scale_f32 v9, vcc, v7, v5, v7
	v_mul_f32_e32 v10, v9, v8
	v_fma_f32 v11, -v4, v10, v9
	v_fmac_f32_e32 v10, v11, v8
	v_fma_f32 v4, -v4, v10, v9
	v_div_fmas_f32 v4, v4, v8, v10
	v_div_fixup_f32 v7, v4, v5, v7
	v_div_scale_f32 v4, s[10:11], v5, v5, v6
	v_rcp_f32_e32 v8, v4
	s_nop 0
	v_fma_f32 v9, -v4, v8, 1.0
	v_fmac_f32_e32 v8, v9, v8
	v_div_scale_f32 v9, vcc, v6, v5, v6
	v_mul_f32_e32 v10, v9, v8
	v_fma_f32 v11, -v4, v10, v9
	v_fmac_f32_e32 v10, v11, v8
	v_fma_f32 v4, -v4, v10, v9
	v_div_fmas_f32 v4, v4, v8, v10
	v_div_fixup_f32 v6, v4, v5, v6
	global_store_dwordx2 v[2:3], v[6:7], off
	v_mov_b32_e32 v2, 0
.LBB25_362:                             ;   in Loop: Header=BB25_12 Depth=1
	s_or_b64 exec, exec, s[12:13]
	s_movk_i32 s10, 0x47
	v_cmp_gt_i32_e32 vcc, s10, v2
	s_mov_b64 s[12:13], -1
	s_and_saveexec_b64 s[76:77], vcc
; %bb.363:                              ;   in Loop: Header=BB25_12 Depth=1
	v_cmp_eq_u32_e32 vcc, 0, v2
	s_orn2_b64 s[12:13], vcc, exec
; %bb.364:                              ;   in Loop: Header=BB25_12 Depth=1
	s_or_b64 exec, exec, s[76:77]
	s_and_b64 exec, exec, s[12:13]
	s_cbranch_execz .LBB25_10
; %bb.365:                              ;   in Loop: Header=BB25_12 Depth=1
	v_add_u32_e32 v3, s82, v161
	v_cmp_gt_i32_e32 vcc, s36, v3
	s_and_b64 s[10:11], vcc, s[8:9]
	v_mov_b32_e32 v2, 0x47
	s_and_saveexec_b64 s[12:13], s[10:11]
	s_cbranch_execz .LBB25_367
; %bb.366:                              ;   in Loop: Header=BB25_12 Depth=1
	v_mad_u64_u32 v[2:3], s[10:11], v3, s37, v[94:95]
	v_add_u32_e32 v8, 0, v162
	v_add_u32_e32 v3, v142, v162
	ds_read2_b32 v[4:5], v8 offset0:64 offset1:65
	ds_read2st64_b32 v[6:7], v3 offset1:17
	ds_read_b32 v8, v8 offset:4608
	v_lshl_add_u32 v2, v2, 6, v46
	v_ashrrev_i32_e32 v3, 31, v2
	v_lshl_add_u64 v[2:3], v[2:3], 3, s[72:73]
	s_waitcnt lgkmcnt(1)
	v_cvt_f32_f16_e32 v10, v6
	v_cvt_f32_f16_sdwa v11, v6 dst_sel:DWORD dst_unused:UNUSED_PAD src0_sel:WORD_1
	v_cvt_f32_f16_e32 v6, v7
	v_cvt_f32_f16_sdwa v7, v7 dst_sel:DWORD dst_unused:UNUSED_PAD src0_sel:WORD_1
	v_pk_fma_f32 v[10:11], v[4:5], v[10:11], 0 op_sel_hi:[0,1,0]
	s_waitcnt lgkmcnt(0)
	v_pk_fma_f32 v[6:7], v[8:9], v[6:7], v[10:11] op_sel_hi:[0,1,1]
	v_div_scale_f32 v4, s[10:11], v5, v5, v7
	v_rcp_f32_e32 v8, v4
	s_nop 0
	v_fma_f32 v9, -v4, v8, 1.0
	v_fmac_f32_e32 v8, v9, v8
	v_div_scale_f32 v9, vcc, v7, v5, v7
	v_mul_f32_e32 v10, v9, v8
	v_fma_f32 v11, -v4, v10, v9
	v_fmac_f32_e32 v10, v11, v8
	v_fma_f32 v4, -v4, v10, v9
	v_div_fmas_f32 v4, v4, v8, v10
	v_div_fixup_f32 v7, v4, v5, v7
	v_div_scale_f32 v4, s[10:11], v5, v5, v6
	v_rcp_f32_e32 v8, v4
	s_nop 0
	v_fma_f32 v9, -v4, v8, 1.0
	v_fmac_f32_e32 v8, v9, v8
	v_div_scale_f32 v9, vcc, v6, v5, v6
	v_mul_f32_e32 v10, v9, v8
	v_fma_f32 v11, -v4, v10, v9
	v_fmac_f32_e32 v10, v11, v8
	v_fma_f32 v4, -v4, v10, v9
	v_div_fmas_f32 v4, v4, v8, v10
	v_div_fixup_f32 v6, v4, v5, v6
	global_store_dwordx2 v[2:3], v[6:7], off
	v_mov_b32_e32 v2, 0
.LBB25_367:                             ;   in Loop: Header=BB25_12 Depth=1
	s_or_b64 exec, exec, s[12:13]
	s_movk_i32 s10, 0x47
	v_cmp_gt_i32_e32 vcc, s10, v2
	s_mov_b64 s[12:13], -1
	s_and_saveexec_b64 s[76:77], vcc
; %bb.368:                              ;   in Loop: Header=BB25_12 Depth=1
	v_cmp_eq_u32_e32 vcc, 0, v2
	s_orn2_b64 s[12:13], vcc, exec
; %bb.369:                              ;   in Loop: Header=BB25_12 Depth=1
	s_or_b64 exec, exec, s[76:77]
	s_and_b64 exec, exec, s[12:13]
	s_cbranch_execz .LBB25_10
; %bb.370:                              ;   in Loop: Header=BB25_12 Depth=1
	v_add_u32_e32 v3, s82, v192
	v_or_b32_e32 v2, s62, v82
	v_cmp_gt_i32_e32 vcc, s36, v3
	v_cmp_gt_i32_e64 s[12:13], s86, v2
	s_and_b64 s[10:11], vcc, s[12:13]
	v_mov_b32_e32 v2, 0x47
	s_and_saveexec_b64 s[12:13], s[10:11]
	s_cbranch_execz .LBB25_372
; %bb.371:                              ;   in Loop: Header=BB25_12 Depth=1
	v_mad_u64_u32 v[2:3], s[10:11], v3, s37, v[82:83]
	v_add_u32_e32 v8, 0, v163
	v_add_u32_e32 v3, v142, v163
	ds_read2_b32 v[4:5], v8 offset0:64 offset1:65
	ds_read2st64_b32 v[6:7], v3 offset1:17
	ds_read_b32 v8, v8 offset:4608
	v_lshl_add_u32 v2, v2, 6, v46
	v_ashrrev_i32_e32 v3, 31, v2
	v_lshl_add_u64 v[2:3], v[2:3], 3, s[72:73]
	s_waitcnt lgkmcnt(1)
	v_cvt_f32_f16_e32 v10, v6
	v_cvt_f32_f16_sdwa v11, v6 dst_sel:DWORD dst_unused:UNUSED_PAD src0_sel:WORD_1
	v_cvt_f32_f16_e32 v6, v7
	v_cvt_f32_f16_sdwa v7, v7 dst_sel:DWORD dst_unused:UNUSED_PAD src0_sel:WORD_1
	v_pk_fma_f32 v[10:11], v[4:5], v[10:11], 0 op_sel_hi:[0,1,0]
	s_waitcnt lgkmcnt(0)
	v_pk_fma_f32 v[6:7], v[8:9], v[6:7], v[10:11] op_sel_hi:[0,1,1]
	v_div_scale_f32 v4, s[10:11], v5, v5, v7
	v_rcp_f32_e32 v8, v4
	s_nop 0
	v_fma_f32 v9, -v4, v8, 1.0
	v_fmac_f32_e32 v8, v9, v8
	v_div_scale_f32 v9, vcc, v7, v5, v7
	v_mul_f32_e32 v10, v9, v8
	v_fma_f32 v11, -v4, v10, v9
	v_fmac_f32_e32 v10, v11, v8
	v_fma_f32 v4, -v4, v10, v9
	v_div_fmas_f32 v4, v4, v8, v10
	v_div_fixup_f32 v7, v4, v5, v7
	v_div_scale_f32 v4, s[10:11], v5, v5, v6
	v_rcp_f32_e32 v8, v4
	s_nop 0
	v_fma_f32 v9, -v4, v8, 1.0
	v_fmac_f32_e32 v8, v9, v8
	v_div_scale_f32 v9, vcc, v6, v5, v6
	v_mul_f32_e32 v10, v9, v8
	v_fma_f32 v11, -v4, v10, v9
	v_fmac_f32_e32 v10, v11, v8
	v_fma_f32 v4, -v4, v10, v9
	v_div_fmas_f32 v4, v4, v8, v10
	v_div_fixup_f32 v6, v4, v5, v6
	global_store_dwordx2 v[2:3], v[6:7], off
	v_mov_b32_e32 v2, 0
.LBB25_372:                             ;   in Loop: Header=BB25_12 Depth=1
	s_or_b64 exec, exec, s[12:13]
	s_movk_i32 s10, 0x47
	v_cmp_gt_i32_e32 vcc, s10, v2
	s_mov_b64 s[12:13], -1
	s_and_saveexec_b64 s[76:77], vcc
; %bb.373:                              ;   in Loop: Header=BB25_12 Depth=1
	v_cmp_eq_u32_e32 vcc, 0, v2
	s_orn2_b64 s[12:13], vcc, exec
; %bb.374:                              ;   in Loop: Header=BB25_12 Depth=1
	s_or_b64 exec, exec, s[76:77]
	s_and_b64 exec, exec, s[12:13]
	s_cbranch_execz .LBB25_10
; %bb.375:                              ;   in Loop: Header=BB25_12 Depth=1
	v_add_u32_e32 v3, s82, v164
	v_cmp_gt_i32_e32 vcc, s36, v3
	s_and_b64 s[10:11], vcc, s[8:9]
	v_mov_b32_e32 v2, 0x47
	s_and_saveexec_b64 s[12:13], s[10:11]
	s_cbranch_execz .LBB25_377
; %bb.376:                              ;   in Loop: Header=BB25_12 Depth=1
	v_mad_u64_u32 v[2:3], s[10:11], v3, s37, v[94:95]
	v_add_u32_e32 v8, 0, v165
	v_add_u32_e32 v3, v142, v165
	ds_read2_b32 v[4:5], v8 offset0:64 offset1:65
	ds_read2st64_b32 v[6:7], v3 offset1:17
	ds_read_b32 v8, v8 offset:4608
	v_lshl_add_u32 v2, v2, 6, v46
	v_ashrrev_i32_e32 v3, 31, v2
	v_lshl_add_u64 v[2:3], v[2:3], 3, s[72:73]
	s_waitcnt lgkmcnt(1)
	v_cvt_f32_f16_e32 v10, v6
	v_cvt_f32_f16_sdwa v11, v6 dst_sel:DWORD dst_unused:UNUSED_PAD src0_sel:WORD_1
	v_cvt_f32_f16_e32 v6, v7
	v_cvt_f32_f16_sdwa v7, v7 dst_sel:DWORD dst_unused:UNUSED_PAD src0_sel:WORD_1
	v_pk_fma_f32 v[10:11], v[4:5], v[10:11], 0 op_sel_hi:[0,1,0]
	s_waitcnt lgkmcnt(0)
	v_pk_fma_f32 v[6:7], v[8:9], v[6:7], v[10:11] op_sel_hi:[0,1,1]
	v_div_scale_f32 v4, s[10:11], v5, v5, v7
	v_rcp_f32_e32 v8, v4
	s_nop 0
	v_fma_f32 v9, -v4, v8, 1.0
	v_fmac_f32_e32 v8, v9, v8
	v_div_scale_f32 v9, vcc, v7, v5, v7
	v_mul_f32_e32 v10, v9, v8
	v_fma_f32 v11, -v4, v10, v9
	v_fmac_f32_e32 v10, v11, v8
	v_fma_f32 v4, -v4, v10, v9
	v_div_fmas_f32 v4, v4, v8, v10
	v_div_fixup_f32 v7, v4, v5, v7
	v_div_scale_f32 v4, s[10:11], v5, v5, v6
	v_rcp_f32_e32 v8, v4
	s_nop 0
	v_fma_f32 v9, -v4, v8, 1.0
	v_fmac_f32_e32 v8, v9, v8
	v_div_scale_f32 v9, vcc, v6, v5, v6
	v_mul_f32_e32 v10, v9, v8
	v_fma_f32 v11, -v4, v10, v9
	v_fmac_f32_e32 v10, v11, v8
	v_fma_f32 v4, -v4, v10, v9
	v_div_fmas_f32 v4, v4, v8, v10
	v_div_fixup_f32 v6, v4, v5, v6
	global_store_dwordx2 v[2:3], v[6:7], off
	v_mov_b32_e32 v2, 0
.LBB25_377:                             ;   in Loop: Header=BB25_12 Depth=1
	s_or_b64 exec, exec, s[12:13]
	s_movk_i32 s10, 0x47
	v_cmp_gt_i32_e32 vcc, s10, v2
	s_mov_b64 s[12:13], -1
	s_and_saveexec_b64 s[76:77], vcc
; %bb.378:                              ;   in Loop: Header=BB25_12 Depth=1
	v_cmp_eq_u32_e32 vcc, 0, v2
	s_orn2_b64 s[12:13], vcc, exec
; %bb.379:                              ;   in Loop: Header=BB25_12 Depth=1
	s_or_b64 exec, exec, s[76:77]
	s_and_b64 exec, exec, s[12:13]
	s_cbranch_execz .LBB25_10
; %bb.380:                              ;   in Loop: Header=BB25_12 Depth=1
	v_add_u32_e32 v3, s82, v193
	v_or_b32_e32 v2, s62, v84
	v_cmp_gt_i32_e32 vcc, s36, v3
	v_cmp_gt_i32_e64 s[12:13], s86, v2
	s_and_b64 s[10:11], vcc, s[12:13]
	v_mov_b32_e32 v2, 0x47
	s_and_saveexec_b64 s[12:13], s[10:11]
	s_cbranch_execz .LBB25_382
; %bb.381:                              ;   in Loop: Header=BB25_12 Depth=1
	v_mad_u64_u32 v[2:3], s[10:11], v3, s37, v[84:85]
	v_add_u32_e32 v8, 0, v166
	v_add_u32_e32 v3, v142, v166
	ds_read2_b32 v[4:5], v8 offset0:64 offset1:65
	ds_read2st64_b32 v[6:7], v3 offset1:17
	ds_read_b32 v8, v8 offset:4608
	v_lshl_add_u32 v2, v2, 6, v46
	v_ashrrev_i32_e32 v3, 31, v2
	v_lshl_add_u64 v[2:3], v[2:3], 3, s[72:73]
	s_waitcnt lgkmcnt(1)
	v_cvt_f32_f16_e32 v10, v6
	v_cvt_f32_f16_sdwa v11, v6 dst_sel:DWORD dst_unused:UNUSED_PAD src0_sel:WORD_1
	v_cvt_f32_f16_e32 v6, v7
	v_cvt_f32_f16_sdwa v7, v7 dst_sel:DWORD dst_unused:UNUSED_PAD src0_sel:WORD_1
	v_pk_fma_f32 v[10:11], v[4:5], v[10:11], 0 op_sel_hi:[0,1,0]
	s_waitcnt lgkmcnt(0)
	v_pk_fma_f32 v[6:7], v[8:9], v[6:7], v[10:11] op_sel_hi:[0,1,1]
	v_div_scale_f32 v4, s[10:11], v5, v5, v7
	v_rcp_f32_e32 v8, v4
	s_nop 0
	v_fma_f32 v9, -v4, v8, 1.0
	v_fmac_f32_e32 v8, v9, v8
	v_div_scale_f32 v9, vcc, v7, v5, v7
	v_mul_f32_e32 v10, v9, v8
	v_fma_f32 v11, -v4, v10, v9
	v_fmac_f32_e32 v10, v11, v8
	v_fma_f32 v4, -v4, v10, v9
	v_div_fmas_f32 v4, v4, v8, v10
	v_div_fixup_f32 v7, v4, v5, v7
	v_div_scale_f32 v4, s[10:11], v5, v5, v6
	v_rcp_f32_e32 v8, v4
	s_nop 0
	v_fma_f32 v9, -v4, v8, 1.0
	v_fmac_f32_e32 v8, v9, v8
	v_div_scale_f32 v9, vcc, v6, v5, v6
	v_mul_f32_e32 v10, v9, v8
	v_fma_f32 v11, -v4, v10, v9
	v_fmac_f32_e32 v10, v11, v8
	v_fma_f32 v4, -v4, v10, v9
	v_div_fmas_f32 v4, v4, v8, v10
	v_div_fixup_f32 v6, v4, v5, v6
	global_store_dwordx2 v[2:3], v[6:7], off
	v_mov_b32_e32 v2, 0
.LBB25_382:                             ;   in Loop: Header=BB25_12 Depth=1
	s_or_b64 exec, exec, s[12:13]
	s_movk_i32 s10, 0x47
	v_cmp_gt_i32_e32 vcc, s10, v2
	s_mov_b64 s[12:13], -1
	s_and_saveexec_b64 s[76:77], vcc
; %bb.383:                              ;   in Loop: Header=BB25_12 Depth=1
	v_cmp_eq_u32_e32 vcc, 0, v2
	s_orn2_b64 s[12:13], vcc, exec
; %bb.384:                              ;   in Loop: Header=BB25_12 Depth=1
	s_or_b64 exec, exec, s[76:77]
	s_and_b64 exec, exec, s[12:13]
	s_cbranch_execz .LBB25_10
; %bb.385:                              ;   in Loop: Header=BB25_12 Depth=1
	v_add_u32_e32 v3, s82, v167
	v_cmp_gt_i32_e32 vcc, s36, v3
	s_and_b64 s[10:11], vcc, s[8:9]
	v_mov_b32_e32 v2, 0x47
	s_and_saveexec_b64 s[12:13], s[10:11]
	s_cbranch_execz .LBB25_387
; %bb.386:                              ;   in Loop: Header=BB25_12 Depth=1
	v_mad_u64_u32 v[2:3], s[10:11], v3, s37, v[94:95]
	v_add_u32_e32 v8, 0, v168
	v_add_u32_e32 v3, v142, v168
	ds_read2_b32 v[4:5], v8 offset0:64 offset1:65
	ds_read2st64_b32 v[6:7], v3 offset1:17
	ds_read_b32 v8, v8 offset:4608
	v_lshl_add_u32 v2, v2, 6, v46
	v_ashrrev_i32_e32 v3, 31, v2
	v_lshl_add_u64 v[2:3], v[2:3], 3, s[72:73]
	s_waitcnt lgkmcnt(1)
	v_cvt_f32_f16_e32 v10, v6
	v_cvt_f32_f16_sdwa v11, v6 dst_sel:DWORD dst_unused:UNUSED_PAD src0_sel:WORD_1
	v_cvt_f32_f16_e32 v6, v7
	v_cvt_f32_f16_sdwa v7, v7 dst_sel:DWORD dst_unused:UNUSED_PAD src0_sel:WORD_1
	v_pk_fma_f32 v[10:11], v[4:5], v[10:11], 0 op_sel_hi:[0,1,0]
	s_waitcnt lgkmcnt(0)
	v_pk_fma_f32 v[6:7], v[8:9], v[6:7], v[10:11] op_sel_hi:[0,1,1]
	v_div_scale_f32 v4, s[10:11], v5, v5, v7
	v_rcp_f32_e32 v8, v4
	s_nop 0
	v_fma_f32 v9, -v4, v8, 1.0
	v_fmac_f32_e32 v8, v9, v8
	v_div_scale_f32 v9, vcc, v7, v5, v7
	v_mul_f32_e32 v10, v9, v8
	v_fma_f32 v11, -v4, v10, v9
	v_fmac_f32_e32 v10, v11, v8
	v_fma_f32 v4, -v4, v10, v9
	v_div_fmas_f32 v4, v4, v8, v10
	v_div_fixup_f32 v7, v4, v5, v7
	v_div_scale_f32 v4, s[10:11], v5, v5, v6
	v_rcp_f32_e32 v8, v4
	s_nop 0
	v_fma_f32 v9, -v4, v8, 1.0
	v_fmac_f32_e32 v8, v9, v8
	v_div_scale_f32 v9, vcc, v6, v5, v6
	v_mul_f32_e32 v10, v9, v8
	v_fma_f32 v11, -v4, v10, v9
	v_fmac_f32_e32 v10, v11, v8
	v_fma_f32 v4, -v4, v10, v9
	v_div_fmas_f32 v4, v4, v8, v10
	v_div_fixup_f32 v6, v4, v5, v6
	global_store_dwordx2 v[2:3], v[6:7], off
	v_mov_b32_e32 v2, 0
.LBB25_387:                             ;   in Loop: Header=BB25_12 Depth=1
	s_or_b64 exec, exec, s[12:13]
	s_movk_i32 s10, 0x47
	v_cmp_gt_i32_e32 vcc, s10, v2
	s_mov_b64 s[12:13], -1
	s_and_saveexec_b64 s[76:77], vcc
; %bb.388:                              ;   in Loop: Header=BB25_12 Depth=1
	v_cmp_eq_u32_e32 vcc, 0, v2
	s_orn2_b64 s[12:13], vcc, exec
; %bb.389:                              ;   in Loop: Header=BB25_12 Depth=1
	s_or_b64 exec, exec, s[76:77]
	s_and_b64 exec, exec, s[12:13]
	s_cbranch_execz .LBB25_10
; %bb.390:                              ;   in Loop: Header=BB25_12 Depth=1
	v_add_u32_e32 v3, s82, v194
	v_or_b32_e32 v2, s62, v86
	v_cmp_gt_i32_e32 vcc, s36, v3
	v_cmp_gt_i32_e64 s[12:13], s86, v2
	s_and_b64 s[10:11], vcc, s[12:13]
	v_mov_b32_e32 v2, 0x47
	s_and_saveexec_b64 s[12:13], s[10:11]
	s_cbranch_execz .LBB25_392
; %bb.391:                              ;   in Loop: Header=BB25_12 Depth=1
	v_mad_u64_u32 v[2:3], s[10:11], v3, s37, v[86:87]
	v_add_u32_e32 v8, 0, v169
	v_add_u32_e32 v3, v142, v169
	ds_read2_b32 v[4:5], v8 offset0:64 offset1:65
	ds_read2st64_b32 v[6:7], v3 offset1:17
	ds_read_b32 v8, v8 offset:4608
	v_lshl_add_u32 v2, v2, 6, v46
	v_ashrrev_i32_e32 v3, 31, v2
	v_lshl_add_u64 v[2:3], v[2:3], 3, s[72:73]
	s_waitcnt lgkmcnt(1)
	v_cvt_f32_f16_e32 v10, v6
	v_cvt_f32_f16_sdwa v11, v6 dst_sel:DWORD dst_unused:UNUSED_PAD src0_sel:WORD_1
	v_cvt_f32_f16_e32 v6, v7
	v_cvt_f32_f16_sdwa v7, v7 dst_sel:DWORD dst_unused:UNUSED_PAD src0_sel:WORD_1
	v_pk_fma_f32 v[10:11], v[4:5], v[10:11], 0 op_sel_hi:[0,1,0]
	s_waitcnt lgkmcnt(0)
	v_pk_fma_f32 v[6:7], v[8:9], v[6:7], v[10:11] op_sel_hi:[0,1,1]
	v_div_scale_f32 v4, s[10:11], v5, v5, v7
	v_rcp_f32_e32 v8, v4
	s_nop 0
	v_fma_f32 v9, -v4, v8, 1.0
	v_fmac_f32_e32 v8, v9, v8
	v_div_scale_f32 v9, vcc, v7, v5, v7
	v_mul_f32_e32 v10, v9, v8
	v_fma_f32 v11, -v4, v10, v9
	v_fmac_f32_e32 v10, v11, v8
	v_fma_f32 v4, -v4, v10, v9
	v_div_fmas_f32 v4, v4, v8, v10
	v_div_fixup_f32 v7, v4, v5, v7
	v_div_scale_f32 v4, s[10:11], v5, v5, v6
	v_rcp_f32_e32 v8, v4
	s_nop 0
	v_fma_f32 v9, -v4, v8, 1.0
	v_fmac_f32_e32 v8, v9, v8
	v_div_scale_f32 v9, vcc, v6, v5, v6
	v_mul_f32_e32 v10, v9, v8
	v_fma_f32 v11, -v4, v10, v9
	v_fmac_f32_e32 v10, v11, v8
	v_fma_f32 v4, -v4, v10, v9
	v_div_fmas_f32 v4, v4, v8, v10
	v_div_fixup_f32 v6, v4, v5, v6
	global_store_dwordx2 v[2:3], v[6:7], off
	v_mov_b32_e32 v2, 0
.LBB25_392:                             ;   in Loop: Header=BB25_12 Depth=1
	s_or_b64 exec, exec, s[12:13]
	s_movk_i32 s10, 0x47
	v_cmp_gt_i32_e32 vcc, s10, v2
	s_mov_b64 s[12:13], -1
	s_and_saveexec_b64 s[76:77], vcc
; %bb.393:                              ;   in Loop: Header=BB25_12 Depth=1
	v_cmp_eq_u32_e32 vcc, 0, v2
	s_orn2_b64 s[12:13], vcc, exec
; %bb.394:                              ;   in Loop: Header=BB25_12 Depth=1
	s_or_b64 exec, exec, s[76:77]
	s_and_b64 exec, exec, s[12:13]
	s_cbranch_execz .LBB25_10
; %bb.395:                              ;   in Loop: Header=BB25_12 Depth=1
	v_add_u32_e32 v3, s82, v170
	v_cmp_gt_i32_e32 vcc, s36, v3
	s_and_b64 s[10:11], vcc, s[8:9]
	v_mov_b32_e32 v2, 0x47
	s_and_saveexec_b64 s[8:9], s[10:11]
	s_cbranch_execz .LBB25_397
; %bb.396:                              ;   in Loop: Header=BB25_12 Depth=1
	v_mad_u64_u32 v[2:3], s[10:11], v3, s37, v[94:95]
	v_add_u32_e32 v8, 0, v171
	v_add_u32_e32 v3, v142, v171
	ds_read2_b32 v[4:5], v8 offset0:64 offset1:65
	ds_read2st64_b32 v[6:7], v3 offset1:17
	ds_read_b32 v8, v8 offset:4608
	v_lshl_add_u32 v2, v2, 6, v46
	v_ashrrev_i32_e32 v3, 31, v2
	v_lshl_add_u64 v[2:3], v[2:3], 3, s[72:73]
	s_waitcnt lgkmcnt(1)
	v_cvt_f32_f16_e32 v10, v6
	v_cvt_f32_f16_sdwa v11, v6 dst_sel:DWORD dst_unused:UNUSED_PAD src0_sel:WORD_1
	v_cvt_f32_f16_e32 v6, v7
	v_cvt_f32_f16_sdwa v7, v7 dst_sel:DWORD dst_unused:UNUSED_PAD src0_sel:WORD_1
	v_pk_fma_f32 v[10:11], v[4:5], v[10:11], 0 op_sel_hi:[0,1,0]
	s_waitcnt lgkmcnt(0)
	v_pk_fma_f32 v[6:7], v[8:9], v[6:7], v[10:11] op_sel_hi:[0,1,1]
	v_div_scale_f32 v4, s[10:11], v5, v5, v7
	v_rcp_f32_e32 v8, v4
	s_nop 0
	v_fma_f32 v9, -v4, v8, 1.0
	v_fmac_f32_e32 v8, v9, v8
	v_div_scale_f32 v9, vcc, v7, v5, v7
	v_mul_f32_e32 v10, v9, v8
	v_fma_f32 v11, -v4, v10, v9
	v_fmac_f32_e32 v10, v11, v8
	v_fma_f32 v4, -v4, v10, v9
	v_div_fmas_f32 v4, v4, v8, v10
	v_div_fixup_f32 v7, v4, v5, v7
	v_div_scale_f32 v4, s[10:11], v5, v5, v6
	v_rcp_f32_e32 v8, v4
	s_nop 0
	v_fma_f32 v9, -v4, v8, 1.0
	v_fmac_f32_e32 v8, v9, v8
	v_div_scale_f32 v9, vcc, v6, v5, v6
	v_mul_f32_e32 v10, v9, v8
	v_fma_f32 v11, -v4, v10, v9
	v_fmac_f32_e32 v10, v11, v8
	v_fma_f32 v4, -v4, v10, v9
	v_div_fmas_f32 v4, v4, v8, v10
	v_div_fixup_f32 v6, v4, v5, v6
	global_store_dwordx2 v[2:3], v[6:7], off
	v_mov_b32_e32 v2, 0
.LBB25_397:                             ;   in Loop: Header=BB25_12 Depth=1
	s_or_b64 exec, exec, s[8:9]
	s_movk_i32 s8, 0x47
	v_cmp_gt_i32_e32 vcc, s8, v2
	s_mov_b64 s[8:9], -1
	s_and_saveexec_b64 s[12:13], vcc
; %bb.398:                              ;   in Loop: Header=BB25_12 Depth=1
	v_cmp_eq_u32_e32 vcc, 0, v2
	s_orn2_b64 s[8:9], vcc, exec
; %bb.399:                              ;   in Loop: Header=BB25_12 Depth=1
	s_or_b64 exec, exec, s[12:13]
	s_and_b64 exec, exec, s[8:9]
	s_cbranch_execz .LBB25_10
; %bb.400:                              ;   in Loop: Header=BB25_12 Depth=1
	v_add_u32_e32 v2, s82, v195
	v_or_b32_e32 v3, s62, v88
	v_cmp_gt_i32_e32 vcc, s36, v2
	v_cmp_gt_i32_e64 s[8:9], s86, v3
	s_and_b64 s[8:9], vcc, s[8:9]
	s_and_b64 exec, exec, s[8:9]
	s_cbranch_execz .LBB25_10
; %bb.401:                              ;   in Loop: Header=BB25_12 Depth=1
	v_add_u32_e32 v3, v142, v172
	ds_read2st64_b32 v[4:5], v3 offset1:17
	v_add_u32_e32 v3, 0, v172
	ds_read2_b32 v[6:7], v3 offset0:64 offset1:65
	ds_read_b32 v8, v3 offset:4608
	v_mad_u64_u32 v[2:3], s[8:9], v2, s37, v[88:89]
	s_waitcnt lgkmcnt(2)
	v_cvt_f32_f16_e32 v10, v4
	v_cvt_f32_f16_sdwa v11, v4 dst_sel:DWORD dst_unused:UNUSED_PAD src0_sel:WORD_1
	v_cvt_f32_f16_e32 v4, v5
	v_cvt_f32_f16_sdwa v5, v5 dst_sel:DWORD dst_unused:UNUSED_PAD src0_sel:WORD_1
	v_lshl_add_u32 v2, v2, 6, v46
	s_waitcnt lgkmcnt(1)
	v_pk_fma_f32 v[10:11], v[6:7], v[10:11], 0 op_sel_hi:[0,1,0]
	v_ashrrev_i32_e32 v3, 31, v2
	s_waitcnt lgkmcnt(0)
	v_pk_fma_f32 v[4:5], v[8:9], v[4:5], v[10:11] op_sel_hi:[0,1,1]
	v_div_scale_f32 v6, s[8:9], v7, v7, v5
	v_rcp_f32_e32 v8, v6
	v_lshl_add_u64 v[2:3], v[2:3], 3, s[72:73]
	v_fma_f32 v9, -v6, v8, 1.0
	v_fmac_f32_e32 v8, v9, v8
	v_div_scale_f32 v9, vcc, v5, v7, v5
	v_mul_f32_e32 v10, v9, v8
	v_fma_f32 v11, -v6, v10, v9
	v_fmac_f32_e32 v10, v11, v8
	v_fma_f32 v6, -v6, v10, v9
	v_div_scale_f32 v9, s[8:9], v7, v7, v4
	v_rcp_f32_e32 v11, v9
	v_div_fmas_f32 v6, v6, v8, v10
	v_div_fixup_f32 v5, v6, v7, v5
	v_fma_f32 v6, -v9, v11, 1.0
	v_fmac_f32_e32 v11, v6, v11
	v_div_scale_f32 v6, vcc, v4, v7, v4
	v_mul_f32_e32 v8, v6, v11
	v_fma_f32 v10, -v9, v8, v6
	v_fmac_f32_e32 v8, v10, v11
	v_fma_f32 v6, -v9, v8, v6
	v_div_fmas_f32 v6, v6, v11, v8
	v_div_fixup_f32 v4, v6, v7, v4
	global_store_dwordx2 v[2:3], v[4:5], off
	s_branch .LBB25_10
.LBB25_402:
	v_readlane_b32 s33, v212, 11
	v_readlane_b32 s51, v212, 4
	;; [unrolled: 1-line block ×5, first 2 shown]
	s_andn2_b64 vcc, exec, s[8:9]
	s_cbranch_vccnz .LBB25_8
.LBB25_403:
	s_abs_i32 s0, s90
	v_cvt_f32_u32_e32 v2, s0
	s_sub_i32 s4, 0, s0
	s_abs_i32 s2, s54
	s_xor_b32 s1, s54, s90
	v_rcp_iflag_f32_e32 v2, v2
	s_ashr_i32 s1, s1, 31
	v_mov_b32_e32 v16, s97
	v_mul_f32_e32 v2, 0x4f7ffffe, v2
	v_cvt_u32_f32_e32 v2, v2
	s_nop 0
	v_readfirstlane_b32 s5, v2
	s_mul_i32 s4, s4, s5
	s_mul_hi_u32 s4, s5, s4
	s_add_i32 s5, s5, s4
	s_mul_hi_u32 s4, s2, s5
	s_mul_i32 s5, s4, s0
	s_sub_i32 s2, s2, s5
	s_add_i32 s6, s4, 1
	s_sub_i32 s5, s2, s0
	s_cmp_ge_u32 s2, s0
	s_cselect_b32 s4, s6, s4
	s_cselect_b32 s2, s5, s2
	s_add_i32 s5, s4, 1
	s_cmp_ge_u32 s2, s0
	s_cselect_b32 s0, s5, s4
	s_abs_i32 s4, s89
	v_cvt_f32_u32_e32 v2, s4
	s_xor_b32 s0, s0, s1
	s_sub_i32 s5, 0, s4
	s_sub_i32 s2, s0, s1
	v_rcp_iflag_f32_e32 v2, v2
	s_mul_i32 s0, s2, s90
	s_sub_i32 s0, s54, s0
	s_abs_i32 s6, s0
	v_mul_f32_e32 v2, 0x4f7ffffe, v2
	v_cvt_u32_f32_e32 v2, v2
	s_xor_b32 s1, s0, s89
	s_ashr_i32 s1, s1, 31
	v_readfirstlane_b32 s7, v2
	s_mul_i32 s5, s5, s7
	s_mul_hi_u32 s5, s7, s5
	s_add_i32 s7, s7, s5
	s_mul_hi_u32 s5, s6, s7
	s_mul_i32 s7, s5, s4
	s_sub_i32 s6, s6, s7
	s_add_i32 s8, s5, 1
	s_sub_i32 s7, s6, s4
	s_cmp_ge_u32 s6, s4
	s_cselect_b32 s5, s8, s5
	s_cselect_b32 s6, s7, s6
	s_add_i32 s7, s5, 1
	s_cmp_ge_u32 s6, s4
	s_cselect_b32 s4, s7, s5
	s_abs_i32 s5, s88
	v_cvt_f32_u32_e32 v2, s5
	s_xor_b32 s4, s4, s1
	s_sub_i32 s6, 0, s5
	s_sub_i32 s8, s4, s1
	v_rcp_iflag_f32_e32 v2, v2
	s_mul_i32 s1, s8, s89
	s_sub_i32 s1, s0, s1
	s_abs_i32 s4, s1
	v_mul_f32_e32 v2, 0x4f7ffffe, v2
	v_cvt_u32_f32_e32 v2, v2
	s_xor_b32 s0, s1, s88
	s_ashr_i32 s0, s0, 31
	v_readfirstlane_b32 s7, v2
	s_mul_i32 s6, s6, s7
	s_mul_hi_u32 s6, s7, s6
	s_add_i32 s7, s7, s6
	s_mul_hi_u32 s6, s4, s7
	s_mul_i32 s7, s6, s5
	s_sub_i32 s4, s4, s7
	s_add_i32 s9, s6, 1
	s_sub_i32 s7, s4, s5
	s_cmp_ge_u32 s4, s5
	s_cselect_b32 s6, s9, s6
	s_cselect_b32 s4, s7, s4
	s_add_i32 s7, s6, 1
	s_cmp_ge_u32 s4, s5
	s_cselect_b32 s4, s7, s6
	s_xor_b32 s4, s4, s0
	s_sub_i32 s0, s4, s0
	s_mul_i32 s4, s0, s88
	s_sub_i32 s1, s1, s4
	s_ashr_i32 s4, s1, 31
	v_readlane_b32 s5, v212, 3
	s_abs_i32 s1, s1
	s_xor_b32 s4, s4, s5
	s_mul_hi_u32 s5, s1, s50
	s_mul_i32 s6, s5, s92
	s_sub_i32 s1, s1, s6
	s_add_i32 s6, s5, 1
	s_sub_i32 s7, s1, s92
	s_cmp_ge_u32 s1, s92
	s_cselect_b32 s5, s6, s5
	s_cselect_b32 s1, s7, s1
	s_add_i32 s6, s5, 1
	s_cmp_ge_u32 s1, s92
	s_cselect_b32 s1, s6, s5
	s_abs_i32 s9, s12
	v_cvt_f32_u32_e32 v2, s9
	s_xor_b32 s1, s1, s4
	s_sub_i32 s1, s1, s4
	s_cmp_eq_u64 s[26:27], 0
	v_rcp_iflag_f32_e32 v2, v2
	s_nop 0
	v_mul_f32_e32 v2, 0x4f7ffffe, v2
	v_cvt_u32_f32_e32 v2, v2
	s_nop 0
	v_readfirstlane_b32 s10, v2
	s_cbranch_scc1 .LBB25_405
; %bb.404:
	v_readlane_b32 s4, v212, 0
	s_mul_i32 s4, s2, s4
	s_add_i32 s4, s1, s4
	s_ashr_i32 s5, s4, 31
	s_lshl_b64 s[4:5], s[4:5], 2
	s_add_u32 s4, s26, s4
	s_addc_u32 s5, s27, s5
	v_mov_b32_e32 v2, 0
	global_load_dword v2, v2, s[4:5]
	s_waitcnt vmcnt(0)
	v_ashrrev_i32_e32 v3, 31, v2
	v_lshrrev_b32_e32 v3, 26, v3
	v_add_u32_e32 v2, v2, v3
	v_ashrrev_i32_e32 v2, 6, v2
	v_min_i32_e32 v16, s97, v2
.LBB25_405:
	s_mul_i32 s4, s8, s86
	s_lshl_b32 s5, s0, 2
	s_add_i32 s0, s5, s4
	s_mul_i32 s4, s2, s53
	s_ashr_i32 s6, s4, 31
	s_add_u32 s4, s16, s4
	s_mul_i32 s0, s0, s52
	s_addc_u32 s7, s17, s6
	s_ashr_i32 s11, s0, 31
	s_add_u32 s6, s4, s0
	s_addc_u32 s7, s7, s11
	v_and_b32_e32 v50, 0x3ff, v0
	s_lshl_b32 s11, s1, 3
	v_bfe_u32 v0, v91, 2, 8
	v_add_u32_e32 v2, s11, v0
	v_or_b32_e32 v0, s5, v47
	v_cmp_le_i32_e64 s[0:1], s36, v2
	v_cmp_le_i32_e64 s[4:5], s86, v0
	s_mov_b32 s12, 0x10001
	v_lshl_add_u32 v52, v50, 2, 0
	v_cmp_gt_i32_e32 vcc, s86, v0
	s_or_b64 s[0:1], s[0:1], s[4:5]
	s_and_saveexec_b64 s[4:5], s[0:1]
	s_xor_b64 s[0:1], exec, s[4:5]
; %bb.406:
	s_movk_i32 s4, 0x110
	v_mad_u32_u24 v0, v51, s4, v52
	v_mov_b32_e32 v2, 0
	ds_write_b32 v0, v2
                                        ; implicit-def: $vgpr2
; %bb.407:
	s_or_saveexec_b64 s[0:1], s[0:1]
	v_mul_lo_u32 v0, v89, s12
	s_xor_b64 exec, exec, s[0:1]
	s_cbranch_execz .LBB25_409
; %bb.408:
	v_mul_lo_u32 v2, v2, s55
	v_mul_lo_u32 v3, v47, s15
	v_add3_u32 v2, v3, v50, v2
	v_ashrrev_i32_e32 v3, 31, v2
	v_lshl_add_u64 v[2:3], v[2:3], 3, s[6:7]
	global_load_dwordx2 v[2:3], v[2:3], off
	s_movk_i32 s4, 0x110
	s_waitcnt vmcnt(0)
	v_cvt_pk_f16_f32 v2, v2, v3
	v_pk_mul_f16 v2, v2, v0
	v_mad_u32_u24 v3, v51, s4, v52
	ds_write_b32 v3, v2
.LBB25_409:
	s_or_b64 exec, exec, s[0:1]
	v_lshrrev_b32_e32 v2, 2, v87
	v_add_u32_e32 v2, s11, v2
	v_cmp_le_i32_e64 s[0:1], s36, v2
	s_xor_b64 s[4:5], vcc, -1
	s_or_b64 s[0:1], s[0:1], s[4:5]
	s_and_saveexec_b64 s[12:13], s[0:1]
	s_xor_b64 s[0:1], exec, s[12:13]
; %bb.410:
	s_movk_i32 s12, 0x110
	v_mad_u32_u24 v2, v87, s12, v52
	v_mov_b32_e32 v3, 0
	ds_write_b32 v2, v3
                                        ; implicit-def: $vgpr2
                                        ; implicit-def: $vgpr87
; %bb.411:
	s_andn2_saveexec_b64 s[0:1], s[0:1]
	s_cbranch_execz .LBB25_413
; %bb.412:
	v_mul_lo_u32 v2, v2, s55
	v_mul_lo_u32 v3, v47, s15
	v_add3_u32 v2, v3, v50, v2
	v_ashrrev_i32_e32 v3, 31, v2
	v_lshl_add_u64 v[2:3], v[2:3], 3, s[6:7]
	global_load_dwordx2 v[2:3], v[2:3], off
	s_movk_i32 s12, 0x110
	s_waitcnt vmcnt(0)
	v_cvt_pk_f16_f32 v2, v2, v3
	v_pk_mul_f16 v2, v2, v0
	v_mad_u32_u24 v3, v87, s12, v52
	ds_write_b32 v3, v2
.LBB25_413:
	s_or_b64 exec, exec, s[0:1]
	v_lshrrev_b32_e32 v2, 2, v85
	v_add_u32_e32 v2, s11, v2
	v_cmp_le_i32_e32 vcc, s36, v2
	s_or_b64 s[0:1], vcc, s[4:5]
	s_and_saveexec_b64 s[12:13], s[0:1]
	s_xor_b64 s[0:1], exec, s[12:13]
; %bb.414:
	s_movk_i32 s12, 0x110
	v_mad_u32_u24 v2, v85, s12, v52
	v_mov_b32_e32 v3, 0
	ds_write_b32 v2, v3
                                        ; implicit-def: $vgpr2
                                        ; implicit-def: $vgpr85
; %bb.415:
	s_andn2_saveexec_b64 s[0:1], s[0:1]
	s_cbranch_execz .LBB25_417
; %bb.416:
	v_mul_lo_u32 v2, v2, s55
	v_mul_lo_u32 v3, v47, s15
	v_add3_u32 v2, v3, v50, v2
	v_ashrrev_i32_e32 v3, 31, v2
	v_lshl_add_u64 v[2:3], v[2:3], 3, s[6:7]
	global_load_dwordx2 v[2:3], v[2:3], off
	s_movk_i32 s12, 0x110
	s_waitcnt vmcnt(0)
	v_cvt_pk_f16_f32 v2, v2, v3
	v_pk_mul_f16 v2, v2, v0
	v_mad_u32_u24 v3, v85, s12, v52
	ds_write_b32 v3, v2
.LBB25_417:
	s_or_b64 exec, exec, s[0:1]
	v_lshrrev_b32_e32 v2, 2, v83
	v_add_u32_e32 v2, s11, v2
	v_cmp_le_i32_e32 vcc, s36, v2
	s_or_b64 s[0:1], vcc, s[4:5]
	s_and_saveexec_b64 s[12:13], s[0:1]
	s_xor_b64 s[0:1], exec, s[12:13]
; %bb.418:
	s_movk_i32 s12, 0x110
	v_mad_u32_u24 v2, v83, s12, v52
	v_mov_b32_e32 v3, 0
	ds_write_b32 v2, v3
                                        ; implicit-def: $vgpr2
                                        ; implicit-def: $vgpr83
; %bb.419:
	s_andn2_saveexec_b64 s[0:1], s[0:1]
	s_cbranch_execz .LBB25_421
; %bb.420:
	v_mul_lo_u32 v2, v2, s55
	v_mul_lo_u32 v3, v47, s15
	v_add3_u32 v2, v3, v50, v2
	v_ashrrev_i32_e32 v3, 31, v2
	v_lshl_add_u64 v[2:3], v[2:3], 3, s[6:7]
	global_load_dwordx2 v[2:3], v[2:3], off
	s_movk_i32 s12, 0x110
	s_waitcnt vmcnt(0)
	v_cvt_pk_f16_f32 v2, v2, v3
	v_pk_mul_f16 v2, v2, v0
	v_mad_u32_u24 v3, v83, s12, v52
	ds_write_b32 v3, v2
.LBB25_421:
	s_or_b64 exec, exec, s[0:1]
	v_lshrrev_b32_e32 v2, 2, v81
	v_add_u32_e32 v2, s11, v2
	v_cmp_le_i32_e32 vcc, s36, v2
	s_or_b64 s[0:1], vcc, s[4:5]
	s_and_saveexec_b64 s[12:13], s[0:1]
	s_xor_b64 s[0:1], exec, s[12:13]
; %bb.422:
	s_movk_i32 s12, 0x110
	v_mad_u32_u24 v2, v81, s12, v52
	v_mov_b32_e32 v3, 0
	ds_write_b32 v2, v3
                                        ; implicit-def: $vgpr2
                                        ; implicit-def: $vgpr81
; %bb.423:
	s_andn2_saveexec_b64 s[0:1], s[0:1]
	s_cbranch_execz .LBB25_425
; %bb.424:
	v_mul_lo_u32 v2, v2, s55
	v_mul_lo_u32 v3, v47, s15
	v_add3_u32 v2, v3, v50, v2
	v_ashrrev_i32_e32 v3, 31, v2
	v_lshl_add_u64 v[2:3], v[2:3], 3, s[6:7]
	global_load_dwordx2 v[2:3], v[2:3], off
	s_movk_i32 s12, 0x110
	s_waitcnt vmcnt(0)
	v_cvt_pk_f16_f32 v2, v2, v3
	v_pk_mul_f16 v2, v2, v0
	v_mad_u32_u24 v3, v81, s12, v52
	ds_write_b32 v3, v2
.LBB25_425:
	s_or_b64 exec, exec, s[0:1]
	v_lshrrev_b32_e32 v2, 2, v79
	v_add_u32_e32 v2, s11, v2
	v_cmp_le_i32_e32 vcc, s36, v2
	s_sub_i32 s12, 0, s9
	s_or_b64 s[0:1], vcc, s[4:5]
	s_and_saveexec_b64 s[16:17], s[0:1]
	s_xor_b64 s[0:1], exec, s[16:17]
; %bb.426:
	s_movk_i32 s13, 0x110
	v_mad_u32_u24 v2, v79, s13, v52
	v_mov_b32_e32 v3, 0
	ds_write_b32 v2, v3
                                        ; implicit-def: $vgpr2
                                        ; implicit-def: $vgpr79
; %bb.427:
	s_or_saveexec_b64 s[0:1], s[0:1]
	s_mul_i32 s12, s12, s10
	s_xor_b64 exec, exec, s[0:1]
	s_cbranch_execz .LBB25_429
; %bb.428:
	v_mul_lo_u32 v2, v2, s55
	v_mul_lo_u32 v3, v47, s15
	v_add3_u32 v2, v3, v50, v2
	v_ashrrev_i32_e32 v3, 31, v2
	v_lshl_add_u64 v[2:3], v[2:3], 3, s[6:7]
	global_load_dwordx2 v[2:3], v[2:3], off
	s_movk_i32 s13, 0x110
	s_waitcnt vmcnt(0)
	v_cvt_pk_f16_f32 v2, v2, v3
	v_pk_mul_f16 v2, v2, v0
	v_mad_u32_u24 v3, v79, s13, v52
	ds_write_b32 v3, v2
.LBB25_429:
	s_or_b64 exec, exec, s[0:1]
	v_lshrrev_b32_e32 v2, 2, v49
	v_add_u32_e32 v2, s11, v2
	v_cmp_le_i32_e32 vcc, s36, v2
	s_mul_hi_u32 s13, s10, s12
	s_or_b64 s[0:1], vcc, s[4:5]
	s_and_saveexec_b64 s[16:17], s[0:1]
	s_xor_b64 s[0:1], exec, s[16:17]
; %bb.430:
	s_movk_i32 s12, 0x110
	v_mad_u32_u24 v2, v49, s12, v52
	v_mov_b32_e32 v3, 0
	ds_write_b32 v2, v3
                                        ; implicit-def: $vgpr2
                                        ; implicit-def: $vgpr49
; %bb.431:
	s_or_saveexec_b64 s[0:1], s[0:1]
	s_abs_i32 s12, s2
	s_add_i32 s10, s10, s13
	s_xor_b64 exec, exec, s[0:1]
	s_cbranch_execz .LBB25_433
; %bb.432:
	v_mul_lo_u32 v2, v2, s55
	v_mul_lo_u32 v3, v47, s15
	v_add3_u32 v2, v3, v50, v2
	v_ashrrev_i32_e32 v3, 31, v2
	v_lshl_add_u64 v[2:3], v[2:3], 3, s[6:7]
	global_load_dwordx2 v[2:3], v[2:3], off
	s_movk_i32 s13, 0x110
	s_waitcnt vmcnt(0)
	v_cvt_pk_f16_f32 v2, v2, v3
	v_pk_mul_f16 v2, v2, v0
	v_mad_u32_u24 v3, v49, s13, v52
	ds_write_b32 v3, v2
.LBB25_433:
	s_or_b64 exec, exec, s[0:1]
	v_lshrrev_b32_e32 v2, 2, v1
	v_add_u32_e32 v2, s11, v2
	v_cmp_le_i32_e32 vcc, s36, v2
	s_mul_hi_u32 s10, s12, s10
	s_or_b64 s[0:1], vcc, s[4:5]
	s_and_saveexec_b64 s[4:5], s[0:1]
	s_xor_b64 s[0:1], exec, s[4:5]
; %bb.434:
	s_movk_i32 s4, 0x110
	v_mad_u32_u24 v0, v1, s4, v52
	v_mov_b32_e32 v1, 0
	ds_write_b32 v0, v1
                                        ; implicit-def: $vgpr2
                                        ; implicit-def: $vgpr47
                                        ; implicit-def: $vgpr0
                                        ; implicit-def: $vgpr1
; %bb.435:
	s_or_saveexec_b64 s[0:1], s[0:1]
	s_ashr_i32 s13, s2, 31
	s_xor_b64 exec, exec, s[0:1]
	s_cbranch_execz .LBB25_437
; %bb.436:
	v_mul_lo_u32 v2, v2, s55
	v_mul_lo_u32 v3, v47, s15
	v_add3_u32 v2, v3, v50, v2
	v_ashrrev_i32_e32 v3, 31, v2
	v_lshl_add_u64 v[2:3], v[2:3], 3, s[6:7]
	global_load_dwordx2 v[2:3], v[2:3], off
	s_movk_i32 s4, 0x110
	v_mad_u32_u24 v1, v1, s4, v52
	s_waitcnt vmcnt(0)
	v_cvt_pk_f16_f32 v2, v2, v3
	v_pk_mul_f16 v0, v2, v0
	ds_write_b32 v1, v0
.LBB25_437:
	s_or_b64 exec, exec, s[0:1]
	s_mul_hi_u32 s0, s40, s2
	s_mul_i32 s1, s40, s13
	s_add_i32 s0, s0, s1
	s_mul_i32 s1, s41, s2
	s_add_i32 s0, s0, s1
	s_mul_i32 s1, s40, s2
	v_readlane_b32 s6, v212, 1
	s_add_u32 s1, s18, s1
	v_readlane_b32 s7, v212, 2
	s_addc_u32 s4, s19, s0
	s_mul_i32 s0, s8, s7
	s_ashr_i32 s5, s0, 31
	s_add_u32 s0, s1, s0
	s_mul_i32 s10, s10, s9
	s_addc_u32 s1, s4, s5
	s_sub_i32 s4, s12, s10
	s_sub_i32 s5, s4, s9
	s_cmp_ge_u32 s4, s9
	s_cselect_b32 s4, s5, s4
	s_sub_i32 s5, s4, s9
	s_cmp_ge_u32 s4, s9
	s_cselect_b32 s4, s5, s4
	s_xor_b32 s4, s4, s13
	s_sub_i32 s4, s4, s13
	s_ashr_i32 s5, s4, 31
	s_mul_i32 s5, s48, s5
	s_mul_hi_u32 s6, s48, s4
	s_add_i32 s5, s6, s5
	s_mul_i32 s6, s49, s4
	s_add_i32 s5, s5, s6
	s_mul_i32 s4, s48, s4
	s_add_u32 s4, s22, s4
	s_mul_hi_u32 s6, s46, s2
	s_mul_i32 s7, s46, s13
	s_addc_u32 s5, s23, s5
	s_add_i32 s6, s6, s7
	s_mul_i32 s7, s47, s2
	s_add_i32 s6, s6, s7
	s_mul_i32 s2, s46, s2
	s_add_u32 s2, s20, s2
	s_mul_i32 s8, s8, s43
	s_addc_u32 s6, s21, s6
	s_ashr_i32 s7, s8, 31
	s_add_u32 s2, s2, s8
	v_lshrrev_b32_e32 v1, 3, v50
	s_addc_u32 s10, s6, s7
	v_and_b32_e32 v18, 0x1ff0, v75
	s_movk_i32 s6, 0x110
	v_and_b32_e32 v53, 15, v50
	v_and_b32_e32 v1, 0x7e, v1
	v_mad_u32_u24 v0, v18, s6, 0
	v_mul_u32_u24_e32 v81, 0x110, v53
	v_lshlrev_b32_e32 v54, 2, v1
	v_add3_u32 v0, v0, v81, v54
	v_add_u32_e32 v90, -1, v16
	v_lshrrev_b32_e32 v16, 5, v50
	s_waitcnt lgkmcnt(0)
	s_barrier
	ds_read2_b64 v[12:15], v0 offset1:4
	ds_read2_b64 v[8:11], v0 offset0:8 offset1:12
	ds_read2_b64 v[4:7], v0 offset0:16 offset1:20
	;; [unrolled: 1-line block ×3, first 2 shown]
	v_lshl_add_u32 v20, v51, 1, v16
	v_add_u32_e32 v16, s11, v20
	v_mul_hi_u32 v17, s44, v16
	v_add_u32_e32 v17, v16, v17
	v_lshrrev_b32_e32 v17, s45, v17
	v_cmp_lt_i32_e32 vcc, s82, v90
	v_mul_lo_u32 v17, v17, s36
	v_sub_u32_e32 v19, v16, v17
	s_waitcnt lgkmcnt(0)
	s_barrier
	s_cbranch_vccnz .LBB25_441
; %bb.438:
	v_lshlrev_b32_e32 v16, 1, v50
	v_and_b32_e32 v24, 62, v16
	v_lshrrev_b32_e32 v16, 4, v50
	v_lshl_add_u32 v69, v51, 2, v16
	v_lshlrev_b32_e32 v16, 2, v50
	v_mul_lo_u32 v30, s34, v69
	s_lshl_b32 s7, s34, 4
	v_and_b32_e32 v26, 60, v16
	v_mov_b32_e32 v16, 0x1100
	v_add_u32_e32 v32, s7, v30
	v_mad_u32_u24 v85, v69, s6, v16
	v_mov_b32_e32 v16, 0x2200
	v_add_u32_e32 v34, s7, v32
	v_lshlrev_b32_e32 v55, 4, v51
	v_mov_b32_e32 v25, 0
	s_ashr_i32 s35, s34, 31
	v_mad_u32_u24 v86, v69, s6, v16
	v_mov_b32_e32 v16, 0x3300
	v_add_u32_e32 v36, s7, v34
	v_and_b32_e32 v79, 16, v55
	v_mad_i64_i32 v[28:29], s[8:9], v19, s38, 0
	v_mul_u32_u24_e32 v84, 0x110, v69
	v_mov_b32_e32 v27, v25
	v_ashrrev_i32_e32 v31, 31, v30
	v_add_u32_e32 v73, 16, v69
	v_ashrrev_i32_e32 v33, 31, v32
	v_add_u32_e32 v74, 32, v69
	;; [unrolled: 2-line block ×3, first 2 shown]
	v_mad_u32_u24 v87, v69, s6, v16
	v_ashrrev_i32_e32 v37, 31, v36
	v_mul_u32_u24_e32 v88, 0x110, v79
	s_mov_b64 s[6:7], 0
	v_mov_b64_e32 v[16:17], s[34:35]
	s_branch .LBB25_442
.LBB25_439:
                                        ; implicit-def: $sgpr54_sgpr55
	s_load_dwordx2 s[52:53], s[0:1], 0x74
	v_cvt_f32_u32_e32 v1, s51
	s_branch .LBB25_2
.LBB25_440:
                                        ; implicit-def: $sgpr58_sgpr59
	s_load_dwordx2 s[44:45], s[0:1], 0x5c
	s_branch .LBB25_5
.LBB25_441:
	s_mov_b64 s[6:7], -1
                                        ; implicit-def: $vgpr24
                                        ; implicit-def: $vgpr28_vgpr29
                                        ; implicit-def: $vgpr16_vgpr17
                                        ; implicit-def: $vgpr69
                                        ; implicit-def: $vgpr84
                                        ; implicit-def: $vgpr26
                                        ; implicit-def: $vgpr30_vgpr31
                                        ; implicit-def: $vgpr73
                                        ; implicit-def: $vgpr85
                                        ; implicit-def: $vgpr32_vgpr33
                                        ; implicit-def: $vgpr74
                                        ; implicit-def: $vgpr86
                                        ; implicit-def: $vgpr34_vgpr35
                                        ; implicit-def: $vgpr76
                                        ; implicit-def: $vgpr87
                                        ; implicit-def: $vgpr36_vgpr37
                                        ; implicit-def: $vgpr55
                                        ; implicit-def: $vgpr79
                                        ; implicit-def: $vgpr88
.LBB25_442:
	v_mul_u32_u24_e32 v89, 0x90, v20
	s_andn2_b64 vcc, exec, s[6:7]
	v_lshrrev_b32_e32 v72, 2, v50
	v_and_or_b32 v80, v50, 12, v18
	v_and_b32_e32 v71, 8, v75
	v_lshlrev_b32_e32 v70, 1, v53
	s_cbranch_vccnz .LBB25_478
; %bb.443:
	v_lshlrev_b32_e32 v16, 1, v50
	v_and_b32_e32 v24, 62, v16
	v_mad_i64_i32 v[28:29], s[6:7], v19, s38, 0
	v_mov_b32_e32 v39, 0
	v_lshlrev_b32_e32 v38, 1, v24
	v_lshl_add_u64 v[16:17], v[28:29], 1, s[4:5]
	v_lshl_add_u64 v[40:41], v[16:17], 0, v[38:39]
	v_lshrrev_b32_e32 v16, 4, v50
	v_lshl_add_u32 v69, v51, 2, v16
	v_lshlrev_b32_e32 v16, 2, v50
	v_and_b32_e32 v26, 60, v16
	v_mul_u32_u24_e32 v84, 0x110, v69
	v_lshlrev_b32_e32 v16, 2, v26
	s_movk_i32 s6, 0x110
	v_add3_u32 v93, 0, v84, v16
	v_mov_b32_e32 v16, 0x1100
	v_mad_u32_u24 v85, v69, s6, v16
	v_mov_b32_e32 v16, 0x2200
	v_mad_u32_u24 v86, v69, s6, v16
	v_mov_b32_e32 v16, 0x3300
	v_lshlrev_b32_e32 v55, 4, v51
	v_mad_u32_u24 v87, v69, s6, v16
	v_and_b32_e32 v79, 16, v55
	v_and_b32_e32 v17, 0xfc, v72
	v_lshrrev_b32_e32 v19, 2, v80
	s_movk_i32 s6, 0x90
	v_add_u32_e32 v18, v17, v79
	v_mad_u32_u24 v19, v19, s6, 0
	v_add_u16_e32 v20, v17, v79
	v_lshl_add_u32 v18, v18, 1, v19
	v_lshrrev_b16_e32 v20, 1, v20
	v_add_u32_e32 v97, 64, v18
	v_add_u32_e32 v98, 0x44, v18
	v_mbcnt_hi_u32_b32 v18, -1, v77
	v_lshl_add_u32 v20, v20, 2, v19
	v_and_b32_e32 v19, 64, v18
	v_add_u32_e32 v19, 64, v19
	v_xor_b32_e32 v21, 32, v18
	v_cmp_lt_i32_e32 vcc, v21, v19
	v_mul_lo_u32 v42, s14, v69
	s_lshl_b32 s6, s14, 4
	v_cndmask_b32_e32 v21, v18, v21, vcc
	v_lshlrev_b32_e32 v99, 2, v21
	v_xor_b32_e32 v21, 16, v18
	v_mul_lo_u32 v30, s34, v69
	s_lshl_b32 s7, s34, 4
	v_cmp_lt_i32_e32 vcc, v21, v19
	v_add_u32_e32 v44, s6, v42
	v_add_u32_e32 v32, s7, v30
	v_cndmask_b32_e32 v18, v18, v21, vcc
	v_add_u32_e32 v46, s6, v44
	v_add_u32_e32 v34, s7, v32
	v_lshlrev_b32_e32 v100, 2, v18
	v_add_u32_e32 v48, s6, v46
	v_or_b32_e32 v18, 3, v72
	s_movk_i32 s6, 0x220
	v_add_u32_e32 v36, s7, v34
	v_add3_u32 v16, 0, v81, v54
	v_mul_u32_u24_e32 v88, 0x110, v79
	v_mul_u32_u24_e32 v17, 0x110, v17
	;; [unrolled: 1-line block ×3, first 2 shown]
	v_mad_u32_u24 v19, v71, s6, 0
	v_mov_b32_e32 v25, v39
	v_add3_u32 v92, 0, v89, v38
	s_ashr_i32 s35, s34, 31
	v_mov_b32_e32 v27, v39
	v_ashrrev_i32_e32 v31, 31, v30
	v_add_u32_e32 v73, 16, v69
	v_add_u32_e32 v94, 0x1100, v93
	v_ashrrev_i32_e32 v33, 31, v32
	v_add_u32_e32 v74, 32, v69
	v_add_u32_e32 v95, 0x2200, v93
	;; [unrolled: 3-line block ×3, first 2 shown]
	v_ashrrev_i32_e32 v37, 31, v36
	v_ashrrev_i32_e32 v43, 31, v42
	;; [unrolled: 1-line block ×5, first 2 shown]
	v_add3_u32 v101, v19, v17, v70
	v_add3_u32 v102, v19, v18, v70
	s_lshl_b32 s6, s82, 6
	v_mov_b32_e32 v91, 0xfeffffff
	v_lshlrev_b32_e32 v38, 2, v26
	v_add_u32_e32 v103, v16, v88
	s_mov_b32 s11, 0x3f200000
	s_mov_b32 s12, 0x3fb8aa3b
	;; [unrolled: 1-line block ×4, first 2 shown]
	v_mov_b32_e32 v104, 0x3ca908c9
	s_brev_b32 s16, -2
	v_add_u32_e32 v105, 0x4400, v20
	s_mov_b32 s17, 0xc1a00000
	s_mov_b32 s18, 0x5040100
	v_mov_b32_e32 v106, 0x7f800000
	v_mov_b32_e32 v107, v39
	;; [unrolled: 1-line block ×18, first 2 shown]
                                        ; implicit-def: $vgpr16
                                        ; implicit-def: $vgpr16
	;; [unrolled: 1-line block ×3, first 2 shown]
.LBB25_444:                             ; =>This Inner Loop Header: Depth=1
	s_mul_hi_i32 s9, s6, s34
	s_mul_i32 s8, s6, s34
	s_ashr_i32 s7, s6, 31
	s_lshl_b64 s[8:9], s[8:9], 2
	s_add_u32 s8, s0, s8
	v_lshl_add_u64 v[16:17], s[6:7], 1, v[40:41]
	s_addc_u32 s9, s1, s9
	global_load_dword v124, v[16:17], off
	v_lshl_add_u64 v[16:17], v[30:31], 2, s[8:9]
	v_lshl_add_u64 v[116:117], v[16:17], 0, v[38:39]
	;; [unrolled: 1-line block ×8, first 2 shown]
	global_load_dwordx4 v[16:19], v[116:117], off
	global_load_dwordx4 v[20:23], v[118:119], off
	global_load_dwordx4 v[108:111], v[120:121], off
	global_load_dwordx4 v[112:115], v[122:123], off
	v_add_u32_e32 v116, 0x2000, v103
	s_waitcnt vmcnt(4)
	ds_write_b32 v92, v124 offset:17408
	s_waitcnt vmcnt(3)
	ds_write_b128 v93, v[16:19]
	s_waitcnt vmcnt(2)
	ds_write_b128 v94, v[20:23]
	s_waitcnt vmcnt(1)
	ds_write_b128 v95, v[108:111]
	s_waitcnt vmcnt(0)
	ds_write_b128 v96, v[112:115]
	s_waitcnt lgkmcnt(0)
	s_barrier
	ds_read2_b64 v[16:19], v103 offset1:4
	ds_read2_b64 v[108:111], v116 offset0:64 offset1:68
	s_waitcnt lgkmcnt(1)
	v_mfma_f32_16x16x16_f16 v[20:23], v[16:17], v[12:13], 0
	s_waitcnt lgkmcnt(0)
	v_mfma_f32_16x16x16_f16 v[112:115], v[108:109], v[12:13], 0
	v_mfma_f32_16x16x16_f16 v[16:19], v[18:19], v[14:15], v[20:23]
	v_mfma_f32_16x16x16_f16 v[20:23], v[110:111], v[14:15], v[112:115]
	ds_read2_b64 v[108:111], v103 offset0:8 offset1:12
	s_nop 4
	ds_read2_b64 v[112:115], v116 offset0:72 offset1:76
	s_waitcnt lgkmcnt(1)
	v_mfma_f32_16x16x16_f16 v[16:19], v[108:109], v[8:9], v[16:19]
	s_waitcnt lgkmcnt(0)
	v_mfma_f32_16x16x16_f16 v[20:23], v[112:113], v[8:9], v[20:23]
	v_mfma_f32_16x16x16_f16 v[16:19], v[110:111], v[10:11], v[16:19]
	ds_read2_b64 v[108:111], v103 offset0:16 offset1:20
	v_mfma_f32_16x16x16_f16 v[20:23], v[114:115], v[10:11], v[20:23]
	ds_read2_b64 v[112:115], v116 offset0:80 offset1:84
	s_waitcnt lgkmcnt(1)
	v_mfma_f32_16x16x16_f16 v[16:19], v[108:109], v[4:5], v[16:19]
	s_waitcnt lgkmcnt(0)
	v_mfma_f32_16x16x16_f16 v[20:23], v[112:113], v[4:5], v[20:23]
	v_mfma_f32_16x16x16_f16 v[16:19], v[110:111], v[6:7], v[16:19]
	ds_read2_b64 v[108:111], v103 offset0:24 offset1:28
	v_mfma_f32_16x16x16_f16 v[20:23], v[114:115], v[6:7], v[20:23]
	ds_read2_b64 v[112:115], v116 offset0:88 offset1:92
	s_waitcnt lgkmcnt(0)
	s_barrier
	v_mfma_f32_16x16x16_f16 v[16:19], v[108:109], v[0:1], v[16:19]
                                        ; implicit-def: $vgpr108
	v_mfma_f32_16x16x16_f16 v[20:23], v[112:113], v[0:1], v[20:23]
	v_mfma_f32_16x16x16_f16 v[16:19], v[110:111], v[2:3], v[16:19]
	;; [unrolled: 1-line block ×3, first 2 shown]
	s_nop 6
	v_cmp_nlt_f32_e64 s[8:9], |v16|, s11
	s_and_saveexec_b64 s[20:21], s[8:9]
	s_xor_b64 s[8:9], exec, s[20:21]
	s_cbranch_execz .LBB25_446
; %bb.445:                              ;   in Loop: Header=BB25_444 Depth=1
	v_add_f32_e64 v108, |v16|, |v16|
	v_mul_f32_e32 v109, 0x3fb8aa3b, v108
	v_rndne_f32_e32 v110, v109
	v_sub_f32_e32 v111, v109, v110
	v_fma_f32 v109, v108, s12, -v109
	v_fmac_f32_e32 v109, 0x32a5705f, v108
	v_add_f32_e32 v109, v111, v109
	v_cvt_i32_f32_e32 v110, v110
	v_exp_f32_e32 v109, v109
	v_cmp_ngt_f32_e32 vcc, s13, v108
	v_ldexp_f32 v109, v109, v110
	s_nop 0
	v_cndmask_b32_e32 v109, 0, v109, vcc
	v_cmp_nlt_f32_e32 vcc, s15, v108
	s_nop 1
	v_cndmask_b32_e32 v108, v106, v109, vcc
	v_add_f32_e32 v108, 1.0, v108
	v_rcp_f32_e32 v108, v108
	s_nop 0
	v_fma_f32 v108, v108, -2.0, 1.0
.LBB25_446:                             ;   in Loop: Header=BB25_444 Depth=1
	s_andn2_saveexec_b64 s[8:9], s[8:9]
; %bb.447:                              ;   in Loop: Header=BB25_444 Depth=1
	v_mul_f32_e32 v108, v16, v16
	v_fmamk_f32 v109, v108, 0xbbbac73d, v104
	v_fmaak_f32 v109, v108, v109, 0xbd5c1c4e
	v_fmaak_f32 v109, v108, v109, 0x3e088382
	v_fmaak_f32 v109, v108, v109, 0xbeaaaa99
	v_mul_f32_e64 v109, |v16|, v109
	v_fma_f32 v108, v108, v109, |v16|
; %bb.448:                              ;   in Loop: Header=BB25_444 Depth=1
	s_or_b64 exec, exec, s[8:9]
	v_cmp_nlt_f32_e64 s[8:9], |v17|, s11
                                        ; implicit-def: $vgpr109
	s_and_saveexec_b64 s[20:21], s[8:9]
	s_xor_b64 s[8:9], exec, s[20:21]
	s_cbranch_execz .LBB25_450
; %bb.449:                              ;   in Loop: Header=BB25_444 Depth=1
	v_add_f32_e64 v109, |v17|, |v17|
	v_mul_f32_e32 v110, 0x3fb8aa3b, v109
	v_rndne_f32_e32 v111, v110
	v_sub_f32_e32 v112, v110, v111
	v_fma_f32 v110, v109, s12, -v110
	v_fmac_f32_e32 v110, 0x32a5705f, v109
	v_add_f32_e32 v110, v112, v110
	v_cvt_i32_f32_e32 v111, v111
	v_exp_f32_e32 v110, v110
	v_cmp_ngt_f32_e32 vcc, s13, v109
	v_ldexp_f32 v110, v110, v111
	s_nop 0
	v_cndmask_b32_e32 v110, 0, v110, vcc
	v_cmp_nlt_f32_e32 vcc, s15, v109
	s_nop 1
	v_cndmask_b32_e32 v109, v106, v110, vcc
	v_add_f32_e32 v109, 1.0, v109
	v_rcp_f32_e32 v109, v109
	s_nop 0
	v_fma_f32 v109, v109, -2.0, 1.0
.LBB25_450:                             ;   in Loop: Header=BB25_444 Depth=1
	s_andn2_saveexec_b64 s[8:9], s[8:9]
; %bb.451:                              ;   in Loop: Header=BB25_444 Depth=1
	v_mul_f32_e32 v109, v17, v17
	v_fmamk_f32 v110, v109, 0xbbbac73d, v104
	v_fmaak_f32 v110, v109, v110, 0xbd5c1c4e
	v_fmaak_f32 v110, v109, v110, 0x3e088382
	;; [unrolled: 1-line block ×3, first 2 shown]
	v_mul_f32_e64 v110, |v17|, v110
	v_fma_f32 v109, v109, v110, |v17|
; %bb.452:                              ;   in Loop: Header=BB25_444 Depth=1
	s_or_b64 exec, exec, s[8:9]
	v_cmp_nlt_f32_e64 s[8:9], |v18|, s11
                                        ; implicit-def: $vgpr110
	s_and_saveexec_b64 s[20:21], s[8:9]
	s_xor_b64 s[8:9], exec, s[20:21]
	s_cbranch_execz .LBB25_454
; %bb.453:                              ;   in Loop: Header=BB25_444 Depth=1
	v_add_f32_e64 v110, |v18|, |v18|
	v_mul_f32_e32 v111, 0x3fb8aa3b, v110
	v_rndne_f32_e32 v112, v111
	v_sub_f32_e32 v113, v111, v112
	v_fma_f32 v111, v110, s12, -v111
	v_fmac_f32_e32 v111, 0x32a5705f, v110
	v_add_f32_e32 v111, v113, v111
	v_cvt_i32_f32_e32 v112, v112
	v_exp_f32_e32 v111, v111
	v_cmp_ngt_f32_e32 vcc, s13, v110
	v_ldexp_f32 v111, v111, v112
	s_nop 0
	v_cndmask_b32_e32 v111, 0, v111, vcc
	v_cmp_nlt_f32_e32 vcc, s15, v110
	s_nop 1
	v_cndmask_b32_e32 v110, v106, v111, vcc
	v_add_f32_e32 v110, 1.0, v110
	v_rcp_f32_e32 v110, v110
	s_nop 0
	v_fma_f32 v110, v110, -2.0, 1.0
.LBB25_454:                             ;   in Loop: Header=BB25_444 Depth=1
	s_andn2_saveexec_b64 s[8:9], s[8:9]
; %bb.455:                              ;   in Loop: Header=BB25_444 Depth=1
	v_mul_f32_e32 v110, v18, v18
	v_fmamk_f32 v111, v110, 0xbbbac73d, v104
	v_fmaak_f32 v111, v110, v111, 0xbd5c1c4e
	v_fmaak_f32 v111, v110, v111, 0x3e088382
	;; [unrolled: 1-line block ×3, first 2 shown]
	v_mul_f32_e64 v111, |v18|, v111
	v_fma_f32 v110, v110, v111, |v18|
; %bb.456:                              ;   in Loop: Header=BB25_444 Depth=1
	s_or_b64 exec, exec, s[8:9]
	v_cmp_nlt_f32_e64 s[8:9], |v19|, s11
                                        ; implicit-def: $vgpr111
	s_and_saveexec_b64 s[20:21], s[8:9]
	s_xor_b64 s[8:9], exec, s[20:21]
	s_cbranch_execz .LBB25_458
; %bb.457:                              ;   in Loop: Header=BB25_444 Depth=1
	v_add_f32_e64 v111, |v19|, |v19|
	v_mul_f32_e32 v112, 0x3fb8aa3b, v111
	v_rndne_f32_e32 v113, v112
	v_sub_f32_e32 v114, v112, v113
	v_fma_f32 v112, v111, s12, -v112
	v_fmac_f32_e32 v112, 0x32a5705f, v111
	v_add_f32_e32 v112, v114, v112
	v_cvt_i32_f32_e32 v113, v113
	v_exp_f32_e32 v112, v112
	v_cmp_ngt_f32_e32 vcc, s13, v111
	v_ldexp_f32 v112, v112, v113
	s_nop 0
	v_cndmask_b32_e32 v112, 0, v112, vcc
	v_cmp_nlt_f32_e32 vcc, s15, v111
	s_nop 1
	v_cndmask_b32_e32 v111, v106, v112, vcc
	v_add_f32_e32 v111, 1.0, v111
	v_rcp_f32_e32 v111, v111
	s_nop 0
	v_fma_f32 v111, v111, -2.0, 1.0
.LBB25_458:                             ;   in Loop: Header=BB25_444 Depth=1
	s_andn2_saveexec_b64 s[8:9], s[8:9]
; %bb.459:                              ;   in Loop: Header=BB25_444 Depth=1
	v_mul_f32_e32 v111, v19, v19
	v_fmamk_f32 v112, v111, 0xbbbac73d, v104
	v_fmaak_f32 v112, v111, v112, 0xbd5c1c4e
	v_fmaak_f32 v112, v111, v112, 0x3e088382
	;; [unrolled: 1-line block ×3, first 2 shown]
	v_mul_f32_e64 v112, |v19|, v112
	v_fma_f32 v111, v111, v112, |v19|
; %bb.460:                              ;   in Loop: Header=BB25_444 Depth=1
	s_or_b64 exec, exec, s[8:9]
	v_cmp_nlt_f32_e64 s[8:9], |v20|, s11
                                        ; implicit-def: $vgpr112
	s_and_saveexec_b64 s[20:21], s[8:9]
	s_xor_b64 s[8:9], exec, s[20:21]
	s_cbranch_execz .LBB25_462
; %bb.461:                              ;   in Loop: Header=BB25_444 Depth=1
	v_add_f32_e64 v112, |v20|, |v20|
	v_mul_f32_e32 v113, 0x3fb8aa3b, v112
	v_rndne_f32_e32 v114, v113
	v_sub_f32_e32 v115, v113, v114
	v_fma_f32 v113, v112, s12, -v113
	v_fmac_f32_e32 v113, 0x32a5705f, v112
	v_add_f32_e32 v113, v115, v113
	v_cvt_i32_f32_e32 v114, v114
	v_exp_f32_e32 v113, v113
	v_cmp_ngt_f32_e32 vcc, s13, v112
	v_ldexp_f32 v113, v113, v114
	s_nop 0
	v_cndmask_b32_e32 v113, 0, v113, vcc
	v_cmp_nlt_f32_e32 vcc, s15, v112
	s_nop 1
	v_cndmask_b32_e32 v112, v106, v113, vcc
	v_add_f32_e32 v112, 1.0, v112
	v_rcp_f32_e32 v112, v112
	s_nop 0
	v_fma_f32 v112, v112, -2.0, 1.0
.LBB25_462:                             ;   in Loop: Header=BB25_444 Depth=1
	s_andn2_saveexec_b64 s[8:9], s[8:9]
; %bb.463:                              ;   in Loop: Header=BB25_444 Depth=1
	v_mul_f32_e32 v112, v20, v20
	v_fmamk_f32 v113, v112, 0xbbbac73d, v104
	v_fmaak_f32 v113, v112, v113, 0xbd5c1c4e
	v_fmaak_f32 v113, v112, v113, 0x3e088382
	;; [unrolled: 1-line block ×3, first 2 shown]
	v_mul_f32_e64 v113, |v20|, v113
	v_fma_f32 v112, v112, v113, |v20|
; %bb.464:                              ;   in Loop: Header=BB25_444 Depth=1
	s_or_b64 exec, exec, s[8:9]
	v_cmp_nlt_f32_e64 s[8:9], |v21|, s11
                                        ; implicit-def: $vgpr113
	s_and_saveexec_b64 s[20:21], s[8:9]
	s_xor_b64 s[8:9], exec, s[20:21]
	s_cbranch_execz .LBB25_466
; %bb.465:                              ;   in Loop: Header=BB25_444 Depth=1
	v_add_f32_e64 v113, |v21|, |v21|
	v_mul_f32_e32 v114, 0x3fb8aa3b, v113
	v_rndne_f32_e32 v115, v114
	v_sub_f32_e32 v116, v114, v115
	v_fma_f32 v114, v113, s12, -v114
	v_fmac_f32_e32 v114, 0x32a5705f, v113
	v_add_f32_e32 v114, v116, v114
	v_cvt_i32_f32_e32 v115, v115
	v_exp_f32_e32 v114, v114
	v_cmp_ngt_f32_e32 vcc, s13, v113
	v_ldexp_f32 v114, v114, v115
	s_nop 0
	v_cndmask_b32_e32 v114, 0, v114, vcc
	v_cmp_nlt_f32_e32 vcc, s15, v113
	s_nop 1
	v_cndmask_b32_e32 v113, v106, v114, vcc
	v_add_f32_e32 v113, 1.0, v113
	v_rcp_f32_e32 v113, v113
	s_nop 0
	v_fma_f32 v113, v113, -2.0, 1.0
.LBB25_466:                             ;   in Loop: Header=BB25_444 Depth=1
	s_andn2_saveexec_b64 s[8:9], s[8:9]
; %bb.467:                              ;   in Loop: Header=BB25_444 Depth=1
	v_mul_f32_e32 v113, v21, v21
	v_fmamk_f32 v114, v113, 0xbbbac73d, v104
	v_fmaak_f32 v114, v113, v114, 0xbd5c1c4e
	v_fmaak_f32 v114, v113, v114, 0x3e088382
	;; [unrolled: 1-line block ×3, first 2 shown]
	v_mul_f32_e64 v114, |v21|, v114
	v_fma_f32 v113, v113, v114, |v21|
; %bb.468:                              ;   in Loop: Header=BB25_444 Depth=1
	s_or_b64 exec, exec, s[8:9]
	v_cmp_nlt_f32_e64 s[8:9], |v22|, s11
                                        ; implicit-def: $vgpr114
	s_and_saveexec_b64 s[20:21], s[8:9]
	s_xor_b64 s[8:9], exec, s[20:21]
	s_cbranch_execz .LBB25_470
; %bb.469:                              ;   in Loop: Header=BB25_444 Depth=1
	v_add_f32_e64 v114, |v22|, |v22|
	v_mul_f32_e32 v115, 0x3fb8aa3b, v114
	v_rndne_f32_e32 v116, v115
	v_sub_f32_e32 v117, v115, v116
	v_fma_f32 v115, v114, s12, -v115
	v_fmac_f32_e32 v115, 0x32a5705f, v114
	v_add_f32_e32 v115, v117, v115
	v_cvt_i32_f32_e32 v116, v116
	v_exp_f32_e32 v115, v115
	v_cmp_ngt_f32_e32 vcc, s13, v114
	v_ldexp_f32 v115, v115, v116
	s_nop 0
	v_cndmask_b32_e32 v115, 0, v115, vcc
	v_cmp_nlt_f32_e32 vcc, s15, v114
	s_nop 1
	v_cndmask_b32_e32 v114, v106, v115, vcc
	v_add_f32_e32 v114, 1.0, v114
	v_rcp_f32_e32 v114, v114
	s_nop 0
	v_fma_f32 v114, v114, -2.0, 1.0
.LBB25_470:                             ;   in Loop: Header=BB25_444 Depth=1
	s_andn2_saveexec_b64 s[8:9], s[8:9]
; %bb.471:                              ;   in Loop: Header=BB25_444 Depth=1
	v_mul_f32_e32 v114, v22, v22
	v_fmamk_f32 v115, v114, 0xbbbac73d, v104
	v_fmaak_f32 v115, v114, v115, 0xbd5c1c4e
	v_fmaak_f32 v115, v114, v115, 0x3e088382
	;; [unrolled: 1-line block ×3, first 2 shown]
	v_mul_f32_e64 v115, |v22|, v115
	v_fma_f32 v114, v114, v115, |v22|
; %bb.472:                              ;   in Loop: Header=BB25_444 Depth=1
	s_or_b64 exec, exec, s[8:9]
	v_cmp_nlt_f32_e64 s[8:9], |v23|, s11
                                        ; implicit-def: $vgpr115
	s_and_saveexec_b64 s[20:21], s[8:9]
	s_xor_b64 s[8:9], exec, s[20:21]
	s_cbranch_execz .LBB25_474
; %bb.473:                              ;   in Loop: Header=BB25_444 Depth=1
	v_add_f32_e64 v115, |v23|, |v23|
	v_mul_f32_e32 v116, 0x3fb8aa3b, v115
	v_rndne_f32_e32 v117, v116
	v_sub_f32_e32 v118, v116, v117
	v_fma_f32 v116, v115, s12, -v116
	v_fmac_f32_e32 v116, 0x32a5705f, v115
	v_add_f32_e32 v116, v118, v116
	v_cvt_i32_f32_e32 v117, v117
	v_exp_f32_e32 v116, v116
	v_cmp_ngt_f32_e32 vcc, s13, v115
	v_ldexp_f32 v116, v116, v117
	s_nop 0
	v_cndmask_b32_e32 v116, 0, v116, vcc
	v_cmp_nlt_f32_e32 vcc, s15, v115
	s_nop 1
	v_cndmask_b32_e32 v115, v106, v116, vcc
	v_add_f32_e32 v115, 1.0, v115
	v_rcp_f32_e32 v115, v115
	s_nop 0
	v_fma_f32 v115, v115, -2.0, 1.0
.LBB25_474:                             ;   in Loop: Header=BB25_444 Depth=1
	s_andn2_saveexec_b64 s[8:9], s[8:9]
; %bb.475:                              ;   in Loop: Header=BB25_444 Depth=1
	v_mul_f32_e32 v115, v23, v23
	v_fmamk_f32 v116, v115, 0xbbbac73d, v104
	v_fmaak_f32 v116, v115, v116, 0xbd5c1c4e
	v_fmaak_f32 v116, v115, v116, 0x3e088382
	;; [unrolled: 1-line block ×3, first 2 shown]
	v_mul_f32_e64 v116, |v23|, v116
	v_fma_f32 v115, v115, v116, |v23|
; %bb.476:                              ;   in Loop: Header=BB25_444 Depth=1
	s_or_b64 exec, exec, s[8:9]
	v_bfi_b32 v108, s16, v108, v16
	v_bfi_b32 v109, s16, v109, v17
	ds_read2_b32 v[16:17], v105 offset1:1
	v_bfi_b32 v19, s16, v111, v19
	v_bfi_b32 v18, s16, v110, v18
	ds_read_b32 v110, v97 offset:17408
	ds_read_b32 v111, v98 offset:17408
	v_bfi_b32 v20, s16, v112, v20
	v_bfi_b32 v21, s16, v113, v21
	s_waitcnt lgkmcnt(2)
	v_fma_mix_f32 v108, s3, v108, v16 op_sel_hi:[0,0,1]
	v_fma_mix_f32 v16, s3, v109, v16 op_sel:[0,0,1] op_sel_hi:[0,0,1]
	v_bfi_b32 v22, s16, v114, v22
	v_fma_mix_f32 v18, s3, v18, v17 op_sel_hi:[0,0,1]
	v_fma_mix_f32 v17, s3, v19, v17 op_sel:[0,0,1] op_sel_hi:[0,0,1]
	s_waitcnt lgkmcnt(1)
	v_fma_mix_f32 v19, s3, v20, v110 op_sel_hi:[0,0,1]
	v_fma_mix_f32 v126, s3, v21, v110 op_sel:[0,0,1] op_sel_hi:[0,0,1]
	v_add_f32_e32 v20, 0x40051340, v108
	v_add_f32_e32 v21, 0x40051340, v16
	v_bfi_b32 v23, s16, v115, v23
	s_waitcnt lgkmcnt(0)
	v_fma_mix_f32 v127, s3, v22, v111 op_sel_hi:[0,0,1]
	v_max3_f32 v20, v91, v20, v21
	v_add_f32_e32 v21, 0x40051340, v18
	v_add_f32_e32 v22, 0x40051340, v17
	v_fma_mix_f32 v128, s3, v23, v111 op_sel:[0,0,1] op_sel_hi:[0,0,1]
	v_max3_f32 v20, v20, v21, v22
	v_add_f32_e32 v21, 0x40051340, v19
	v_add_f32_e32 v22, 0x40051340, v126
	v_max3_f32 v20, v20, v21, v22
	v_add_f32_e32 v21, 0x40051340, v127
	v_add_f32_e32 v22, 0x40051340, v128
	v_max3_f32 v20, v20, v21, v22
	ds_bpermute_b32 v21, v99, v20
	s_mul_hi_i32 s9, s6, s14
	s_mul_i32 s8, s6, s14
	s_lshl_b64 s[8:9], s[8:9], 2
	s_add_u32 s8, s2, s8
	s_waitcnt lgkmcnt(0)
	v_max_f32_e32 v21, v21, v21
	v_max_f32_e32 v20, v20, v21
	ds_bpermute_b32 v21, v100, v20
	s_addc_u32 s9, s10, s9
	s_add_i32 s82, s82, 1
	s_add_i32 s6, s6, 64
	s_waitcnt lgkmcnt(0)
	v_max_f32_e32 v21, v21, v21
	v_max_f32_e32 v20, v20, v21
	v_sub_f32_e32 v21, v108, v20
	v_mul_f32_e32 v22, 0x3fb8aa3b, v21
	v_fma_f32 v23, v21, s12, -v22
	v_rndne_f32_e32 v108, v22
	v_fmac_f32_e32 v23, 0x32a5705f, v21
	v_sub_f32_e32 v22, v22, v108
	v_add_f32_e32 v22, v22, v23
	v_exp_f32_e32 v22, v22
	v_cvt_i32_f32_e32 v23, v108
	v_sub_f32_e32 v16, v16, v20
	v_cmp_ngt_f32_e32 vcc, s13, v21
	v_sub_f32_e32 v18, v18, v20
	v_ldexp_f32 v22, v22, v23
	v_mul_f32_e32 v23, 0x3fb8aa3b, v16
	v_fma_f32 v108, v16, s12, -v23
	v_rndne_f32_e32 v109, v23
	v_fmac_f32_e32 v108, 0x32a5705f, v16
	v_sub_f32_e32 v23, v23, v109
	v_add_f32_e32 v23, v23, v108
	v_exp_f32_e32 v23, v23
	v_cvt_i32_f32_e32 v108, v109
	v_cndmask_b32_e32 v22, 0, v22, vcc
	v_cmp_nlt_f32_e32 vcc, s15, v21
	v_sub_f32_e32 v129, v17, v20
	v_mul_f32_e32 v17, 0x3fb8aa3b, v129
	v_cndmask_b32_e32 v21, v106, v22, vcc
	v_ldexp_f32 v22, v23, v108
	v_mul_f32_e32 v23, 0x3fb8aa3b, v18
	v_fma_f32 v108, v18, s12, -v23
	v_rndne_f32_e32 v109, v23
	v_fmac_f32_e32 v108, 0x32a5705f, v18
	v_sub_f32_e32 v23, v23, v109
	v_add_f32_e32 v23, v23, v108
	v_exp_f32_e32 v23, v23
	v_cvt_i32_f32_e32 v108, v109
	v_cmp_ngt_f32_e32 vcc, s13, v16
	v_sub_f32_e32 v131, v19, v20
	v_mul_f32_e32 v132, 0x3fb8aa3b, v131
	v_cndmask_b32_e32 v22, 0, v22, vcc
	v_cmp_nlt_f32_e32 vcc, s15, v16
	v_ldexp_f32 v16, v23, v108
	v_fma_f32 v23, v129, s12, -v17
	v_rndne_f32_e32 v108, v17
	v_fmac_f32_e32 v23, 0x32a5705f, v129
	v_sub_f32_e32 v17, v17, v108
	v_add_f32_e32 v17, v17, v23
	v_exp_f32_e32 v17, v17
	v_cvt_i32_f32_e32 v108, v108
	v_cndmask_b32_e32 v22, v106, v22, vcc
	v_cmp_ngt_f32_e32 vcc, s13, v18
	v_fma_f32 v133, v131, s12, -v132
	v_ldexp_f32 v130, v17, v108
	v_cndmask_b32_e32 v16, 0, v16, vcc
	v_cmp_nlt_f32_e32 vcc, s15, v18
	v_fmac_f32_e32 v133, 0x32a5705f, v131
	s_nop 0
	v_cndmask_b32_e32 v23, v106, v16, vcc
	v_lshl_add_u64 v[16:17], v[42:43], 2, s[8:9]
	v_lshl_add_u64 v[108:109], v[16:17], 0, v[38:39]
	;; [unrolled: 1-line block ×8, first 2 shown]
	global_load_dwordx4 v[16:19], v[108:109], off
	global_load_dwordx4 v[114:117], v[110:111], off
                                        ; kill: killed $vgpr108_vgpr109
                                        ; kill: killed $vgpr110_vgpr111
	global_load_dwordx4 v[118:121], v[112:113], off
	s_nop 0
	global_load_dwordx4 v[122:125], v[122:123], off
	v_rndne_f32_e32 v108, v132
	v_sub_f32_e32 v109, v132, v108
	v_add_f32_e32 v109, v109, v133
	v_exp_f32_e32 v109, v109
	v_cvt_i32_f32_e32 v110, v108
	v_cmp_ngt_f32_e32 vcc, s13, v129
	s_waitcnt vmcnt(3)
	ds_write_b128 v93, v[16:19]
	s_waitcnt vmcnt(2)
	ds_write_b128 v94, v[114:117]
	;; [unrolled: 2-line block ×4, first 2 shown]
	v_ldexp_f32 v109, v109, v110
	v_sub_f32_e32 v110, v126, v20
	v_mul_f32_e32 v111, 0x3fb8aa3b, v110
	v_fma_f32 v112, v110, s12, -v111
	v_rndne_f32_e32 v113, v111
	v_fmac_f32_e32 v112, 0x32a5705f, v110
	v_sub_f32_e32 v111, v111, v113
	v_add_f32_e32 v111, v111, v112
	v_exp_f32_e32 v111, v111
	v_cvt_i32_f32_e32 v112, v113
	v_cndmask_b32_e32 v108, 0, v130, vcc
	v_cmp_nlt_f32_e32 vcc, s15, v129
	s_waitcnt lgkmcnt(0)
	v_ldexp_f32 v111, v111, v112
	v_sub_f32_e32 v112, v127, v20
	v_mul_f32_e32 v113, 0x3fb8aa3b, v112
	v_fma_f32 v126, v112, s12, -v113
	v_rndne_f32_e32 v127, v113
	v_fmac_f32_e32 v126, 0x32a5705f, v112
	v_sub_f32_e32 v113, v113, v127
	v_add_f32_e32 v113, v113, v126
	v_cndmask_b32_e32 v108, v106, v108, vcc
	v_cmp_ngt_f32_e32 vcc, s13, v131
	v_exp_f32_e32 v113, v113
	v_cvt_i32_f32_e32 v126, v127
	v_cndmask_b32_e32 v109, 0, v109, vcc
	v_cmp_nlt_f32_e32 vcc, s15, v131
	s_barrier
	s_nop 0
	v_cndmask_b32_e32 v109, v106, v109, vcc
	v_cmp_ngt_f32_e32 vcc, s13, v110
	v_cvt_pk_f16_f32 v131, v23, v108
	s_nop 0
	v_cndmask_b32_e32 v111, 0, v111, vcc
	v_cmp_nlt_f32_e32 vcc, s15, v110
	s_nop 1
	v_cndmask_b32_e32 v110, v106, v111, vcc
	v_ldexp_f32 v111, v113, v126
	v_sub_f32_e32 v113, v128, v20
	v_mul_f32_e32 v126, 0x3fb8aa3b, v113
	v_fma_f32 v127, v113, s12, -v126
	v_rndne_f32_e32 v128, v126
	v_fmac_f32_e32 v127, 0x32a5705f, v113
	v_sub_f32_e32 v126, v126, v128
	v_add_f32_e32 v126, v126, v127
	v_cvt_i32_f32_e32 v127, v128
	v_sub_f32_e32 v128, v91, v20
	v_mul_f32_e32 v91, 0x3fb8aa3b, v128
	v_fma_f32 v129, v128, s12, -v91
	v_rndne_f32_e32 v130, v91
	v_fmac_f32_e32 v129, 0x32a5705f, v128
	v_sub_f32_e32 v91, v91, v130
	v_add_f32_e32 v91, v91, v129
	v_exp_f32_e32 v129, v91
	v_cvt_i32_f32_e32 v130, v130
	v_cmp_ngt_f32_e32 vcc, s13, v112
	v_exp_f32_e32 v126, v126
	v_cvt_pk_f16_f32 v132, v109, v110
	v_cndmask_b32_e32 v111, 0, v111, vcc
	v_cmp_nlt_f32_e32 vcc, s15, v112
	v_ldexp_f32 v112, v126, v127
	s_nop 0
	v_cndmask_b32_e32 v91, v106, v111, vcc
	v_ldexp_f32 v111, v129, v130
	v_cmp_ngt_f32_e32 vcc, s13, v128
	v_cvt_pk_f16_f32 v130, v21, v22
	v_add_f32_e32 v21, v21, v22
	v_cndmask_b32_e32 v111, 0, v111, vcc
	v_cmp_nlt_f32_e32 vcc, s15, v128
	v_add_f32_e32 v21, v23, v21
	v_add_f32_e32 v21, v108, v21
	v_cndmask_b32_e32 v111, v106, v111, vcc
	v_cmp_le_f32_e32 vcc, s17, v128
	v_add_f32_e32 v21, v109, v21
	v_add_f32_e32 v21, v110, v21
	v_cndmask_b32_e32 v111, 0, v111, vcc
	v_cvt_f16_f32_e32 v126, v111
	v_cmp_ngt_f32_e32 vcc, s13, v113
	v_add_f32_e32 v21, v91, v21
	s_nop 0
	v_cndmask_b32_e32 v112, 0, v112, vcc
	v_cmp_nlt_f32_e32 vcc, s15, v113
	v_mul_u32_u24_e32 v113, 0x10001, v126
	v_pk_mul_f16 v83, v83, v113
	v_pk_mul_f16 v126, v82, v113
	ds_read_u16 v19, v101 offset:544
	ds_read_u16 v117, v101 offset:576
	ds_read_u16 v121, v101 offset:608
	ds_read_u16 v122, v101 offset:640
	ds_read_u16 v125, v101 offset:672
	ds_read_u16 v127, v101 offset:704
	ds_read_u16 v129, v101 offset:736
	ds_read_u16 v134, v101 offset:768
	ds_read_u16 v82, v102
	ds_read_u16 v118, v102 offset:32
	ds_read_u16 v123, v102 offset:64
	;; [unrolled: 1-line block ×7, first 2 shown]
	v_cvt_f32_f16_e32 v16, v83
	v_cvt_f32_f16_sdwa v17, v83 dst_sel:DWORD dst_unused:UNUSED_PAD src0_sel:WORD_1
	s_waitcnt lgkmcnt(7)
	v_perm_b32 v83, v82, v19, s18
	ds_read_u16 v19, v101
	ds_read_u16 v119, v101 offset:32
	ds_read_u16 v138, v101 offset:64
	;; [unrolled: 1-line block ×15, first 2 shown]
	s_waitcnt lgkmcnt(7)
	v_perm_b32 v82, v82, v19, s18
	v_cvt_f32_f16_e32 v18, v126
	v_cvt_f32_f16_sdwa v19, v126 dst_sel:DWORD dst_unused:UNUSED_PAD src0_sel:WORD_1
	v_cndmask_b32_e32 v112, v106, v112, vcc
	v_cvt_pk_f16_f32 v133, v91, v112
	v_mfma_f32_16x16x16_f16 v[16:19], v[82:83], v[130:131], v[16:19]
	ds_read_u16 v82, v101 offset:9248
	ds_read_u16 v126, v101 offset:9280
	;; [unrolled: 1-line block ×16, first 2 shown]
	s_waitcnt lgkmcnt(7)
	v_perm_b32 v83, v83, v82, s18
	ds_read_u16 v82, v101 offset:8704
	ds_read_u16 v163, v101 offset:8736
	;; [unrolled: 1-line block ×16, first 2 shown]
	v_cvt_f16_f32_e32 v16, v16
	v_cvt_f16_f32_e32 v17, v17
	;; [unrolled: 1-line block ×4, first 2 shown]
	s_waitcnt lgkmcnt(7)
	v_perm_b32 v82, v114, v82, s18
	v_cvt_f32_f16_e32 v16, v16
	v_cvt_f32_f16_e32 v17, v17
	v_cvt_f32_f16_e32 v18, v18
	v_cvt_f32_f16_e32 v19, v19
	v_pk_mul_f16 v78, v78, v113
	v_pk_mul_f16 v68, v68, v113
	v_mfma_f32_16x16x16_f16 v[16:19], v[82:83], v[132:133], v[16:19]
	v_perm_b32 v83, v118, v117, s18
	v_perm_b32 v82, v120, v119, s18
	v_cvt_f32_f16_e32 v114, v78
	v_cvt_f32_f16_sdwa v115, v78 dst_sel:DWORD dst_unused:UNUSED_PAD src0_sel:WORD_1
	v_cvt_f32_f16_e32 v116, v68
	v_cvt_f32_f16_sdwa v117, v68 dst_sel:DWORD dst_unused:UNUSED_PAD src0_sel:WORD_1
	v_pk_mul_f16 v67, v67, v113
	v_pk_mul_f16 v63, v63, v113
	v_mfma_f32_16x16x16_f16 v[114:117], v[82:83], v[130:131], v[114:117]
	v_cvt_f32_f16_e32 v118, v67
	v_cvt_f32_f16_sdwa v119, v67 dst_sel:DWORD dst_unused:UNUSED_PAD src0_sel:WORD_1
	v_perm_b32 v67, v123, v121, s18
	v_perm_b32 v83, v156, v126, s18
	s_nop 3
	v_cvt_f16_f32_e32 v68, v114
	v_cvt_f16_f32_e32 v78, v115
	;; [unrolled: 1-line block ×4, first 2 shown]
	v_cvt_f32_f16_e32 v114, v68
	v_pk_mul_f16 v68, v66, v113
	v_perm_b32 v66, v144, v138, s18
	v_cvt_f32_f16_e32 v120, v68
	v_cvt_f32_f16_sdwa v121, v68 dst_sel:DWORD dst_unused:UNUSED_PAD src0_sel:WORD_1
	v_cvt_f32_f16_e32 v115, v78
	v_cvt_f32_f16_e32 v116, v82
	v_mfma_f32_16x16x16_f16 v[118:121], v[66:67], v[130:131], v[118:121]
	s_waitcnt lgkmcnt(6)
	v_perm_b32 v82, v170, v163, s18
	v_cvt_f32_f16_e32 v117, v117
	v_cvt_f32_f16_sdwa v123, v63 dst_sel:DWORD dst_unused:UNUSED_PAD src0_sel:WORD_1
	v_pk_mul_f16 v65, v65, v113
	s_nop 2
	v_cvt_f16_f32_e32 v66, v118
	v_cvt_f16_f32_e32 v67, v119
	;; [unrolled: 1-line block ×4, first 2 shown]
	v_cvt_f32_f16_e32 v118, v66
	v_cvt_f32_f16_e32 v119, v67
	v_perm_b32 v67, v157, v150, s18
	s_waitcnt lgkmcnt(5)
	v_perm_b32 v66, v171, v164, s18
	v_cvt_f32_f16_e32 v120, v68
	v_cvt_f32_f16_e32 v121, v78
	v_pk_mul_f16 v68, v64, v113
	v_mfma_f32_16x16x16_f16 v[114:117], v[82:83], v[132:133], v[114:117]
	v_perm_b32 v83, v124, v122, s18
	v_cvt_f32_f16_e32 v122, v63
	v_perm_b32 v63, v128, v125, s18
	v_mfma_f32_16x16x16_f16 v[118:121], v[66:67], v[132:133], v[118:121]
	v_cvt_f32_f16_e32 v66, v68
	v_cvt_f32_f16_sdwa v67, v68 dst_sel:DWORD dst_unused:UNUSED_PAD src0_sel:WORD_1
	v_pk_mul_f16 v68, v62, v113
	v_perm_b32 v62, v146, v140, s18
	v_perm_b32 v82, v145, v139, s18
	v_cvt_f32_f16_e32 v124, v68
	v_cvt_f32_f16_sdwa v125, v68 dst_sel:DWORD dst_unused:UNUSED_PAD src0_sel:WORD_1
	v_cvt_f32_f16_e32 v64, v65
	v_cvt_f32_f16_sdwa v65, v65 dst_sel:DWORD dst_unused:UNUSED_PAD src0_sel:WORD_1
	v_mfma_f32_16x16x16_f16 v[122:125], v[62:63], v[130:131], v[122:125]
	v_pk_mul_f16 v59, v59, v113
	v_perm_b32 v23, v137, v134, s18
	v_cvt_f32_f16_e32 v126, v59
	v_mfma_f32_16x16x16_f16 v[64:67], v[82:83], v[130:131], v[64:67]
	s_nop 3
	v_cvt_f16_f32_e32 v62, v122
	v_cvt_f16_f32_e32 v63, v123
	;; [unrolled: 1-line block ×4, first 2 shown]
	v_perm_b32 v83, v158, v151, s18
	v_cvt_f16_f32_e32 v64, v64
	v_cvt_f16_f32_e32 v65, v65
	;; [unrolled: 1-line block ×4, first 2 shown]
	s_waitcnt lgkmcnt(4)
	v_perm_b32 v82, v172, v165, s18
	v_cvt_f32_f16_e32 v122, v62
	v_cvt_f32_f16_e32 v123, v63
	v_perm_b32 v63, v159, v152, s18
	s_waitcnt lgkmcnt(3)
	v_perm_b32 v62, v173, v166, s18
	v_cvt_f32_f16_e32 v64, v64
	v_cvt_f32_f16_e32 v65, v65
	;; [unrolled: 1-line block ×6, first 2 shown]
	v_pk_mul_f16 v68, v60, v113
	v_mfma_f32_16x16x16_f16 v[64:67], v[82:83], v[132:133], v[64:67]
	v_perm_b32 v83, v135, v127, s18
	v_cvt_f32_f16_sdwa v127, v59 dst_sel:DWORD dst_unused:UNUSED_PAD src0_sel:WORD_1
	v_perm_b32 v59, v136, v129, s18
	v_mfma_f32_16x16x16_f16 v[122:125], v[62:63], v[132:133], v[122:125]
	v_cvt_f32_f16_e32 v62, v68
	v_cvt_f32_f16_sdwa v63, v68 dst_sel:DWORD dst_unused:UNUSED_PAD src0_sel:WORD_1
	v_pk_mul_f16 v68, v58, v113
	v_perm_b32 v58, v148, v142, s18
	v_cvt_f32_f16_e32 v128, v68
	v_cvt_f32_f16_sdwa v129, v68 dst_sel:DWORD dst_unused:UNUSED_PAD src0_sel:WORD_1
	v_pk_mul_f16 v61, v61, v113
	v_perm_b32 v82, v147, v141, s18
	v_mfma_f32_16x16x16_f16 v[126:129], v[58:59], v[130:131], v[126:129]
	v_cvt_f32_f16_e32 v60, v61
	v_cvt_f32_f16_sdwa v61, v61 dst_sel:DWORD dst_unused:UNUSED_PAD src0_sel:WORD_1
	v_add_f32_e32 v91, v112, v21
	v_cmp_lt_i32_e32 vcc, s82, v90
	s_nop 3
	v_cvt_f16_f32_e32 v58, v127
	v_cvt_f16_f32_e32 v59, v128
	;; [unrolled: 1-line block ×4, first 2 shown]
	v_cvt_f32_f16_e32 v127, v58
	v_cvt_f32_f16_e32 v128, v59
	v_perm_b32 v59, v161, v154, s18
	s_waitcnt lgkmcnt(1)
	v_perm_b32 v58, v175, v168, s18
	v_cvt_f32_f16_e32 v126, v22
	v_cvt_f32_f16_e32 v129, v68
	v_pk_mul_f16 v22, v57, v113
	v_pk_mul_f16 v68, v56, v113
	v_cvt_f32_f16_e32 v56, v22
	v_cvt_f32_f16_sdwa v57, v22 dst_sel:DWORD dst_unused:UNUSED_PAD src0_sel:WORD_1
	v_perm_b32 v22, v149, v143, s18
	v_mfma_f32_16x16x16_f16 v[126:129], v[58:59], v[132:133], v[126:129]
	v_cvt_f32_f16_e32 v58, v68
	v_cvt_f32_f16_sdwa v59, v68 dst_sel:DWORD dst_unused:UNUSED_PAD src0_sel:WORD_1
	v_fmac_f32_e32 v91, v107, v111
	v_mfma_f32_16x16x16_f16 v[60:63], v[82:83], v[130:131], v[60:63]
	v_perm_b32 v83, v160, v153, s18
	v_perm_b32 v82, v174, v167, s18
	v_cvt_pk_f16_f32 v65, v64, v65
	v_mfma_f32_16x16x16_f16 v[56:59], v[22:23], v[130:131], v[56:59]
	v_cvt_pk_f16_f32 v64, v66, v67
	s_nop 2
	v_cvt_f16_f32_e32 v60, v60
	v_cvt_f16_f32_e32 v61, v61
	;; [unrolled: 1-line block ×8, first 2 shown]
	v_cvt_f32_f16_e32 v56, v22
	v_cvt_f32_f16_e32 v57, v23
	v_perm_b32 v23, v162, v155, s18
	s_waitcnt lgkmcnt(0)
	v_perm_b32 v22, v176, v169, s18
	v_cvt_f32_f16_e32 v60, v60
	v_cvt_f32_f16_e32 v61, v61
	;; [unrolled: 1-line block ×6, first 2 shown]
	v_mfma_f32_16x16x16_f16 v[60:63], v[82:83], v[132:133], v[60:63]
	v_cvt_pk_f16_f32 v67, v118, v119
	v_cvt_pk_f16_f32 v66, v120, v121
	;; [unrolled: 1-line block ×3, first 2 shown]
	v_mfma_f32_16x16x16_f16 v[56:59], v[22:23], v[132:133], v[56:59]
	s_nop 3
	v_cvt_pk_f16_f32 v61, v60, v61
	v_cvt_pk_f16_f32 v60, v62, v63
	;; [unrolled: 1-line block ×11, first 2 shown]
	s_barrier
	s_cbranch_vccz .LBB25_479
; %bb.477:                              ;   in Loop: Header=BB25_444 Depth=1
	v_mov_b32_e32 v107, v91
	v_mov_b32_e32 v91, v20
	s_branch .LBB25_444
.LBB25_478:
	v_mov_b32_e32 v20, 0xfeffffff
	v_mov_b32_e32 v91, 0
	;; [unrolled: 1-line block ×18, first 2 shown]
	s_branch .LBB25_480
.LBB25_479:
	v_mov_b64_e32 v[16:17], s[34:35]
.LBB25_480:
	s_lshl_b32 s6, s82, 6
	s_ashr_i32 s7, s6, 31
	s_lshl_b64 s[8:9], s[6:7], 1
	s_add_u32 s4, s4, s8
	s_addc_u32 s5, s5, s9
	v_lshl_add_u64 v[18:19], v[28:29], 1, s[4:5]
	v_lshl_add_u64 v[18:19], v[24:25], 1, v[18:19]
	global_load_dword v25, v[18:19], off
	v_mul_lo_u32 v18, v16, s7
	v_mul_hi_u32 v19, v16, s6
	v_add_u32_e32 v18, v19, v18
	v_mul_lo_u32 v17, v17, s6
	v_add_u32_e32 v17, v18, v17
	v_mul_lo_u32 v16, v16, s6
	v_lshlrev_b64 v[16:17], 2, v[16:17]
	v_lshl_add_u64 v[18:19], s[0:1], 0, v[16:17]
	v_lshl_add_u64 v[22:23], v[30:31], 2, v[18:19]
	v_lshlrev_b64 v[16:17], 2, v[26:27]
	v_lshl_add_u64 v[28:29], v[32:33], 2, v[18:19]
	v_lshl_add_u64 v[22:23], v[22:23], 0, v[16:17]
	;; [unrolled: 1-line block ×7, first 2 shown]
	global_load_dwordx4 v[28:31], v[22:23], off
	global_load_dwordx4 v[32:35], v[44:45], off
	;; [unrolled: 1-line block ×4, first 2 shown]
	v_lshlrev_b32_e32 v18, 1, v24
	v_add_u32_e32 v23, 0, v81
	v_lshlrev_b32_e32 v22, 2, v26
	v_add3_u32 v24, 0, v89, v18
	v_add3_u32 v23, v23, v54, v88
	;; [unrolled: 1-line block ×6, first 2 shown]
	s_mov_b32 s0, 0x3f200000
	s_waitcnt vmcnt(4)
	ds_write_b32 v24, v25 offset:17408
	s_waitcnt vmcnt(3)
	ds_write_b128 v18, v[28:31]
	s_waitcnt vmcnt(2)
	ds_write_b128 v19, v[32:35]
	s_waitcnt vmcnt(1)
	ds_write_b128 v21, v[36:39]
	s_waitcnt vmcnt(0)
	ds_write_b128 v22, v[40:43]
	v_add_u32_e32 v40, 0x2000, v23
	s_waitcnt lgkmcnt(0)
	s_barrier
	ds_read2_b64 v[24:27], v23 offset1:4
	ds_read2_b64 v[32:35], v40 offset0:64 offset1:68
	s_waitcnt lgkmcnt(1)
	v_mfma_f32_16x16x16_f16 v[28:31], v[24:25], v[12:13], 0
	s_waitcnt lgkmcnt(0)
	v_mfma_f32_16x16x16_f16 v[36:39], v[32:33], v[12:13], 0
	v_mfma_f32_16x16x16_f16 v[24:27], v[26:27], v[14:15], v[28:31]
	;; [unrolled: 1-line block ×3, first 2 shown]
	s_nop 3
	ds_read2_b64 v[28:31], v23 offset0:8 offset1:12
	ds_read2_b64 v[32:35], v40 offset0:72 offset1:76
	s_waitcnt lgkmcnt(1)
	v_mfma_f32_16x16x16_f16 v[24:27], v[28:29], v[8:9], v[24:27]
	s_waitcnt lgkmcnt(0)
	v_mfma_f32_16x16x16_f16 v[12:15], v[32:33], v[8:9], v[12:15]
	v_mfma_f32_16x16x16_f16 v[24:27], v[30:31], v[10:11], v[24:27]
	ds_read2_b64 v[28:31], v40 offset0:80 offset1:84
	v_mfma_f32_16x16x16_f16 v[8:11], v[34:35], v[10:11], v[12:15]
	s_nop 4
	ds_read2_b64 v[12:15], v23 offset0:16 offset1:20
	s_waitcnt lgkmcnt(0)
	v_mfma_f32_16x16x16_f16 v[24:27], v[12:13], v[4:5], v[24:27]
	v_mfma_f32_16x16x16_f16 v[8:11], v[28:29], v[4:5], v[8:11]
	;; [unrolled: 1-line block ×4, first 2 shown]
	s_nop 4
	ds_read2_b64 v[24:27], v40 offset0:88 offset1:92
	ds_read2_b64 v[8:11], v23 offset0:24 offset1:28
	s_waitcnt lgkmcnt(0)
	v_mfma_f32_16x16x16_f16 v[12:15], v[8:9], v[0:1], v[12:15]
	s_barrier
	v_mfma_f32_16x16x16_f16 v[28:31], v[24:25], v[0:1], v[4:7]
                                        ; implicit-def: $vgpr8
	v_mfma_f32_16x16x16_f16 v[4:7], v[10:11], v[2:3], v[12:15]
	v_mfma_f32_16x16x16_f16 v[0:3], v[26:27], v[2:3], v[28:31]
	s_nop 6
	v_cmp_nlt_f32_e64 s[0:1], |v4|, s0
	s_and_saveexec_b64 s[4:5], s[0:1]
	s_xor_b64 s[0:1], exec, s[4:5]
	s_cbranch_execz .LBB25_482
; %bb.481:
	v_add_f32_e64 v8, |v4|, |v4|
	v_mul_f32_e32 v9, 0x3fb8aa3b, v8
	s_mov_b32 s4, 0x3fb8aa3b
	v_rndne_f32_e32 v10, v9
	v_sub_f32_e32 v11, v9, v10
	v_fma_f32 v9, v8, s4, -v9
	v_fmamk_f32 v9, v8, 0x32a5705f, v9
	v_add_f32_e32 v9, v11, v9
	v_exp_f32_e32 v9, v9
	v_cvt_i32_f32_e32 v10, v10
	s_mov_b32 s4, 0xc2ce8ed0
	v_cmp_ngt_f32_e32 vcc, s4, v8
	s_mov_b32 s4, 0x42b17218
	v_ldexp_f32 v9, v9, v10
	v_cndmask_b32_e32 v9, 0, v9, vcc
	v_mov_b32_e32 v10, 0x7f800000
	v_cmp_nlt_f32_e32 vcc, s4, v8
	s_nop 1
	v_cndmask_b32_e32 v8, v10, v9, vcc
	v_add_f32_e32 v8, 1.0, v8
	v_rcp_f32_e32 v8, v8
	s_nop 0
	v_fma_f32 v8, v8, -2.0, 1.0
.LBB25_482:
	s_andn2_saveexec_b64 s[0:1], s[0:1]
; %bb.483:
	v_mul_f32_e32 v8, v4, v4
	v_mov_b32_e32 v9, 0x3ca908c9
	v_fmac_f32_e32 v9, 0xbbbac73d, v8
	v_fmaak_f32 v9, v8, v9, 0xbd5c1c4e
	v_fmaak_f32 v9, v8, v9, 0x3e088382
	;; [unrolled: 1-line block ×3, first 2 shown]
	v_mul_f32_e64 v9, |v4|, v9
	v_fma_f32 v8, v8, v9, |v4|
; %bb.484:
	s_or_b64 exec, exec, s[0:1]
	s_mov_b32 s0, 0x3f200000
	v_cmp_nlt_f32_e64 s[0:1], |v5|, s0
                                        ; implicit-def: $vgpr9
	s_and_saveexec_b64 s[4:5], s[0:1]
	s_xor_b64 s[0:1], exec, s[4:5]
	s_cbranch_execz .LBB25_486
; %bb.485:
	v_add_f32_e64 v9, |v5|, |v5|
	v_mul_f32_e32 v10, 0x3fb8aa3b, v9
	s_mov_b32 s4, 0x3fb8aa3b
	v_rndne_f32_e32 v11, v10
	v_sub_f32_e32 v12, v10, v11
	v_fma_f32 v10, v9, s4, -v10
	v_fmamk_f32 v10, v9, 0x32a5705f, v10
	v_add_f32_e32 v10, v12, v10
	v_exp_f32_e32 v10, v10
	v_cvt_i32_f32_e32 v11, v11
	s_mov_b32 s4, 0xc2ce8ed0
	v_cmp_ngt_f32_e32 vcc, s4, v9
	s_mov_b32 s4, 0x42b17218
	v_ldexp_f32 v10, v10, v11
	v_cndmask_b32_e32 v10, 0, v10, vcc
	v_mov_b32_e32 v11, 0x7f800000
	v_cmp_nlt_f32_e32 vcc, s4, v9
	s_nop 1
	v_cndmask_b32_e32 v9, v11, v10, vcc
	v_add_f32_e32 v9, 1.0, v9
	v_rcp_f32_e32 v9, v9
	s_nop 0
	v_fma_f32 v9, v9, -2.0, 1.0
.LBB25_486:
	s_andn2_saveexec_b64 s[0:1], s[0:1]
; %bb.487:
	v_mul_f32_e32 v9, v5, v5
	v_mov_b32_e32 v10, 0x3ca908c9
	v_fmac_f32_e32 v10, 0xbbbac73d, v9
	v_fmaak_f32 v10, v9, v10, 0xbd5c1c4e
	v_fmaak_f32 v10, v9, v10, 0x3e088382
	;; [unrolled: 1-line block ×3, first 2 shown]
	v_mul_f32_e64 v10, |v5|, v10
	v_fma_f32 v9, v9, v10, |v5|
; %bb.488:
	s_or_b64 exec, exec, s[0:1]
	s_mov_b32 s0, 0x3f200000
	v_cmp_nlt_f32_e64 s[0:1], |v6|, s0
                                        ; implicit-def: $vgpr10
	s_and_saveexec_b64 s[4:5], s[0:1]
	s_xor_b64 s[0:1], exec, s[4:5]
	s_cbranch_execz .LBB25_490
; %bb.489:
	v_add_f32_e64 v10, |v6|, |v6|
	v_mul_f32_e32 v11, 0x3fb8aa3b, v10
	s_mov_b32 s4, 0x3fb8aa3b
	v_rndne_f32_e32 v12, v11
	v_sub_f32_e32 v13, v11, v12
	v_fma_f32 v11, v10, s4, -v11
	v_fmamk_f32 v11, v10, 0x32a5705f, v11
	v_add_f32_e32 v11, v13, v11
	v_exp_f32_e32 v11, v11
	v_cvt_i32_f32_e32 v12, v12
	s_mov_b32 s4, 0xc2ce8ed0
	v_cmp_ngt_f32_e32 vcc, s4, v10
	s_mov_b32 s4, 0x42b17218
	v_ldexp_f32 v11, v11, v12
	v_cndmask_b32_e32 v11, 0, v11, vcc
	v_mov_b32_e32 v12, 0x7f800000
	v_cmp_nlt_f32_e32 vcc, s4, v10
	s_nop 1
	v_cndmask_b32_e32 v10, v12, v11, vcc
	v_add_f32_e32 v10, 1.0, v10
	v_rcp_f32_e32 v10, v10
	s_nop 0
	v_fma_f32 v10, v10, -2.0, 1.0
.LBB25_490:
	s_andn2_saveexec_b64 s[0:1], s[0:1]
; %bb.491:
	v_mul_f32_e32 v10, v6, v6
	v_mov_b32_e32 v11, 0x3ca908c9
	v_fmac_f32_e32 v11, 0xbbbac73d, v10
	v_fmaak_f32 v11, v10, v11, 0xbd5c1c4e
	v_fmaak_f32 v11, v10, v11, 0x3e088382
	;; [unrolled: 1-line block ×3, first 2 shown]
	v_mul_f32_e64 v11, |v6|, v11
	v_fma_f32 v10, v10, v11, |v6|
; %bb.492:
	s_or_b64 exec, exec, s[0:1]
	s_mov_b32 s0, 0x3f200000
	v_cmp_nlt_f32_e64 s[0:1], |v7|, s0
                                        ; implicit-def: $vgpr11
	s_and_saveexec_b64 s[4:5], s[0:1]
	s_xor_b64 s[0:1], exec, s[4:5]
	s_cbranch_execz .LBB25_494
; %bb.493:
	v_add_f32_e64 v11, |v7|, |v7|
	v_mul_f32_e32 v12, 0x3fb8aa3b, v11
	s_mov_b32 s4, 0x3fb8aa3b
	v_rndne_f32_e32 v13, v12
	v_sub_f32_e32 v14, v12, v13
	v_fma_f32 v12, v11, s4, -v12
	v_fmamk_f32 v12, v11, 0x32a5705f, v12
	v_add_f32_e32 v12, v14, v12
	v_exp_f32_e32 v12, v12
	v_cvt_i32_f32_e32 v13, v13
	s_mov_b32 s4, 0xc2ce8ed0
	v_cmp_ngt_f32_e32 vcc, s4, v11
	s_mov_b32 s4, 0x42b17218
	v_ldexp_f32 v12, v12, v13
	v_cndmask_b32_e32 v12, 0, v12, vcc
	v_mov_b32_e32 v13, 0x7f800000
	v_cmp_nlt_f32_e32 vcc, s4, v11
	s_nop 1
	v_cndmask_b32_e32 v11, v13, v12, vcc
	v_add_f32_e32 v11, 1.0, v11
	v_rcp_f32_e32 v11, v11
	s_nop 0
	v_fma_f32 v11, v11, -2.0, 1.0
.LBB25_494:
	s_andn2_saveexec_b64 s[0:1], s[0:1]
; %bb.495:
	v_mul_f32_e32 v11, v7, v7
	v_mov_b32_e32 v12, 0x3ca908c9
	v_fmac_f32_e32 v12, 0xbbbac73d, v11
	v_fmaak_f32 v12, v11, v12, 0xbd5c1c4e
	v_fmaak_f32 v12, v11, v12, 0x3e088382
	;; [unrolled: 1-line block ×3, first 2 shown]
	v_mul_f32_e64 v12, |v7|, v12
	v_fma_f32 v11, v11, v12, |v7|
; %bb.496:
	s_or_b64 exec, exec, s[0:1]
	s_mov_b32 s0, 0x3f200000
	v_cmp_nlt_f32_e64 s[0:1], |v0|, s0
                                        ; implicit-def: $vgpr12
	s_and_saveexec_b64 s[4:5], s[0:1]
	s_xor_b64 s[0:1], exec, s[4:5]
	s_cbranch_execz .LBB25_498
; %bb.497:
	v_add_f32_e64 v12, |v0|, |v0|
	v_mul_f32_e32 v13, 0x3fb8aa3b, v12
	s_mov_b32 s4, 0x3fb8aa3b
	v_rndne_f32_e32 v14, v13
	v_sub_f32_e32 v15, v13, v14
	v_fma_f32 v13, v12, s4, -v13
	v_fmamk_f32 v13, v12, 0x32a5705f, v13
	v_add_f32_e32 v13, v15, v13
	v_exp_f32_e32 v13, v13
	v_cvt_i32_f32_e32 v14, v14
	s_mov_b32 s4, 0xc2ce8ed0
	v_cmp_ngt_f32_e32 vcc, s4, v12
	s_mov_b32 s4, 0x42b17218
	v_ldexp_f32 v13, v13, v14
	v_cndmask_b32_e32 v13, 0, v13, vcc
	v_mov_b32_e32 v14, 0x7f800000
	v_cmp_nlt_f32_e32 vcc, s4, v12
	s_nop 1
	v_cndmask_b32_e32 v12, v14, v13, vcc
	v_add_f32_e32 v12, 1.0, v12
	v_rcp_f32_e32 v12, v12
	s_nop 0
	v_fma_f32 v12, v12, -2.0, 1.0
.LBB25_498:
	s_andn2_saveexec_b64 s[0:1], s[0:1]
; %bb.499:
	v_mul_f32_e32 v12, v0, v0
	v_mov_b32_e32 v13, 0x3ca908c9
	v_fmac_f32_e32 v13, 0xbbbac73d, v12
	v_fmaak_f32 v13, v12, v13, 0xbd5c1c4e
	v_fmaak_f32 v13, v12, v13, 0x3e088382
	v_fmaak_f32 v13, v12, v13, 0xbeaaaa99
	v_mul_f32_e64 v13, |v0|, v13
	v_fma_f32 v12, v12, v13, |v0|
; %bb.500:
	s_or_b64 exec, exec, s[0:1]
	s_mov_b32 s0, 0x3f200000
	v_cmp_nlt_f32_e64 s[0:1], |v1|, s0
                                        ; implicit-def: $vgpr13
	s_and_saveexec_b64 s[4:5], s[0:1]
	s_xor_b64 s[0:1], exec, s[4:5]
	s_cbranch_execz .LBB25_502
; %bb.501:
	v_add_f32_e64 v13, |v1|, |v1|
	v_mul_f32_e32 v14, 0x3fb8aa3b, v13
	s_mov_b32 s4, 0x3fb8aa3b
	v_rndne_f32_e32 v15, v14
	v_sub_f32_e32 v23, v14, v15
	v_fma_f32 v14, v13, s4, -v14
	v_fmamk_f32 v14, v13, 0x32a5705f, v14
	v_add_f32_e32 v14, v23, v14
	v_exp_f32_e32 v14, v14
	v_cvt_i32_f32_e32 v15, v15
	s_mov_b32 s4, 0xc2ce8ed0
	v_cmp_ngt_f32_e32 vcc, s4, v13
	s_mov_b32 s4, 0x42b17218
	v_ldexp_f32 v14, v14, v15
	v_cndmask_b32_e32 v14, 0, v14, vcc
	v_mov_b32_e32 v15, 0x7f800000
	v_cmp_nlt_f32_e32 vcc, s4, v13
	s_nop 1
	v_cndmask_b32_e32 v13, v15, v14, vcc
	v_add_f32_e32 v13, 1.0, v13
	v_rcp_f32_e32 v13, v13
	s_nop 0
	v_fma_f32 v13, v13, -2.0, 1.0
.LBB25_502:
	s_andn2_saveexec_b64 s[0:1], s[0:1]
; %bb.503:
	v_mul_f32_e32 v13, v1, v1
	v_mov_b32_e32 v14, 0x3ca908c9
	v_fmac_f32_e32 v14, 0xbbbac73d, v13
	v_fmaak_f32 v14, v13, v14, 0xbd5c1c4e
	v_fmaak_f32 v14, v13, v14, 0x3e088382
	;; [unrolled: 1-line block ×3, first 2 shown]
	v_mul_f32_e64 v14, |v1|, v14
	v_fma_f32 v13, v13, v14, |v1|
; %bb.504:
	s_or_b64 exec, exec, s[0:1]
	s_mov_b32 s0, 0x3f200000
	v_cmp_nlt_f32_e64 s[0:1], |v2|, s0
                                        ; implicit-def: $vgpr14
	s_and_saveexec_b64 s[4:5], s[0:1]
	s_xor_b64 s[0:1], exec, s[4:5]
	s_cbranch_execz .LBB25_506
; %bb.505:
	v_add_f32_e64 v14, |v2|, |v2|
	v_mul_f32_e32 v15, 0x3fb8aa3b, v14
	s_mov_b32 s4, 0x3fb8aa3b
	v_rndne_f32_e32 v23, v15
	v_sub_f32_e32 v24, v15, v23
	v_fma_f32 v15, v14, s4, -v15
	v_fmamk_f32 v15, v14, 0x32a5705f, v15
	v_add_f32_e32 v15, v24, v15
	v_exp_f32_e32 v15, v15
	v_cvt_i32_f32_e32 v23, v23
	s_mov_b32 s4, 0xc2ce8ed0
	v_cmp_ngt_f32_e32 vcc, s4, v14
	s_mov_b32 s4, 0x42b17218
	v_ldexp_f32 v15, v15, v23
	v_cndmask_b32_e32 v15, 0, v15, vcc
	v_mov_b32_e32 v23, 0x7f800000
	v_cmp_nlt_f32_e32 vcc, s4, v14
	s_nop 1
	v_cndmask_b32_e32 v14, v23, v15, vcc
	v_add_f32_e32 v14, 1.0, v14
	v_rcp_f32_e32 v14, v14
	s_nop 0
	v_fma_f32 v14, v14, -2.0, 1.0
.LBB25_506:
	s_andn2_saveexec_b64 s[0:1], s[0:1]
; %bb.507:
	v_mul_f32_e32 v14, v2, v2
	v_mov_b32_e32 v15, 0x3ca908c9
	v_fmac_f32_e32 v15, 0xbbbac73d, v14
	v_fmaak_f32 v15, v14, v15, 0xbd5c1c4e
	v_fmaak_f32 v15, v14, v15, 0x3e088382
	;; [unrolled: 1-line block ×3, first 2 shown]
	v_mul_f32_e64 v15, |v2|, v15
	v_fma_f32 v14, v14, v15, |v2|
; %bb.508:
	s_or_b64 exec, exec, s[0:1]
	s_mov_b32 s0, 0x3f200000
	v_cmp_nlt_f32_e64 s[0:1], |v3|, s0
                                        ; implicit-def: $vgpr15
	s_and_saveexec_b64 s[4:5], s[0:1]
	s_xor_b64 s[0:1], exec, s[4:5]
	s_cbranch_execz .LBB25_510
; %bb.509:
	v_add_f32_e64 v15, |v3|, |v3|
	v_mul_f32_e32 v23, 0x3fb8aa3b, v15
	s_mov_b32 s4, 0x3fb8aa3b
	v_rndne_f32_e32 v24, v23
	v_sub_f32_e32 v25, v23, v24
	v_fma_f32 v23, v15, s4, -v23
	v_fmamk_f32 v23, v15, 0x32a5705f, v23
	v_add_f32_e32 v23, v25, v23
	v_exp_f32_e32 v23, v23
	v_cvt_i32_f32_e32 v24, v24
	s_mov_b32 s4, 0xc2ce8ed0
	v_cmp_ngt_f32_e32 vcc, s4, v15
	s_mov_b32 s4, 0x42b17218
	v_ldexp_f32 v23, v23, v24
	v_cndmask_b32_e32 v23, 0, v23, vcc
	v_mov_b32_e32 v24, 0x7f800000
	v_cmp_nlt_f32_e32 vcc, s4, v15
	s_nop 1
	v_cndmask_b32_e32 v15, v24, v23, vcc
	v_add_f32_e32 v15, 1.0, v15
	v_rcp_f32_e32 v15, v15
	s_nop 0
	v_fma_f32 v15, v15, -2.0, 1.0
.LBB25_510:
	s_andn2_saveexec_b64 s[0:1], s[0:1]
; %bb.511:
	v_mul_f32_e32 v15, v3, v3
	v_mov_b32_e32 v23, 0x3ca908c9
	v_fmac_f32_e32 v23, 0xbbbac73d, v15
	v_fmaak_f32 v23, v15, v23, 0xbd5c1c4e
	v_fmaak_f32 v23, v15, v23, 0x3e088382
	;; [unrolled: 1-line block ×3, first 2 shown]
	v_mul_f32_e64 v23, |v3|, v23
	v_fma_f32 v15, v15, v23, |v3|
; %bb.512:
	s_or_b64 exec, exec, s[0:1]
	s_brev_b32 s0, -2
	v_bfi_b32 v12, s0, v12, v0
	v_and_b32_e32 v36, 0xfc, v72
	v_lshrrev_b32_e32 v0, 2, v80
	v_bfi_b32 v13, s0, v13, v1
	v_mul_u32_u24_e32 v0, 0x90, v0
	v_add_lshl_u32 v1, v79, v36, 1
	v_add3_u32 v0, 0, v0, v1
	v_bfi_b32 v14, s0, v14, v2
	v_add_u32_e32 v2, 0x4400, v0
	ds_read2_b32 v[0:1], v2 offset1:1
	v_bfi_b32 v4, s0, v8, v4
	v_bfi_b32 v8, s0, v15, v3
	ds_read2_b32 v[2:3], v2 offset0:16 offset1:17
	v_bfi_b32 v5, s0, v9, v5
	v_bfi_b32 v7, s0, v11, v7
	;; [unrolled: 1-line block ×3, first 2 shown]
	s_waitcnt lgkmcnt(1)
	v_fma_mix_f32 v4, s3, v4, v0 op_sel_hi:[0,0,1]
	v_fma_mix_f32 v0, s3, v5, v0 op_sel:[0,0,1] op_sel_hi:[0,0,1]
	v_fma_mix_f32 v5, s3, v6, v1 op_sel_hi:[0,0,1]
	v_fma_mix_f32 v1, s3, v7, v1 op_sel:[0,0,1] op_sel_hi:[0,0,1]
	s_waitcnt lgkmcnt(0)
	v_fma_mix_f32 v6, s3, v12, v2 op_sel_hi:[0,0,1]
	v_fma_mix_f32 v29, s3, v13, v2 op_sel:[0,0,1] op_sel_hi:[0,0,1]
	v_fma_mix_f32 v37, s3, v14, v3 op_sel_hi:[0,0,1]
	v_fma_mix_f32 v38, s3, v8, v3 op_sel:[0,0,1] op_sel_hi:[0,0,1]
	v_add_f32_e32 v2, 0x40051340, v4
	v_add_f32_e32 v3, 0x40051340, v0
	v_max3_f32 v2, v20, v2, v3
	v_add_f32_e32 v3, 0x40051340, v5
	v_add_f32_e32 v7, 0x40051340, v1
	v_max3_f32 v2, v2, v3, v7
	;; [unrolled: 3-line block ×4, first 2 shown]
	v_mbcnt_hi_u32_b32 v3, -1, v77
	v_and_b32_e32 v7, 64, v3
	v_add_u32_e32 v7, 64, v7
	v_xor_b32_e32 v8, 32, v3
	v_cmp_lt_i32_e32 vcc, v8, v7
	s_mov_b32 s3, 0x3fb8aa3b
	s_mov_b32 s0, 0xc2ce8ed0
	v_cndmask_b32_e32 v8, v3, v8, vcc
	v_lshlrev_b32_e32 v28, 2, v8
	ds_bpermute_b32 v8, v28, v2
	s_mov_b32 s1, 0x42b17218
	v_mov_b32_e32 v39, 0x7f800000
	s_mul_hi_i32 s5, s6, s14
	s_mul_i32 s4, s6, s14
	s_waitcnt lgkmcnt(0)
	v_max_f32_e32 v8, v8, v8
	v_max_f32_e32 v2, v2, v8
	v_xor_b32_e32 v8, 16, v3
	v_cmp_lt_i32_e32 vcc, v8, v7
	s_lshl_b64 s[4:5], s[4:5], 2
	s_add_u32 s4, s2, s4
	v_cndmask_b32_e32 v3, v3, v8, vcc
	v_lshlrev_b32_e32 v33, 2, v3
	ds_bpermute_b32 v3, v33, v2
	s_addc_u32 s5, s10, s5
	s_mov_b32 s2, 0xc1a00000
	s_waitcnt lgkmcnt(0)
	v_max_f32_e32 v3, v3, v3
	v_max_f32_e32 v32, v2, v3
	v_sub_f32_e32 v2, v4, v32
	v_mul_f32_e32 v3, 0x3fb8aa3b, v2
	v_fma_f32 v4, v2, s3, -v3
	v_rndne_f32_e32 v7, v3
	v_fmac_f32_e32 v4, 0x32a5705f, v2
	v_sub_f32_e32 v3, v3, v7
	v_add_f32_e32 v3, v3, v4
	v_exp_f32_e32 v3, v3
	v_cvt_i32_f32_e32 v4, v7
	v_sub_f32_e32 v0, v0, v32
	v_cmp_ngt_f32_e32 vcc, s0, v2
	v_sub_f32_e32 v40, v1, v32
	v_ldexp_f32 v3, v3, v4
	v_mul_f32_e32 v4, 0x3fb8aa3b, v0
	v_fma_f32 v7, v0, s3, -v4
	v_rndne_f32_e32 v8, v4
	v_fmac_f32_e32 v7, 0x32a5705f, v0
	v_sub_f32_e32 v4, v4, v8
	v_add_f32_e32 v4, v4, v7
	v_exp_f32_e32 v4, v4
	v_cvt_i32_f32_e32 v7, v8
	v_cndmask_b32_e32 v3, 0, v3, vcc
	v_cmp_nlt_f32_e32 vcc, s1, v2
	v_mul_f32_e32 v1, 0x3fb8aa3b, v40
	v_ldexp_f32 v2, v4, v7
	v_cndmask_b32_e32 v23, v39, v3, vcc
	v_sub_f32_e32 v3, v5, v32
	v_mul_f32_e32 v4, 0x3fb8aa3b, v3
	v_fma_f32 v5, v3, s3, -v4
	v_rndne_f32_e32 v7, v4
	v_fmac_f32_e32 v5, 0x32a5705f, v3
	v_sub_f32_e32 v4, v4, v7
	v_add_f32_e32 v4, v4, v5
	v_exp_f32_e32 v4, v4
	v_cvt_i32_f32_e32 v5, v7
	v_cmp_ngt_f32_e32 vcc, s0, v0
	v_sub_f32_e32 v42, v6, v32
	v_sub_f32_e32 v20, v20, v32
	v_cndmask_b32_e32 v2, 0, v2, vcc
	v_cmp_nlt_f32_e32 vcc, s1, v0
	v_ldexp_f32 v0, v4, v5
	v_rndne_f32_e32 v4, v1
	v_cndmask_b32_e32 v24, v39, v2, vcc
	v_fma_f32 v2, v40, s3, -v1
	v_fmac_f32_e32 v2, 0x32a5705f, v40
	v_sub_f32_e32 v1, v1, v4
	v_add_f32_e32 v1, v1, v2
	v_exp_f32_e32 v1, v1
	v_cvt_i32_f32_e32 v2, v4
	v_cmp_ngt_f32_e32 vcc, s0, v3
	v_ldexp_f32 v41, v1, v2
	s_nop 0
	v_cndmask_b32_e32 v0, 0, v0, vcc
	v_cmp_nlt_f32_e32 vcc, s1, v3
	s_nop 1
	v_cndmask_b32_e32 v25, v39, v0, vcc
	v_mul_f32_e32 v0, 0x3fb8aa3b, v42
	v_fma_f32 v1, v42, s3, -v0
	v_rndne_f32_e32 v43, v0
	v_fmac_f32_e32 v1, 0x32a5705f, v42
	v_sub_f32_e32 v0, v0, v43
	v_add_f32_e32 v0, v0, v1
	v_exp_f32_e32 v44, v0
	v_mul_lo_u32 v0, v69, s14
	v_ashrrev_i32_e32 v1, 31, v0
	v_lshl_add_u64 v[0:1], v[0:1], 2, s[4:5]
	v_lshl_add_u64 v[26:27], v[0:1], 0, v[16:17]
	v_mul_lo_u32 v0, v73, s14
	v_ashrrev_i32_e32 v1, 31, v0
	v_lshl_add_u64 v[0:1], v[0:1], 2, s[4:5]
	v_lshl_add_u64 v[30:31], v[0:1], 0, v[16:17]
	;; [unrolled: 4-line block ×4, first 2 shown]
	global_load_dwordx4 v[0:3], v[26:27], off
	global_load_dwordx4 v[4:7], v[30:31], off
	;; [unrolled: 1-line block ×4, first 2 shown]
	v_cmp_ngt_f32_e32 vcc, s0, v40
	v_cvt_i32_f32_e32 v16, v43
	s_waitcnt vmcnt(3)
	ds_write_b128 v18, v[0:3]
	s_waitcnt vmcnt(2)
	ds_write_b128 v19, v[4:7]
	;; [unrolled: 2-line block ×4, first 2 shown]
	v_cndmask_b32_e32 v17, 0, v41, vcc
	v_cmp_nlt_f32_e32 vcc, s1, v40
	v_ldexp_f32 v16, v44, v16
	s_waitcnt lgkmcnt(0)
	v_cndmask_b32_e32 v26, v39, v17, vcc
	v_sub_f32_e32 v17, v29, v32
	v_mul_f32_e32 v27, 0x3fb8aa3b, v17
	v_fma_f32 v29, v17, s3, -v27
	v_rndne_f32_e32 v30, v27
	v_fmac_f32_e32 v29, 0x32a5705f, v17
	v_sub_f32_e32 v27, v27, v30
	v_add_f32_e32 v27, v27, v29
	v_exp_f32_e32 v29, v27
	v_cvt_i32_f32_e32 v30, v30
	v_cmp_ngt_f32_e32 vcc, s0, v42
	s_barrier
	s_nop 0
	v_cndmask_b32_e32 v16, 0, v16, vcc
	v_cmp_nlt_f32_e32 vcc, s1, v42
	v_cvt_pk_f16_f32 v41, v25, v26
	v_cvt_pk_f16_f32 v40, v23, v24
	v_cndmask_b32_e32 v27, v39, v16, vcc
	v_ldexp_f32 v16, v29, v30
	v_sub_f32_e32 v30, v37, v32
	v_mul_f32_e32 v29, 0x3fb8aa3b, v30
	v_fma_f32 v31, v30, s3, -v29
	v_rndne_f32_e32 v34, v29
	v_fmac_f32_e32 v31, 0x32a5705f, v30
	v_sub_f32_e32 v29, v29, v34
	v_add_f32_e32 v29, v29, v31
	v_exp_f32_e32 v31, v29
	v_cvt_i32_f32_e32 v34, v34
	v_cmp_ngt_f32_e32 vcc, s0, v17
	v_add_f32_e32 v24, v23, v24
	v_add_f32_e32 v24, v25, v24
	v_cndmask_b32_e32 v16, 0, v16, vcc
	v_cmp_nlt_f32_e32 vcc, s1, v17
	v_sub_f32_e32 v17, v38, v32
	v_add_f32_e32 v24, v26, v24
	v_cndmask_b32_e32 v29, v39, v16, vcc
	v_ldexp_f32 v16, v31, v34
	v_mul_f32_e32 v31, 0x3fb8aa3b, v17
	v_fma_f32 v34, v17, s3, -v31
	v_rndne_f32_e32 v35, v31
	v_fmac_f32_e32 v34, 0x32a5705f, v17
	v_sub_f32_e32 v31, v31, v35
	v_add_f32_e32 v31, v31, v34
	v_cvt_i32_f32_e32 v34, v35
	v_mul_f32_e32 v35, 0x3fb8aa3b, v20
	v_fma_f32 v37, v20, s3, -v35
	v_rndne_f32_e32 v38, v35
	v_fmac_f32_e32 v37, 0x32a5705f, v20
	v_sub_f32_e32 v35, v35, v38
	v_add_f32_e32 v35, v35, v37
	v_exp_f32_e32 v31, v31
	v_exp_f32_e32 v35, v35
	v_cvt_i32_f32_e32 v37, v38
	v_cmp_ngt_f32_e32 vcc, s0, v30
	v_cvt_pk_f16_f32 v42, v27, v29
	s_nop 0
	v_cndmask_b32_e32 v16, 0, v16, vcc
	v_cmp_nlt_f32_e32 vcc, s1, v30
	s_nop 1
	v_cndmask_b32_e32 v30, v39, v16, vcc
	v_ldexp_f32 v16, v31, v34
	v_ldexp_f32 v31, v35, v37
	v_cmp_ngt_f32_e32 vcc, s0, v20
	s_nop 1
	v_cndmask_b32_e32 v31, 0, v31, vcc
	v_cmp_nlt_f32_e32 vcc, s1, v20
	s_nop 1
	v_cndmask_b32_e32 v31, v39, v31, vcc
	v_cmp_le_f32_e32 vcc, s2, v20
	s_movk_i32 s2, 0x110
	s_nop 0
	v_cndmask_b32_e32 v31, 0, v31, vcc
	v_cvt_f16_f32_e32 v20, v31
	v_cmp_ngt_f32_e32 vcc, s0, v17
	s_movk_i32 s0, 0x220
	v_mad_u32_u24 v0, v71, s0, 0
	v_cndmask_b32_e32 v16, 0, v16, vcc
	v_cmp_nlt_f32_e32 vcc, s1, v17
	v_mul_u32_u24_e32 v35, 0x10001, v20
	v_mul_u32_u24_e32 v20, 0x110, v36
	v_or_b32_e32 v36, 3, v72
	v_cndmask_b32_e32 v34, v39, v16, vcc
	v_pk_mul_f16 v16, v83, v35
	v_mul_u32_u24_e32 v36, 0x110, v36
	v_add3_u32 v6, v0, v20, v70
	v_add3_u32 v7, v0, v36, v70
	v_cvt_f32_f16_e32 v0, v16
	v_cvt_f32_f16_sdwa v1, v16 dst_sel:DWORD dst_unused:UNUSED_PAD src0_sel:WORD_1
	s_mov_b32 s0, 0x5040100
	ds_read_u16 v3, v6 offset:544
	ds_read_u16 v8, v6 offset:576
	;; [unrolled: 1-line block ×8, first 2 shown]
	ds_read_u16 v4, v7
	ds_read_u16 v9, v7 offset:32
	ds_read_u16 v12, v7 offset:64
	;; [unrolled: 1-line block ×7, first 2 shown]
	s_waitcnt lgkmcnt(7)
	v_perm_b32 v5, v4, v3, s0
	ds_read_u16 v3, v6
	ds_read_u16 v10, v6 offset:32
	ds_read_u16 v14, v6 offset:64
	;; [unrolled: 1-line block ×15, first 2 shown]
	v_pk_mul_f16 v17, v82, v35
	s_waitcnt lgkmcnt(7)
	v_perm_b32 v4, v4, v3, s0
	v_cvt_f32_f16_e32 v2, v17
	v_cvt_f32_f16_sdwa v3, v17 dst_sel:DWORD dst_unused:UNUSED_PAD src0_sel:WORD_1
	v_pk_mul_f16 v17, v78, v35
	v_cvt_pk_f16_f32 v43, v30, v34
	v_mfma_f32_16x16x16_f16 v[0:3], v[4:5], v[40:41], v[0:3]
	ds_read_u16 v4, v6 offset:9248
	ds_read_u16 v73, v6 offset:9280
	ds_read_u16 v74, v6 offset:9312
	ds_read_u16 v76, v6 offset:9344
	ds_read_u16 v77, v6 offset:9376
	ds_read_u16 v78, v6 offset:9408
	ds_read_u16 v79, v6 offset:9440
	ds_read_u16 v80, v6 offset:9472
	ds_read_u16 v5, v7 offset:8704
	ds_read_u16 v81, v7 offset:8736
	ds_read_u16 v82, v7 offset:8768
	ds_read_u16 v83, v7 offset:8800
	ds_read_u16 v84, v7 offset:8832
	ds_read_u16 v85, v7 offset:8864
	ds_read_u16 v86, v7 offset:8896
	ds_read_u16 v87, v7 offset:8928
	s_waitcnt lgkmcnt(7)
	v_perm_b32 v5, v5, v4, s0
	ds_read_u16 v4, v6 offset:8704
	ds_read_u16 v88, v6 offset:8736
	;; [unrolled: 1-line block ×16, first 2 shown]
	v_cvt_f16_f32_e32 v0, v0
	v_cvt_f16_f32_e32 v1, v1
	;; [unrolled: 1-line block ×4, first 2 shown]
	s_waitcnt lgkmcnt(7)
	v_perm_b32 v4, v7, v4, s0
	v_cvt_f32_f16_e32 v0, v0
	v_cvt_f32_f16_e32 v1, v1
	;; [unrolled: 1-line block ×4, first 2 shown]
	v_pk_mul_f16 v7, v68, v35
	v_perm_b32 v9, v9, v8, s0
	v_perm_b32 v8, v13, v10, s0
	v_mfma_f32_16x16x16_f16 v[0:3], v[4:5], v[42:43], v[0:3]
	v_cvt_f32_f16_e32 v4, v17
	v_cvt_f32_f16_sdwa v5, v17 dst_sel:DWORD dst_unused:UNUSED_PAD src0_sel:WORD_1
	v_cvt_f32_f16_e32 v6, v7
	v_cvt_f32_f16_sdwa v7, v7 dst_sel:DWORD dst_unused:UNUSED_PAD src0_sel:WORD_1
	v_pk_mul_f16 v10, v67, v35
	v_pk_mul_f16 v17, v66, v35
	v_mfma_f32_16x16x16_f16 v[4:7], v[8:9], v[40:41], v[4:7]
	v_perm_b32 v9, v81, v73, s0
	s_waitcnt lgkmcnt(6)
	v_perm_b32 v8, v96, v88, s0
	v_perm_b32 v13, v12, v11, s0
	v_perm_b32 v12, v21, v14, s0
	s_nop 2
	v_cvt_f16_f32_e32 v4, v4
	v_cvt_f16_f32_e32 v5, v5
	;; [unrolled: 1-line block ×4, first 2 shown]
	v_cvt_f32_f16_e32 v4, v4
	v_cvt_f32_f16_e32 v5, v5
	;; [unrolled: 1-line block ×4, first 2 shown]
	v_cvt_f32_f16_sdwa v11, v17 dst_sel:DWORD dst_unused:UNUSED_PAD src0_sel:WORD_1
	v_pk_mul_f16 v14, v65, v35
	v_mfma_f32_16x16x16_f16 v[4:7], v[8:9], v[42:43], v[4:7]
	v_cvt_f32_f16_e32 v8, v10
	v_cvt_f32_f16_sdwa v9, v10 dst_sel:DWORD dst_unused:UNUSED_PAD src0_sel:WORD_1
	v_cvt_f32_f16_e32 v10, v17
	v_pk_mul_f16 v21, v64, v35
	v_perm_b32 v17, v16, v15, s0
	v_mfma_f32_16x16x16_f16 v[8:11], v[12:13], v[40:41], v[8:11]
	v_perm_b32 v13, v82, v74, s0
	s_waitcnt lgkmcnt(5)
	v_perm_b32 v12, v97, v89, s0
	v_perm_b32 v16, v37, v18, s0
	v_cvt_f32_f16_sdwa v15, v21 dst_sel:DWORD dst_unused:UNUSED_PAD src0_sel:WORD_1
	s_nop 2
	v_cvt_f16_f32_e32 v8, v8
	v_cvt_f16_f32_e32 v9, v9
	;; [unrolled: 1-line block ×4, first 2 shown]
	v_cvt_f32_f16_e32 v8, v8
	v_cvt_f32_f16_e32 v9, v9
	;; [unrolled: 1-line block ×4, first 2 shown]
	v_pk_mul_f16 v18, v63, v35
	v_pk_mul_f16 v37, v62, v35
	v_mfma_f32_16x16x16_f16 v[8:11], v[12:13], v[42:43], v[8:11]
	v_cvt_f32_f16_e32 v12, v14
	v_cvt_f32_f16_sdwa v13, v14 dst_sel:DWORD dst_unused:UNUSED_PAD src0_sel:WORD_1
	v_cvt_f32_f16_e32 v14, v21
	v_perm_b32 v21, v20, v19, s0
	v_perm_b32 v20, v38, v36, s0
	v_mfma_f32_16x16x16_f16 v[12:15], v[16:17], v[40:41], v[12:15]
	v_perm_b32 v17, v83, v76, s0
	s_waitcnt lgkmcnt(4)
	v_perm_b32 v16, v98, v90, s0
	v_cvt_f32_f16_sdwa v19, v37 dst_sel:DWORD dst_unused:UNUSED_PAD src0_sel:WORD_1
	v_pk_mul_f16 v60, v60, v35
	s_nop 2
	v_cvt_f16_f32_e32 v12, v12
	v_cvt_f16_f32_e32 v13, v13
	;; [unrolled: 1-line block ×4, first 2 shown]
	v_cvt_f32_f16_e32 v12, v12
	v_cvt_f32_f16_e32 v13, v13
	;; [unrolled: 1-line block ×5, first 2 shown]
	v_pk_mul_f16 v58, v58, v35
	v_mfma_f32_16x16x16_f16 v[12:15], v[16:17], v[42:43], v[12:15]
	v_cvt_f32_f16_e32 v16, v18
	v_cvt_f32_f16_sdwa v17, v18 dst_sel:DWORD dst_unused:UNUSED_PAD src0_sel:WORD_1
	v_cvt_f32_f16_e32 v18, v37
	v_pk_mul_f16 v37, v61, v35
	v_perm_b32 v45, v45, v44, s0
	v_mfma_f32_16x16x16_f16 v[16:19], v[20:21], v[40:41], v[16:19]
	v_perm_b32 v21, v84, v77, s0
	s_waitcnt lgkmcnt(3)
	v_perm_b32 v20, v99, v92, s0
	v_cvt_f32_f16_e32 v36, v37
	v_cvt_f32_f16_sdwa v37, v37 dst_sel:DWORD dst_unused:UNUSED_PAD src0_sel:WORD_1
	s_nop 2
	v_cvt_f16_f32_e32 v16, v16
	v_cvt_f16_f32_e32 v17, v17
	;; [unrolled: 1-line block ×4, first 2 shown]
	v_cvt_f32_f16_e32 v16, v16
	v_cvt_f32_f16_e32 v17, v17
	;; [unrolled: 1-line block ×4, first 2 shown]
	v_perm_b32 v44, v71, v49, s0
	s_waitcnt lgkmcnt(0)
	v_mfma_f32_16x16x16_f16 v[16:19], v[20:21], v[42:43], v[16:19]
	v_perm_b32 v21, v39, v22, s0
	v_perm_b32 v20, v70, v48, s0
	v_cvt_f32_f16_sdwa v39, v60 dst_sel:DWORD dst_unused:UNUSED_PAD src0_sel:WORD_1
	v_pk_mul_f16 v48, v59, v35
	s_barrier
	v_mfma_f32_16x16x16_f16 v[36:39], v[20:21], v[40:41], v[36:39]
	s_nop 7
	v_cvt_f16_f32_e32 v20, v36
	v_cvt_f16_f32_e32 v21, v37
	;; [unrolled: 1-line block ×4, first 2 shown]
	v_cvt_f32_f16_e32 v36, v20
	v_cvt_f32_f16_e32 v37, v21
	v_perm_b32 v21, v85, v78, s0
	v_perm_b32 v20, v100, v93, s0
	v_cvt_f32_f16_e32 v38, v22
	v_cvt_f32_f16_e32 v39, v39
	s_nop 1
	v_mfma_f32_16x16x16_f16 v[20:23], v[20:21], v[42:43], v[36:39]
	s_nop 2
	v_cvt_f32_f16_e32 v36, v48
	v_cvt_f32_f16_sdwa v37, v48 dst_sel:DWORD dst_unused:UNUSED_PAD src0_sel:WORD_1
	v_cvt_f32_f16_e32 v38, v58
	v_cvt_f32_f16_sdwa v39, v58 dst_sel:DWORD dst_unused:UNUSED_PAD src0_sel:WORD_1
	v_add_f32_e32 v48, v27, v24
	v_add_f32_e32 v29, v29, v48
	v_mfma_f32_16x16x16_f16 v[24:27], v[44:45], v[40:41], v[36:39]
	v_perm_b32 v45, v47, v46, s0
	v_perm_b32 v44, v72, v69, s0
	s_nop 0
	v_perm_b32 v37, v86, v79, s0
	v_perm_b32 v36, v101, v94, s0
	s_nop 2
	v_cvt_f16_f32_e32 v24, v24
	v_cvt_f16_f32_e32 v25, v25
	;; [unrolled: 1-line block ×4, first 2 shown]
	v_cvt_f32_f16_e32 v24, v24
	v_cvt_f32_f16_e32 v25, v25
	;; [unrolled: 1-line block ×4, first 2 shown]
	v_pk_mul_f16 v38, v57, v35
	v_pk_mul_f16 v35, v56, v35
	v_mfma_f32_16x16x16_f16 v[24:27], v[36:37], v[42:43], v[24:27]
	v_cvt_f32_f16_e32 v36, v38
	v_cvt_f32_f16_sdwa v37, v38 dst_sel:DWORD dst_unused:UNUSED_PAD src0_sel:WORD_1
	v_cvt_f32_f16_e32 v38, v35
	v_cvt_f32_f16_sdwa v39, v35 dst_sel:DWORD dst_unused:UNUSED_PAD src0_sel:WORD_1
	v_add_f32_e32 v29, v30, v29
	v_add_f32_e32 v46, v34, v29
	v_mfma_f32_16x16x16_f16 v[34:37], v[44:45], v[40:41], v[36:39]
	v_fmac_f32_e32 v46, v91, v31
	s_nop 1
	ds_bpermute_b32 v38, v28, v46
	s_nop 3
	v_cvt_f16_f32_e32 v30, v35
	v_cvt_f16_f32_e32 v31, v36
	;; [unrolled: 1-line block ×4, first 2 shown]
	v_cvt_f32_f16_e32 v35, v30
	v_cvt_f32_f16_e32 v36, v31
	v_perm_b32 v31, v87, v80, s0
	v_perm_b32 v30, v102, v95, s0
	v_cvt_f32_f16_e32 v34, v29
	v_cvt_f32_f16_e32 v37, v37
	v_cmp_gt_u32_e64 s[0:1], 16, v50
	s_nop 0
	v_mfma_f32_16x16x16_f16 v[28:31], v[30:31], v[42:43], v[34:37]
	s_waitcnt lgkmcnt(0)
	s_nop 1
	v_add_f32_e32 v34, v46, v38
	ds_bpermute_b32 v35, v33, v34
	s_and_saveexec_b64 s[4:5], s[0:1]
	s_cbranch_execz .LBB25_514
; %bb.513:
	s_waitcnt lgkmcnt(0)
	v_add_f32_e32 v34, v34, v35
	v_or_b32_e32 v35, v55, v50
	v_mad_i32_i24 v35, v35, s2, 0
	ds_write2_b32 v35, v32, v34 offset0:64 offset1:65
.LBB25_514:
	s_or_b64 exec, exec, s[4:5]
	v_and_b32_e32 v32, 1, v51
	v_cmp_eq_u32_e32 vcc, 0, v32
	v_cmp_eq_u32_e64 s[4:5], 1, v32
	s_waitcnt lgkmcnt(0)
	s_barrier
	s_and_saveexec_b64 s[2:3], s[4:5]
	s_xor_b64 s[4:5], exec, s[2:3]
	s_cbranch_execz .LBB25_516
; %bb.515:
	s_barrier
                                        ; implicit-def: $vgpr75
                                        ; implicit-def: $vgpr33
.LBB25_516:
	s_andn2_saveexec_b64 s[6:7], s[4:5]
	s_cbranch_execz .LBB25_522
; %bb.517:
	v_and_b32_e32 v32, 31, v50
	v_add_u32_e32 v36, v55, v32
	s_movk_i32 s2, 0x110
	v_mad_i32_i24 v32, v36, s2, 0
	ds_read_b64 v[38:39], v32 offset:256
	s_mov_b32 s2, 0x3fb8aa3b
	s_mov_b32 s3, 0x42b17218
	s_waitcnt lgkmcnt(0)
	s_barrier
	ds_bpermute_b32 v32, v33, v38
	v_max_f32_e32 v34, v38, v38
	s_waitcnt lgkmcnt(0)
	v_max_f32_e32 v32, v32, v32
	v_max_f32_e32 v32, v34, v32
	v_sub_f32_e32 v34, v38, v32
	v_mul_f32_e32 v35, 0x3fb8aa3b, v34
	v_fma_f32 v37, v34, s2, -v35
	v_rndne_f32_e32 v38, v35
	v_fmamk_f32 v37, v34, 0x32a5705f, v37
	v_sub_f32_e32 v35, v35, v38
	v_add_f32_e32 v35, v35, v37
	v_cvt_i32_f32_e32 v38, v38
	v_exp_f32_e32 v35, v35
	s_mov_b32 s2, 0xc2ce8ed0
	v_cmp_ngt_f32_e64 s[4:5], s2, v34
	v_mov_b32_e32 v37, 0x7f800000
	v_ldexp_f32 v35, v35, v38
	v_cndmask_b32_e64 v35, 0, v35, s[4:5]
	v_cmp_nlt_f32_e64 s[4:5], s3, v34
	s_nop 1
	v_cndmask_b32_e64 v34, v37, v35, s[4:5]
	v_mul_f32_e32 v35, v39, v34
	ds_bpermute_b32 v35, v33, v35
	v_cmp_gt_u32_e64 s[4:5], 32, v50
	s_waitcnt lgkmcnt(0)
	v_fmac_f32_e32 v35, v39, v34
	s_and_saveexec_b64 s[8:9], s[4:5]
; %bb.518:
	v_mul_i32_i24_e32 v33, 0x110, v36
	v_add_u32_e32 v33, 0, v33
	ds_write_b64 v33, v[34:35] offset:256
; %bb.519:
	s_or_b64 exec, exec, s[8:9]
	s_and_saveexec_b64 s[4:5], s[0:1]
	s_cbranch_execz .LBB25_521
; %bb.520:
	s_add_i32 s0, s51, s33
	s_lshl_b32 s0, s0, 5
	s_mov_b32 s1, 0
	s_lshl_b64 s[0:1], s[0:1], 3
	s_add_u32 s0, s30, s0
	v_or_b32_e32 v33, v75, v50
	s_addc_u32 s1, s31, s1
	v_lshlrev_b32_e32 v34, 3, v33
	v_mov_b32_e32 v33, v35
	global_store_dwordx2 v34, v[32:33], s[0:1]
.LBB25_521:
	s_or_b64 exec, exec, s[4:5]
.LBB25_522:
	s_or_b64 exec, exec, s[6:7]
	v_cvt_pk_f16_f32 v2, v2, v3
	v_cvt_pk_f16_f32 v3, v4, v5
	;; [unrolled: 1-line block ×4, first 2 shown]
	v_or_b32_e32 v16, v55, v53
	v_mul_i32_i24_e32 v16, 0x110, v16
	v_cvt_pk_f16_f32 v0, v0, v1
	s_mov_b32 s3, 0
	s_movk_i32 s4, 0x110
	v_add3_u32 v16, 0, v54, v16
	v_cvt_pk_f16_f32 v1, v6, v7
	v_cvt_pk_f16_f32 v4, v10, v11
	;; [unrolled: 1-line block ×11, first 2 shown]
	ds_write2_b32 v16, v0, v2 offset1:1
	ds_write2_b32 v16, v3, v1 offset0:8 offset1:9
	ds_write2_b32 v16, v5, v4 offset0:16 offset1:17
	;; [unrolled: 1-line block ×7, first 2 shown]
	s_waitcnt lgkmcnt(0)
	s_barrier
	s_and_saveexec_b64 s[0:1], vcc
	s_cbranch_execz .LBB25_524
; %bb.523:
	s_lshl_b32 s2, s33, 11
	s_lshl_b64 s[6:7], s[2:3], 3
	s_add_u32 s5, s30, s6
	s_addc_u32 s6, s31, s7
	s_lshl_b32 s2, s51, 6
	s_lshl_b64 s[2:3], s[2:3], 3
	s_add_u32 s2, s5, s2
	v_bfe_u32 v7, v51, 1, 4
	s_movk_i32 s5, 0x3e0
	v_and_or_b32 v2, v51, s5, v7
	v_mad_u32_u24 v0, v2, s4, v52
	ds_read2st64_b32 v[0:1], v0 offset1:17
	v_mad_u32_u24 v2, v2, s4, 0
	ds_read2st64_b32 v[2:3], v2 offset0:1 offset1:18
	v_lshrrev_b32_e32 v6, 1, v51
	s_movk_i32 s5, 0x7e0
	s_waitcnt lgkmcnt(1)
	v_cvt_f32_f16_e32 v4, v0
	v_cvt_f32_f16_sdwa v5, v0 dst_sel:DWORD dst_unused:UNUSED_PAD src0_sel:WORD_1
	v_cvt_f32_f16_e32 v0, v1
	v_cvt_f32_f16_sdwa v1, v1 dst_sel:DWORD dst_unused:UNUSED_PAD src0_sel:WORD_1
	v_lshlrev_b32_e32 v8, 5, v51
	s_waitcnt lgkmcnt(0)
	v_pk_fma_f32 v[4:5], v[2:3], v[4:5], 0 op_sel_hi:[0,1,0]
	v_mov_b32_e32 v2, v3
	v_pk_fma_f32 v[0:1], v[2:3], v[0:1], v[4:5] op_sel_hi:[0,1,1]
	v_add_u32_e32 v4, 2, v6
	v_lshlrev_b32_e32 v2, 1, v4
	v_and_b32_e32 v3, 15, v4
	v_and_or_b32 v5, v2, s5, v3
	v_mad_u32_u24 v2, v5, s4, v52
	ds_read2st64_b32 v[2:3], v2 offset1:17
	s_addc_u32 s3, s6, s3
	v_add_lshl_u32 v8, v8, v50, 3
	global_store_dwordx2 v8, v[0:1], s[2:3]
	v_mad_u32_u24 v0, v5, s4, 0
	ds_read2st64_b32 v[0:1], v0 offset0:1 offset1:18
	v_lshlrev_b32_e32 v8, 6, v4
	s_waitcnt lgkmcnt(1)
	v_cvt_f32_f16_e32 v4, v2
	v_cvt_f32_f16_sdwa v5, v2 dst_sel:DWORD dst_unused:UNUSED_PAD src0_sel:WORD_1
	v_cvt_f32_f16_e32 v2, v3
	v_cvt_f32_f16_sdwa v3, v3 dst_sel:DWORD dst_unused:UNUSED_PAD src0_sel:WORD_1
	v_add_lshl_u32 v8, v8, v50, 3
	s_waitcnt lgkmcnt(0)
	v_pk_fma_f32 v[4:5], v[0:1], v[4:5], 0 op_sel_hi:[0,1,0]
	v_mov_b32_e32 v0, v1
	v_pk_fma_f32 v[0:1], v[0:1], v[2:3], v[4:5] op_sel_hi:[0,1,1]
	v_add_u32_e32 v4, 4, v6
	v_lshlrev_b32_e32 v2, 1, v4
	v_and_b32_e32 v3, 15, v4
	v_and_or_b32 v5, v2, s5, v3
	v_mad_u32_u24 v2, v5, s4, v52
	ds_read2st64_b32 v[2:3], v2 offset1:17
	global_store_dwordx2 v8, v[0:1], s[2:3]
	v_mad_u32_u24 v0, v5, s4, 0
	ds_read2st64_b32 v[0:1], v0 offset0:1 offset1:18
	v_lshlrev_b32_e32 v8, 6, v4
	s_waitcnt lgkmcnt(1)
	v_cvt_f32_f16_e32 v4, v2
	v_cvt_f32_f16_sdwa v5, v2 dst_sel:DWORD dst_unused:UNUSED_PAD src0_sel:WORD_1
	v_cvt_f32_f16_e32 v2, v3
	v_cvt_f32_f16_sdwa v3, v3 dst_sel:DWORD dst_unused:UNUSED_PAD src0_sel:WORD_1
	v_add_lshl_u32 v8, v8, v50, 3
	s_waitcnt lgkmcnt(0)
	v_pk_fma_f32 v[4:5], v[0:1], v[4:5], 0 op_sel_hi:[0,1,0]
	v_mov_b32_e32 v0, v1
	v_pk_fma_f32 v[0:1], v[0:1], v[2:3], v[4:5] op_sel_hi:[0,1,1]
	v_add_u32_e32 v4, 6, v6
	v_lshlrev_b32_e32 v2, 1, v4
	v_and_b32_e32 v3, 15, v4
	v_and_or_b32 v5, v2, s5, v3
	v_mad_u32_u24 v2, v5, s4, v52
	ds_read2st64_b32 v[2:3], v2 offset1:17
	global_store_dwordx2 v8, v[0:1], s[2:3]
	v_mad_u32_u24 v0, v5, s4, 0
	ds_read2st64_b32 v[0:1], v0 offset0:1 offset1:18
	v_lshlrev_b32_e32 v8, 6, v4
	s_waitcnt lgkmcnt(1)
	v_cvt_f32_f16_e32 v4, v2
	v_cvt_f32_f16_sdwa v5, v2 dst_sel:DWORD dst_unused:UNUSED_PAD src0_sel:WORD_1
	v_cvt_f32_f16_e32 v2, v3
	v_cvt_f32_f16_sdwa v3, v3 dst_sel:DWORD dst_unused:UNUSED_PAD src0_sel:WORD_1
	v_add_lshl_u32 v8, v8, v50, 3
	s_waitcnt lgkmcnt(0)
	v_pk_fma_f32 v[4:5], v[0:1], v[4:5], 0 op_sel_hi:[0,1,0]
	v_mov_b32_e32 v0, v1
	v_pk_fma_f32 v[0:1], v[0:1], v[2:3], v[4:5] op_sel_hi:[0,1,1]
	v_add_u32_e32 v4, 8, v6
	v_lshlrev_b32_e32 v2, 1, v4
	v_and_b32_e32 v3, 15, v4
	v_and_or_b32 v5, v2, s5, v3
	v_mad_u32_u24 v2, v5, s4, v52
	ds_read2st64_b32 v[2:3], v2 offset1:17
	global_store_dwordx2 v8, v[0:1], s[2:3]
	v_mad_u32_u24 v0, v5, s4, 0
	ds_read2st64_b32 v[0:1], v0 offset0:1 offset1:18
	v_lshlrev_b32_e32 v8, 6, v4
	s_waitcnt lgkmcnt(1)
	v_cvt_f32_f16_e32 v4, v2
	v_cvt_f32_f16_sdwa v5, v2 dst_sel:DWORD dst_unused:UNUSED_PAD src0_sel:WORD_1
	v_cvt_f32_f16_e32 v2, v3
	v_cvt_f32_f16_sdwa v3, v3 dst_sel:DWORD dst_unused:UNUSED_PAD src0_sel:WORD_1
	v_add_lshl_u32 v8, v8, v50, 3
	s_waitcnt lgkmcnt(0)
	v_pk_fma_f32 v[4:5], v[0:1], v[4:5], 0 op_sel_hi:[0,1,0]
	v_mov_b32_e32 v0, v1
	v_pk_fma_f32 v[0:1], v[0:1], v[2:3], v[4:5] op_sel_hi:[0,1,1]
	v_add_u32_e32 v4, 10, v6
	v_lshlrev_b32_e32 v2, 1, v4
	v_and_b32_e32 v3, 15, v4
	v_and_or_b32 v5, v2, s5, v3
	v_mad_u32_u24 v2, v5, s4, v52
	ds_read2st64_b32 v[2:3], v2 offset1:17
	global_store_dwordx2 v8, v[0:1], s[2:3]
	v_mad_u32_u24 v0, v5, s4, 0
	ds_read2st64_b32 v[0:1], v0 offset0:1 offset1:18
	v_lshlrev_b32_e32 v8, 6, v4
	s_waitcnt lgkmcnt(1)
	v_cvt_f32_f16_e32 v4, v2
	v_cvt_f32_f16_sdwa v5, v2 dst_sel:DWORD dst_unused:UNUSED_PAD src0_sel:WORD_1
	v_cvt_f32_f16_e32 v2, v3
	v_cvt_f32_f16_sdwa v3, v3 dst_sel:DWORD dst_unused:UNUSED_PAD src0_sel:WORD_1
	v_add_lshl_u32 v8, v8, v50, 3
	s_waitcnt lgkmcnt(0)
	v_pk_fma_f32 v[4:5], v[0:1], v[4:5], 0 op_sel_hi:[0,1,0]
	v_mov_b32_e32 v0, v1
	v_pk_fma_f32 v[0:1], v[0:1], v[2:3], v[4:5] op_sel_hi:[0,1,1]
	v_add_u32_e32 v4, 12, v6
	v_lshlrev_b32_e32 v2, 1, v4
	v_and_b32_e32 v3, 15, v4
	v_and_or_b32 v5, v2, s5, v3
	v_mad_u32_u24 v2, v5, s4, v52
	ds_read2st64_b32 v[2:3], v2 offset1:17
	global_store_dwordx2 v8, v[0:1], s[2:3]
	v_mad_u32_u24 v0, v5, s4, 0
	ds_read2st64_b32 v[0:1], v0 offset0:1 offset1:18
	v_lshlrev_b32_e32 v8, 6, v4
	s_waitcnt lgkmcnt(1)
	v_cvt_f32_f16_e32 v4, v2
	v_cvt_f32_f16_sdwa v5, v2 dst_sel:DWORD dst_unused:UNUSED_PAD src0_sel:WORD_1
	v_cvt_f32_f16_e32 v2, v3
	v_cvt_f32_f16_sdwa v3, v3 dst_sel:DWORD dst_unused:UNUSED_PAD src0_sel:WORD_1
	v_add_lshl_u32 v8, v8, v50, 3
	s_waitcnt lgkmcnt(0)
	v_pk_fma_f32 v[4:5], v[0:1], v[4:5], 0 op_sel_hi:[0,1,0]
	v_mov_b32_e32 v0, v1
	v_pk_fma_f32 v[0:1], v[0:1], v[2:3], v[4:5] op_sel_hi:[0,1,1]
	v_add_u32_e32 v4, 14, v6
	v_lshlrev_b32_e32 v2, 1, v4
	v_and_b32_e32 v3, 15, v4
	v_and_or_b32 v5, v2, s5, v3
	v_mad_u32_u24 v2, v5, s4, v52
	ds_read2st64_b32 v[2:3], v2 offset1:17
	global_store_dwordx2 v8, v[0:1], s[2:3]
	v_mad_u32_u24 v0, v5, s4, 0
	ds_read2st64_b32 v[0:1], v0 offset0:1 offset1:18
	v_lshlrev_b32_e32 v8, 6, v4
	s_waitcnt lgkmcnt(1)
	v_cvt_f32_f16_e32 v4, v2
	v_cvt_f32_f16_sdwa v5, v2 dst_sel:DWORD dst_unused:UNUSED_PAD src0_sel:WORD_1
	v_cvt_f32_f16_e32 v2, v3
	v_cvt_f32_f16_sdwa v3, v3 dst_sel:DWORD dst_unused:UNUSED_PAD src0_sel:WORD_1
	v_add_lshl_u32 v8, v8, v50, 3
	s_waitcnt lgkmcnt(0)
	v_pk_fma_f32 v[4:5], v[0:1], v[4:5], 0 op_sel_hi:[0,1,0]
	v_mov_b32_e32 v0, v1
	v_pk_fma_f32 v[0:1], v[0:1], v[2:3], v[4:5] op_sel_hi:[0,1,1]
	v_add_u32_e32 v4, 16, v6
	v_lshlrev_b32_e32 v2, 1, v4
	v_and_or_b32 v5, v2, s5, v7
	v_mad_u32_u24 v2, v5, s4, v52
	ds_read2st64_b32 v[2:3], v2 offset1:17
	global_store_dwordx2 v8, v[0:1], s[2:3]
	v_mad_u32_u24 v0, v5, s4, 0
	ds_read2st64_b32 v[0:1], v0 offset0:1 offset1:18
	v_lshlrev_b32_e32 v7, 6, v4
	s_waitcnt lgkmcnt(1)
	v_cvt_f32_f16_e32 v4, v2
	v_cvt_f32_f16_sdwa v5, v2 dst_sel:DWORD dst_unused:UNUSED_PAD src0_sel:WORD_1
	v_cvt_f32_f16_e32 v2, v3
	v_cvt_f32_f16_sdwa v3, v3 dst_sel:DWORD dst_unused:UNUSED_PAD src0_sel:WORD_1
	v_add_lshl_u32 v7, v7, v50, 3
	s_waitcnt lgkmcnt(0)
	v_pk_fma_f32 v[4:5], v[0:1], v[4:5], 0 op_sel_hi:[0,1,0]
	v_mov_b32_e32 v0, v1
	v_pk_fma_f32 v[0:1], v[0:1], v[2:3], v[4:5] op_sel_hi:[0,1,1]
	v_add_u32_e32 v4, 18, v6
	v_lshlrev_b32_e32 v2, 1, v4
	v_and_b32_e32 v3, 15, v4
	v_and_or_b32 v5, v2, s5, v3
	v_mad_u32_u24 v2, v5, s4, v52
	ds_read2st64_b32 v[2:3], v2 offset1:17
	global_store_dwordx2 v7, v[0:1], s[2:3]
	v_mad_u32_u24 v0, v5, s4, 0
	ds_read2st64_b32 v[0:1], v0 offset0:1 offset1:18
	v_lshlrev_b32_e32 v7, 6, v4
	s_waitcnt lgkmcnt(1)
	v_cvt_f32_f16_e32 v4, v2
	v_cvt_f32_f16_sdwa v5, v2 dst_sel:DWORD dst_unused:UNUSED_PAD src0_sel:WORD_1
	v_cvt_f32_f16_e32 v2, v3
	v_cvt_f32_f16_sdwa v3, v3 dst_sel:DWORD dst_unused:UNUSED_PAD src0_sel:WORD_1
	v_add_lshl_u32 v7, v7, v50, 3
	s_waitcnt lgkmcnt(0)
	v_pk_fma_f32 v[4:5], v[0:1], v[4:5], 0 op_sel_hi:[0,1,0]
	v_mov_b32_e32 v0, v1
	v_pk_fma_f32 v[0:1], v[0:1], v[2:3], v[4:5] op_sel_hi:[0,1,1]
	v_add_u32_e32 v4, 20, v6
	v_lshlrev_b32_e32 v2, 1, v4
	v_and_b32_e32 v3, 15, v4
	;; [unrolled: 20-line block ×7, first 2 shown]
	v_and_or_b32 v5, v2, s5, v3
	v_mad_u32_u24 v2, v5, s4, v52
	ds_read2st64_b32 v[2:3], v2 offset1:17
	global_store_dwordx2 v7, v[0:1], s[2:3]
	v_mad_u32_u24 v0, v5, s4, 0
	ds_read2st64_b32 v[0:1], v0 offset0:1 offset1:18
	v_lshlrev_b32_e32 v6, 6, v4
	s_waitcnt lgkmcnt(1)
	v_cvt_f32_f16_e32 v4, v2
	v_cvt_f32_f16_sdwa v5, v2 dst_sel:DWORD dst_unused:UNUSED_PAD src0_sel:WORD_1
	v_cvt_f32_f16_e32 v2, v3
	v_cvt_f32_f16_sdwa v3, v3 dst_sel:DWORD dst_unused:UNUSED_PAD src0_sel:WORD_1
	v_add_lshl_u32 v6, v6, v50, 3
	s_waitcnt lgkmcnt(0)
	v_pk_fma_f32 v[4:5], v[0:1], v[4:5], 0 op_sel_hi:[0,1,0]
	v_mov_b32_e32 v0, v1
	v_pk_fma_f32 v[0:1], v[0:1], v[2:3], v[4:5] op_sel_hi:[0,1,1]
	global_store_dwordx2 v6, v[0:1], s[2:3]
.LBB25_524:
	s_or_b64 exec, exec, s[0:1]
	s_barrier
	s_endpgm
	.section	.rodata,"a",@progbits
	.p2align	6, 0x0
	.amdhsa_kernel _ZL18flash_attn_ext_f16ILi128ELi128ELi8ELi4ELb1ELb0EEvPKcS1_S1_S1_S1_PKiPfP15HIP_vector_typeIfLj2EEffffjfiS5_IjLj3EEiiiiiiiiiiiliiliiiiil
		.amdhsa_group_segment_fixed_size 0
		.amdhsa_private_segment_fixed_size 0
		.amdhsa_kernarg_size 464
		.amdhsa_user_sgpr_count 2
		.amdhsa_user_sgpr_dispatch_ptr 0
		.amdhsa_user_sgpr_queue_ptr 0
		.amdhsa_user_sgpr_kernarg_segment_ptr 1
		.amdhsa_user_sgpr_dispatch_id 0
		.amdhsa_user_sgpr_kernarg_preload_length 0
		.amdhsa_user_sgpr_kernarg_preload_offset 0
		.amdhsa_user_sgpr_private_segment_size 0
		.amdhsa_uses_dynamic_stack 0
		.amdhsa_enable_private_segment 0
		.amdhsa_system_sgpr_workgroup_id_x 1
		.amdhsa_system_sgpr_workgroup_id_y 0
		.amdhsa_system_sgpr_workgroup_id_z 0
		.amdhsa_system_sgpr_workgroup_info 0
		.amdhsa_system_vgpr_workitem_id 1
		.amdhsa_next_free_vgpr 213
		.amdhsa_next_free_sgpr 100
		.amdhsa_accum_offset 216
		.amdhsa_reserve_vcc 1
		.amdhsa_float_round_mode_32 0
		.amdhsa_float_round_mode_16_64 0
		.amdhsa_float_denorm_mode_32 3
		.amdhsa_float_denorm_mode_16_64 3
		.amdhsa_dx10_clamp 1
		.amdhsa_ieee_mode 1
		.amdhsa_fp16_overflow 0
		.amdhsa_tg_split 0
		.amdhsa_exception_fp_ieee_invalid_op 0
		.amdhsa_exception_fp_denorm_src 0
		.amdhsa_exception_fp_ieee_div_zero 0
		.amdhsa_exception_fp_ieee_overflow 0
		.amdhsa_exception_fp_ieee_underflow 0
		.amdhsa_exception_fp_ieee_inexact 0
		.amdhsa_exception_int_div_zero 0
	.end_amdhsa_kernel
	.section	.text._ZL18flash_attn_ext_f16ILi128ELi128ELi8ELi4ELb1ELb0EEvPKcS1_S1_S1_S1_PKiPfP15HIP_vector_typeIfLj2EEffffjfiS5_IjLj3EEiiiiiiiiiiiliiliiiiil,"axG",@progbits,_ZL18flash_attn_ext_f16ILi128ELi128ELi8ELi4ELb1ELb0EEvPKcS1_S1_S1_S1_PKiPfP15HIP_vector_typeIfLj2EEffffjfiS5_IjLj3EEiiiiiiiiiiiliiliiiiil,comdat
.Lfunc_end25:
	.size	_ZL18flash_attn_ext_f16ILi128ELi128ELi8ELi4ELb1ELb0EEvPKcS1_S1_S1_S1_PKiPfP15HIP_vector_typeIfLj2EEffffjfiS5_IjLj3EEiiiiiiiiiiiliiliiiiil, .Lfunc_end25-_ZL18flash_attn_ext_f16ILi128ELi128ELi8ELi4ELb1ELb0EEvPKcS1_S1_S1_S1_PKiPfP15HIP_vector_typeIfLj2EEffffjfiS5_IjLj3EEiiiiiiiiiiiliiliiiiil
                                        ; -- End function
	.set _ZL18flash_attn_ext_f16ILi128ELi128ELi8ELi4ELb1ELb0EEvPKcS1_S1_S1_S1_PKiPfP15HIP_vector_typeIfLj2EEffffjfiS5_IjLj3EEiiiiiiiiiiiliiliiiiil.num_vgpr, 213
	.set _ZL18flash_attn_ext_f16ILi128ELi128ELi8ELi4ELb1ELb0EEvPKcS1_S1_S1_S1_PKiPfP15HIP_vector_typeIfLj2EEffffjfiS5_IjLj3EEiiiiiiiiiiiliiliiiiil.num_agpr, 0
	.set _ZL18flash_attn_ext_f16ILi128ELi128ELi8ELi4ELb1ELb0EEvPKcS1_S1_S1_S1_PKiPfP15HIP_vector_typeIfLj2EEffffjfiS5_IjLj3EEiiiiiiiiiiiliiliiiiil.numbered_sgpr, 100
	.set _ZL18flash_attn_ext_f16ILi128ELi128ELi8ELi4ELb1ELb0EEvPKcS1_S1_S1_S1_PKiPfP15HIP_vector_typeIfLj2EEffffjfiS5_IjLj3EEiiiiiiiiiiiliiliiiiil.num_named_barrier, 0
	.set _ZL18flash_attn_ext_f16ILi128ELi128ELi8ELi4ELb1ELb0EEvPKcS1_S1_S1_S1_PKiPfP15HIP_vector_typeIfLj2EEffffjfiS5_IjLj3EEiiiiiiiiiiiliiliiiiil.private_seg_size, 0
	.set _ZL18flash_attn_ext_f16ILi128ELi128ELi8ELi4ELb1ELb0EEvPKcS1_S1_S1_S1_PKiPfP15HIP_vector_typeIfLj2EEffffjfiS5_IjLj3EEiiiiiiiiiiiliiliiiiil.uses_vcc, 1
	.set _ZL18flash_attn_ext_f16ILi128ELi128ELi8ELi4ELb1ELb0EEvPKcS1_S1_S1_S1_PKiPfP15HIP_vector_typeIfLj2EEffffjfiS5_IjLj3EEiiiiiiiiiiiliiliiiiil.uses_flat_scratch, 0
	.set _ZL18flash_attn_ext_f16ILi128ELi128ELi8ELi4ELb1ELb0EEvPKcS1_S1_S1_S1_PKiPfP15HIP_vector_typeIfLj2EEffffjfiS5_IjLj3EEiiiiiiiiiiiliiliiiiil.has_dyn_sized_stack, 0
	.set _ZL18flash_attn_ext_f16ILi128ELi128ELi8ELi4ELb1ELb0EEvPKcS1_S1_S1_S1_PKiPfP15HIP_vector_typeIfLj2EEffffjfiS5_IjLj3EEiiiiiiiiiiiliiliiiiil.has_recursion, 0
	.set _ZL18flash_attn_ext_f16ILi128ELi128ELi8ELi4ELb1ELb0EEvPKcS1_S1_S1_S1_PKiPfP15HIP_vector_typeIfLj2EEffffjfiS5_IjLj3EEiiiiiiiiiiiliiliiiiil.has_indirect_call, 0
	.section	.AMDGPU.csdata,"",@progbits
; Kernel info:
; codeLenInByte = 53684
; TotalNumSgprs: 106
; NumVgprs: 213
; NumAgprs: 0
; TotalNumVgprs: 213
; ScratchSize: 0
; MemoryBound: 0
; FloatMode: 240
; IeeeMode: 1
; LDSByteSize: 0 bytes/workgroup (compile time only)
; SGPRBlocks: 13
; VGPRBlocks: 26
; NumSGPRsForWavesPerEU: 106
; NumVGPRsForWavesPerEU: 213
; AccumOffset: 216
; Occupancy: 2
; WaveLimiterHint : 0
; COMPUTE_PGM_RSRC2:SCRATCH_EN: 0
; COMPUTE_PGM_RSRC2:USER_SGPR: 2
; COMPUTE_PGM_RSRC2:TRAP_HANDLER: 0
; COMPUTE_PGM_RSRC2:TGID_X_EN: 1
; COMPUTE_PGM_RSRC2:TGID_Y_EN: 0
; COMPUTE_PGM_RSRC2:TGID_Z_EN: 0
; COMPUTE_PGM_RSRC2:TIDIG_COMP_CNT: 1
; COMPUTE_PGM_RSRC3_GFX90A:ACCUM_OFFSET: 53
; COMPUTE_PGM_RSRC3_GFX90A:TG_SPLIT: 0
	.section	.text._ZL33flash_attn_stream_k_fixup_uniformILi128ELi8ELi4EEvPfPK15HIP_vector_typeIfLj2EEiiiiiiS1_IjLj3EES5_S5_,"axG",@progbits,_ZL33flash_attn_stream_k_fixup_uniformILi128ELi8ELi4EEvPfPK15HIP_vector_typeIfLj2EEiiiiiiS1_IjLj3EES5_S5_,comdat
	.globl	_ZL33flash_attn_stream_k_fixup_uniformILi128ELi8ELi4EEvPfPK15HIP_vector_typeIfLj2EEiiiiiiS1_IjLj3EES5_S5_ ; -- Begin function _ZL33flash_attn_stream_k_fixup_uniformILi128ELi8ELi4EEvPfPK15HIP_vector_typeIfLj2EEiiiiiiS1_IjLj3EES5_S5_
	.p2align	8
	.type	_ZL33flash_attn_stream_k_fixup_uniformILi128ELi8ELi4EEvPfPK15HIP_vector_typeIfLj2EEiiiiiiS1_IjLj3EES5_S5_,@function
_ZL33flash_attn_stream_k_fixup_uniformILi128ELi8ELi4EEvPfPK15HIP_vector_typeIfLj2EEiiiiiiS1_IjLj3EES5_S5_: ; @_ZL33flash_attn_stream_k_fixup_uniformILi128ELi8ELi4EEvPfPK15HIP_vector_typeIfLj2EEiiiiiiS1_IjLj3EES5_S5_
; %bb.0:
	s_load_dwordx8 s[8:15], s[0:1], 0x1c
	s_load_dwordx2 s[6:7], s[0:1], 0x10
	s_load_dwordx4 s[20:23], s[0:1], 0x3c
	s_waitcnt lgkmcnt(0)
	s_mul_hi_u32 s5, s11, s2
	s_add_i32 s5, s2, s5
	s_lshr_b32 s5, s5, s12
	s_mul_i32 s11, s5, s13
	s_sub_i32 s11, s2, s11
	s_mul_hi_u32 s12, s11, s14
	s_add_i32 s12, s11, s12
	s_lshr_b32 s16, s12, s15
	s_mul_i32 s12, s16, s20
	s_sub_i32 s11, s11, s12
	;; [unrolled: 5-line block ×3, first 2 shown]
	s_lshl_b32 s11, s12, 2
	s_lshl_b32 s12, s17, 3
	s_add_i32 s12, s12, s3
	s_cmp_lt_i32 s12, s6
	s_cselect_b64 s[12:13], -1, 0
	s_add_i32 s14, s11, s4
	s_cmp_lt_i32 s14, s9
	s_cselect_b64 s[14:15], -1, 0
	s_and_b64 s[12:13], s[12:13], s[14:15]
	s_andn2_b64 vcc, exec, s[12:13]
	s_cbranch_vccnz .LBB26_6
; %bb.1:
	s_load_dwordx4 s[12:15], s[0:1], 0x0
	s_mul_i32 s0, s5, s6
	s_add_i32 s0, s0, s3
	s_mul_i32 s0, s0, s7
	s_mul_i32 s16, s16, s9
	s_add_i32 s0, s0, s4
	s_add_i32 s0, s0, s16
	s_mul_i32 s1, s7, s17
	s_add_i32 s0, s0, s11
	s_lshl_b32 s1, s1, 10
	s_lshl_b32 s0, s0, 7
	s_add_i32 s1, s1, s0
	v_or_b32_e32 v4, s1, v0
	s_waitcnt lgkmcnt(0)
	v_mov_b32_e32 v2, s12
	v_mov_b32_e32 v3, s13
	v_ashrrev_i32_e32 v5, 31, v4
	v_lshl_add_u64 v[2:3], v[4:5], 2, v[2:3]
	global_load_dword v5, v[2:3], off
	s_mul_i32 s5, s10, s2
	s_lshl_b32 s11, s3, 2
	s_add_i32 s9, s5, s10
	s_add_i32 s0, s11, s4
	s_lshl_b32 s1, s9, 5
	s_add_i32 s0, s0, s1
	s_sub_i32 s0, s0, 32
	s_ashr_i32 s1, s0, 31
	s_lshl_b64 s[0:1], s[0:1], 3
	s_add_u32 s0, s14, s0
	s_addc_u32 s1, s15, s1
	s_load_dword s12, s[0:1], 0x4
	s_add_i32 s6, s9, -2
	s_cmp_lt_i32 s6, s5
	s_cbranch_scc1 .LBB26_4
; %bb.2:
	s_lshl_b32 s6, s8, 7
	s_ashr_i32 s7, s6, 31
	s_lshl_b64 s[6:7], s[6:7], 2
	s_add_u32 s6, s14, s6
	s_addc_u32 s7, s15, s7
	s_add_i32 s2, s2, 1
	s_load_dword s0, s[0:1], 0x0
	s_mul_i32 s1, s10, s2
	s_lshl_b32 s3, s3, 9
	s_lshl_b32 s10, s4, 7
	;; [unrolled: 1-line block ×3, first 2 shown]
	s_add_i32 s3, s10, s3
	s_lshl_b32 s1, s1, 5
	s_add_i32 s3, s3, s2
	s_add_i32 s1, s4, s1
	s_lshl_b32 s2, s8, 5
	s_add_i32 s1, s1, s2
	v_or_b32_e32 v0, s3, v0
	s_add_i32 s1, s1, s11
	s_add_i32 s9, s9, -1
	v_add_u32_e32 v0, 0xffffe000, v0
	s_sub_i32 s2, s1, 64
	s_waitcnt lgkmcnt(0)
	v_mov_b32_e32 v7, s0
	v_mov_b32_e32 v4, s12
	s_mov_b32 s4, 0x3fb8aa3b
	s_mov_b32 s8, 0xc2ce8ed0
	;; [unrolled: 1-line block ×3, first 2 shown]
	v_mov_b32_e32 v6, 0x7f800000
	s_mov_b32 s11, 0xc1a00000
.LBB26_3:                               ; =>This Inner Loop Header: Depth=1
	v_ashrrev_i32_e32 v1, 31, v0
	v_lshl_add_u64 v[8:9], v[0:1], 2, s[6:7]
	global_load_dword v9, v[8:9], off
	s_ashr_i32 s3, s2, 31
	s_lshl_b64 s[0:1], s[2:3], 3
	s_add_u32 s0, s14, s0
	s_addc_u32 s1, s15, s1
	s_load_dwordx2 s[0:1], s[0:1], 0x0
	v_max_f32_e32 v1, v7, v7
	s_add_i32 s9, s9, -1
	s_sub_i32 s2, s2, 32
	v_add_u32_e32 v0, 0xfffff000, v0
	s_waitcnt lgkmcnt(0)
	v_max_f32_e64 v10, s0, s0
	v_max_f32_e32 v1, v1, v10
	v_sub_f32_e32 v11, s0, v1
	v_sub_f32_e32 v10, v7, v1
	v_mul_f32_e32 v12, 0x3fb8aa3b, v11
	v_mov_b32_e32 v7, v1
	v_mul_f32_e32 v1, 0x3fb8aa3b, v10
	v_fma_f32 v15, v11, s4, -v12
	v_rndne_f32_e32 v16, v12
	v_fma_f32 v13, v10, s4, -v1
	v_rndne_f32_e32 v14, v1
	v_fmac_f32_e32 v15, 0x32a5705f, v11
	v_sub_f32_e32 v12, v12, v16
	v_fmac_f32_e32 v13, 0x32a5705f, v10
	v_sub_f32_e32 v1, v1, v14
	v_add_f32_e32 v12, v12, v15
	v_cvt_i32_f32_e32 v16, v16
	v_add_f32_e32 v1, v1, v13
	v_exp_f32_e32 v12, v12
	v_cvt_i32_f32_e32 v14, v14
	v_exp_f32_e32 v1, v1
	v_cmp_ngt_f32_e32 vcc, s8, v11
	v_ldexp_f32 v12, v12, v16
	v_mov_b32_e32 v8, s1
	v_ldexp_f32 v1, v1, v14
	v_cmp_ngt_f32_e64 s[0:1], s8, v10
	v_cndmask_b32_e32 v12, 0, v12, vcc
	v_cmp_nlt_f32_e32 vcc, s10, v11
	v_cndmask_b32_e64 v1, 0, v1, s[0:1]
	v_cmp_nlt_f32_e64 s[0:1], s10, v10
	v_cndmask_b32_e32 v12, v6, v12, vcc
	v_cmp_le_f32_e32 vcc, s11, v11
	v_cndmask_b32_e64 v1, v6, v1, s[0:1]
	v_cmp_le_f32_e64 s[0:1], s11, v10
	v_cndmask_b32_e32 v12, 0, v12, vcc
	s_cmp_le_i32 s9, s5
	v_cndmask_b32_e64 v10, 0, v1, s[0:1]
	s_waitcnt vmcnt(0)
	v_pk_mul_f32 v[8:9], v[8:9], v[12:13] op_sel_hi:[1,0]
	s_nop 0
	v_pk_fma_f32 v[4:5], v[4:5], v[10:11], v[8:9] op_sel_hi:[1,0,1]
	s_cbranch_scc0 .LBB26_3
	s_branch .LBB26_5
.LBB26_4:
	s_waitcnt lgkmcnt(0)
	v_mov_b32_e32 v4, s12
.LBB26_5:
	s_waitcnt vmcnt(0)
	v_div_scale_f32 v0, s[0:1], v4, v4, v5
	v_rcp_f32_e32 v1, v0
	v_div_scale_f32 v6, vcc, v5, v4, v5
	v_fma_f32 v7, -v0, v1, 1.0
	v_fmac_f32_e32 v1, v7, v1
	v_mul_f32_e32 v7, v6, v1
	v_fma_f32 v8, -v0, v7, v6
	v_fmac_f32_e32 v7, v8, v1
	v_fma_f32 v0, -v0, v7, v6
	v_div_fmas_f32 v0, v0, v1, v7
	v_div_fixup_f32 v0, v0, v4, v5
	global_store_dword v[2:3], v0, off
.LBB26_6:
	s_endpgm
	.section	.rodata,"a",@progbits
	.p2align	6, 0x0
	.amdhsa_kernel _ZL33flash_attn_stream_k_fixup_uniformILi128ELi8ELi4EEvPfPK15HIP_vector_typeIfLj2EEiiiiiiS1_IjLj3EES5_S5_
		.amdhsa_group_segment_fixed_size 0
		.amdhsa_private_segment_fixed_size 0
		.amdhsa_kernarg_size 76
		.amdhsa_user_sgpr_count 2
		.amdhsa_user_sgpr_dispatch_ptr 0
		.amdhsa_user_sgpr_queue_ptr 0
		.amdhsa_user_sgpr_kernarg_segment_ptr 1
		.amdhsa_user_sgpr_dispatch_id 0
		.amdhsa_user_sgpr_kernarg_preload_length 0
		.amdhsa_user_sgpr_kernarg_preload_offset 0
		.amdhsa_user_sgpr_private_segment_size 0
		.amdhsa_uses_dynamic_stack 0
		.amdhsa_enable_private_segment 0
		.amdhsa_system_sgpr_workgroup_id_x 1
		.amdhsa_system_sgpr_workgroup_id_y 1
		.amdhsa_system_sgpr_workgroup_id_z 1
		.amdhsa_system_sgpr_workgroup_info 0
		.amdhsa_system_vgpr_workitem_id 0
		.amdhsa_next_free_vgpr 17
		.amdhsa_next_free_sgpr 24
		.amdhsa_accum_offset 20
		.amdhsa_reserve_vcc 1
		.amdhsa_float_round_mode_32 0
		.amdhsa_float_round_mode_16_64 0
		.amdhsa_float_denorm_mode_32 3
		.amdhsa_float_denorm_mode_16_64 3
		.amdhsa_dx10_clamp 1
		.amdhsa_ieee_mode 1
		.amdhsa_fp16_overflow 0
		.amdhsa_tg_split 0
		.amdhsa_exception_fp_ieee_invalid_op 0
		.amdhsa_exception_fp_denorm_src 0
		.amdhsa_exception_fp_ieee_div_zero 0
		.amdhsa_exception_fp_ieee_overflow 0
		.amdhsa_exception_fp_ieee_underflow 0
		.amdhsa_exception_fp_ieee_inexact 0
		.amdhsa_exception_int_div_zero 0
	.end_amdhsa_kernel
	.section	.text._ZL33flash_attn_stream_k_fixup_uniformILi128ELi8ELi4EEvPfPK15HIP_vector_typeIfLj2EEiiiiiiS1_IjLj3EES5_S5_,"axG",@progbits,_ZL33flash_attn_stream_k_fixup_uniformILi128ELi8ELi4EEvPfPK15HIP_vector_typeIfLj2EEiiiiiiS1_IjLj3EES5_S5_,comdat
.Lfunc_end26:
	.size	_ZL33flash_attn_stream_k_fixup_uniformILi128ELi8ELi4EEvPfPK15HIP_vector_typeIfLj2EEiiiiiiS1_IjLj3EES5_S5_, .Lfunc_end26-_ZL33flash_attn_stream_k_fixup_uniformILi128ELi8ELi4EEvPfPK15HIP_vector_typeIfLj2EEiiiiiiS1_IjLj3EES5_S5_
                                        ; -- End function
	.set _ZL33flash_attn_stream_k_fixup_uniformILi128ELi8ELi4EEvPfPK15HIP_vector_typeIfLj2EEiiiiiiS1_IjLj3EES5_S5_.num_vgpr, 17
	.set _ZL33flash_attn_stream_k_fixup_uniformILi128ELi8ELi4EEvPfPK15HIP_vector_typeIfLj2EEiiiiiiS1_IjLj3EES5_S5_.num_agpr, 0
	.set _ZL33flash_attn_stream_k_fixup_uniformILi128ELi8ELi4EEvPfPK15HIP_vector_typeIfLj2EEiiiiiiS1_IjLj3EES5_S5_.numbered_sgpr, 24
	.set _ZL33flash_attn_stream_k_fixup_uniformILi128ELi8ELi4EEvPfPK15HIP_vector_typeIfLj2EEiiiiiiS1_IjLj3EES5_S5_.num_named_barrier, 0
	.set _ZL33flash_attn_stream_k_fixup_uniformILi128ELi8ELi4EEvPfPK15HIP_vector_typeIfLj2EEiiiiiiS1_IjLj3EES5_S5_.private_seg_size, 0
	.set _ZL33flash_attn_stream_k_fixup_uniformILi128ELi8ELi4EEvPfPK15HIP_vector_typeIfLj2EEiiiiiiS1_IjLj3EES5_S5_.uses_vcc, 1
	.set _ZL33flash_attn_stream_k_fixup_uniformILi128ELi8ELi4EEvPfPK15HIP_vector_typeIfLj2EEiiiiiiS1_IjLj3EES5_S5_.uses_flat_scratch, 0
	.set _ZL33flash_attn_stream_k_fixup_uniformILi128ELi8ELi4EEvPfPK15HIP_vector_typeIfLj2EEiiiiiiS1_IjLj3EES5_S5_.has_dyn_sized_stack, 0
	.set _ZL33flash_attn_stream_k_fixup_uniformILi128ELi8ELi4EEvPfPK15HIP_vector_typeIfLj2EEiiiiiiS1_IjLj3EES5_S5_.has_recursion, 0
	.set _ZL33flash_attn_stream_k_fixup_uniformILi128ELi8ELi4EEvPfPK15HIP_vector_typeIfLj2EEiiiiiiS1_IjLj3EES5_S5_.has_indirect_call, 0
	.section	.AMDGPU.csdata,"",@progbits
; Kernel info:
; codeLenInByte = 836
; TotalNumSgprs: 30
; NumVgprs: 17
; NumAgprs: 0
; TotalNumVgprs: 17
; ScratchSize: 0
; MemoryBound: 0
; FloatMode: 240
; IeeeMode: 1
; LDSByteSize: 0 bytes/workgroup (compile time only)
; SGPRBlocks: 3
; VGPRBlocks: 2
; NumSGPRsForWavesPerEU: 30
; NumVGPRsForWavesPerEU: 17
; AccumOffset: 20
; Occupancy: 8
; WaveLimiterHint : 0
; COMPUTE_PGM_RSRC2:SCRATCH_EN: 0
; COMPUTE_PGM_RSRC2:USER_SGPR: 2
; COMPUTE_PGM_RSRC2:TRAP_HANDLER: 0
; COMPUTE_PGM_RSRC2:TGID_X_EN: 1
; COMPUTE_PGM_RSRC2:TGID_Y_EN: 1
; COMPUTE_PGM_RSRC2:TGID_Z_EN: 1
; COMPUTE_PGM_RSRC2:TIDIG_COMP_CNT: 0
; COMPUTE_PGM_RSRC3_GFX90A:ACCUM_OFFSET: 4
; COMPUTE_PGM_RSRC3_GFX90A:TG_SPLIT: 0
	.section	.text._ZL33flash_attn_stream_k_fixup_generalILi128ELi8ELi4EEvPfPK15HIP_vector_typeIfLj2EEiiiiS1_IjLj3EES5_S5_S5_,"axG",@progbits,_ZL33flash_attn_stream_k_fixup_generalILi128ELi8ELi4EEvPfPK15HIP_vector_typeIfLj2EEiiiiS1_IjLj3EES5_S5_S5_,comdat
	.globl	_ZL33flash_attn_stream_k_fixup_generalILi128ELi8ELi4EEvPfPK15HIP_vector_typeIfLj2EEiiiiS1_IjLj3EES5_S5_S5_ ; -- Begin function _ZL33flash_attn_stream_k_fixup_generalILi128ELi8ELi4EEvPfPK15HIP_vector_typeIfLj2EEiiiiS1_IjLj3EES5_S5_S5_
	.p2align	8
	.type	_ZL33flash_attn_stream_k_fixup_generalILi128ELi8ELi4EEvPfPK15HIP_vector_typeIfLj2EEiiiiS1_IjLj3EES5_S5_S5_,@function
_ZL33flash_attn_stream_k_fixup_generalILi128ELi8ELi4EEvPfPK15HIP_vector_typeIfLj2EEiiiiS1_IjLj3EES5_S5_S5_: ; @_ZL33flash_attn_stream_k_fixup_generalILi128ELi8ELi4EEvPfPK15HIP_vector_typeIfLj2EEiiiiS1_IjLj3EES5_S5_S5_
; %bb.0:
	s_load_dwordx4 s[8:11], s[0:1], 0x10
	s_load_dword s22, s[0:1], 0x50
	s_mov_b32 s12, 0
	s_waitcnt lgkmcnt(0)
	s_mul_hi_i32 s13, s11, s2
	s_cmp_lg_u64 s[12:13], 0
	s_mul_i32 s5, s11, s2
	s_cbranch_scc0 .LBB27_20
; %bb.1:
	s_add_u32 s6, s22, 0
	s_addc_u32 s7, 0, 0
	s_xor_b64 s[6:7], s[6:7], 0
	v_cvt_f32_u32_e32 v1, s6
	v_cvt_f32_u32_e32 v2, s7
	s_sub_u32 s12, 0, s6
	s_subb_u32 s18, 0, s7
	v_fmamk_f32 v1, v2, 0x4f800000, v1
	v_rcp_f32_e32 v1, v1
	s_nop 0
	v_mul_f32_e32 v1, 0x5f7ffffc, v1
	v_mul_f32_e32 v2, 0x2f800000, v1
	v_trunc_f32_e32 v2, v2
	v_fmamk_f32 v1, v2, 0xcf800000, v1
	v_cvt_u32_f32_e32 v2, v2
	v_cvt_u32_f32_e32 v1, v1
	v_readfirstlane_b32 s19, v2
	v_readfirstlane_b32 s14, v1
	s_mul_i32 s15, s12, s19
	s_mul_hi_u32 s21, s12, s14
	s_mul_i32 s20, s18, s14
	s_add_i32 s15, s21, s15
	s_add_i32 s15, s15, s20
	s_mul_i32 s23, s12, s14
	s_mul_i32 s21, s14, s15
	s_mul_hi_u32 s24, s14, s23
	s_mul_hi_u32 s20, s14, s15
	s_add_u32 s21, s24, s21
	s_addc_u32 s20, 0, s20
	s_mul_hi_u32 s25, s19, s23
	s_mul_i32 s23, s19, s23
	s_add_u32 s21, s21, s23
	s_mul_hi_u32 s24, s19, s15
	s_addc_u32 s20, s20, s25
	s_addc_u32 s21, s24, 0
	s_mul_i32 s15, s19, s15
	s_add_u32 s15, s20, s15
	s_addc_u32 s20, 0, s21
	s_add_u32 s21, s14, s15
	s_cselect_b64 s[14:15], -1, 0
	s_cmp_lg_u64 s[14:15], 0
	s_addc_u32 s19, s19, s20
	s_mul_i32 s14, s12, s19
	s_mul_hi_u32 s15, s12, s21
	s_add_i32 s14, s15, s14
	s_mul_i32 s18, s18, s21
	s_add_i32 s14, s14, s18
	s_mul_i32 s12, s12, s21
	s_mul_hi_u32 s18, s19, s12
	s_mul_i32 s20, s19, s12
	s_mul_i32 s24, s21, s14
	s_mul_hi_u32 s12, s21, s12
	s_mul_hi_u32 s23, s21, s14
	s_add_u32 s12, s12, s24
	s_addc_u32 s23, 0, s23
	s_add_u32 s12, s12, s20
	s_mul_hi_u32 s15, s19, s14
	s_addc_u32 s12, s23, s18
	s_addc_u32 s15, s15, 0
	s_mul_i32 s14, s19, s14
	s_add_u32 s12, s12, s14
	s_addc_u32 s18, 0, s15
	s_add_u32 s20, s21, s12
	s_cselect_b64 s[14:15], -1, 0
	s_cmp_lg_u64 s[14:15], 0
	s_addc_u32 s18, s19, s18
	s_ashr_i32 s14, s13, 31
	s_add_u32 s12, s5, s14
	s_mov_b32 s15, s14
	s_addc_u32 s13, s13, s14
	s_xor_b64 s[12:13], s[12:13], s[14:15]
	s_mul_i32 s21, s12, s18
	s_mul_hi_u32 s23, s12, s20
	s_mul_hi_u32 s19, s12, s18
	s_add_u32 s21, s23, s21
	s_addc_u32 s19, 0, s19
	s_mul_hi_u32 s24, s13, s20
	s_mul_i32 s20, s13, s20
	s_add_u32 s20, s21, s20
	s_mul_hi_u32 s23, s13, s18
	s_addc_u32 s19, s19, s24
	s_addc_u32 s20, s23, 0
	s_mul_i32 s18, s13, s18
	s_add_u32 s23, s19, s18
	s_addc_u32 s24, 0, s20
	s_mul_i32 s18, s6, s24
	s_mul_hi_u32 s19, s6, s23
	s_add_i32 s18, s19, s18
	s_mul_i32 s19, s7, s23
	s_add_i32 s25, s18, s19
	s_sub_i32 s20, s13, s25
	s_mul_i32 s18, s6, s23
	s_sub_u32 s12, s12, s18
	s_cselect_b64 s[18:19], -1, 0
	s_cmp_lg_u64 s[18:19], 0
	s_subb_u32 s26, s20, s7
	s_sub_u32 s27, s12, s6
	s_cselect_b64 s[20:21], -1, 0
	s_cmp_lg_u64 s[20:21], 0
	s_subb_u32 s20, s26, 0
	s_cmp_ge_u32 s20, s7
	s_cselect_b32 s21, -1, 0
	s_cmp_ge_u32 s27, s6
	s_cselect_b32 s26, -1, 0
	s_cmp_eq_u32 s20, s7
	s_cselect_b32 s20, s26, s21
	s_add_u32 s21, s23, 1
	s_addc_u32 s26, s24, 0
	s_add_u32 s27, s23, 2
	s_addc_u32 s28, s24, 0
	s_cmp_lg_u32 s20, 0
	s_cselect_b32 s20, s27, s21
	s_cselect_b32 s21, s28, s26
	s_cmp_lg_u64 s[18:19], 0
	s_subb_u32 s13, s13, s25
	s_cmp_ge_u32 s13, s7
	s_cselect_b32 s18, -1, 0
	s_cmp_ge_u32 s12, s6
	s_cselect_b32 s6, -1, 0
	s_cmp_eq_u32 s13, s7
	s_cselect_b32 s6, s6, s18
	s_cmp_lg_u32 s6, 0
	s_cselect_b32 s7, s21, s24
	s_cselect_b32 s6, s20, s23
	s_xor_b64 s[12:13], s[14:15], 0
	s_xor_b64 s[6:7], s[6:7], s[12:13]
	s_sub_u32 s6, s6, s12
	s_load_dwordx4 s[12:15], s[0:1], 0x44
	s_cbranch_execnz .LBB27_3
.LBB27_2:
	v_cvt_f32_u32_e32 v1, s22
	s_sub_i32 s6, 0, s22
	v_rcp_iflag_f32_e32 v1, v1
	s_nop 0
	v_mul_f32_e32 v1, 0x4f7ffffe, v1
	v_cvt_u32_f32_e32 v1, v1
	s_nop 0
	v_readfirstlane_b32 s7, v1
	s_mul_i32 s6, s6, s7
	s_mul_hi_u32 s6, s7, s6
	s_add_i32 s7, s7, s6
	s_mul_hi_u32 s6, s5, s7
	s_waitcnt lgkmcnt(0)
	s_mul_i32 s15, s6, s22
	s_sub_i32 s5, s5, s15
	s_add_i32 s7, s6, 1
	s_sub_i32 s15, s5, s22
	s_cmp_ge_u32 s5, s22
	s_cselect_b32 s6, s7, s6
	s_cselect_b32 s5, s15, s5
	s_add_i32 s7, s6, 1
	s_cmp_ge_u32 s5, s22
	s_cselect_b32 s6, s7, s6
.LBB27_3:
	s_add_i32 s5, s2, 1
	s_mul_hi_i32 s21, s11, s5
	s_mov_b32 s20, 0
	s_cmp_lg_u64 s[20:21], 0
	s_mul_i32 s5, s11, s5
	s_cbranch_scc0 .LBB27_21
; %bb.4:
	s_add_u32 s16, s22, 0
	s_addc_u32 s17, 0, 0
	s_xor_b64 s[18:19], s[16:17], 0
	v_cvt_f32_u32_e32 v1, s18
	v_cvt_f32_u32_e32 v2, s19
	s_sub_u32 s7, 0, s18
	s_waitcnt lgkmcnt(0)
	s_subb_u32 s15, 0, s19
	v_fmamk_f32 v1, v2, 0x4f800000, v1
	v_rcp_f32_e32 v1, v1
	s_nop 0
	v_mul_f32_e32 v1, 0x5f7ffffc, v1
	v_mul_f32_e32 v2, 0x2f800000, v1
	v_trunc_f32_e32 v2, v2
	v_fmamk_f32 v1, v2, 0xcf800000, v1
	v_cvt_u32_f32_e32 v2, v2
	v_cvt_u32_f32_e32 v1, v1
	v_readfirstlane_b32 s20, v2
	v_readfirstlane_b32 s23, v1
	s_mul_i32 s24, s7, s20
	s_mul_hi_u32 s26, s7, s23
	s_mul_i32 s25, s15, s23
	s_add_i32 s24, s26, s24
	s_add_i32 s24, s24, s25
	s_mul_i32 s27, s7, s23
	s_mul_i32 s26, s23, s24
	s_mul_hi_u32 s28, s23, s27
	s_mul_hi_u32 s25, s23, s24
	s_add_u32 s26, s28, s26
	s_addc_u32 s25, 0, s25
	s_mul_hi_u32 s29, s20, s27
	s_mul_i32 s27, s20, s27
	s_add_u32 s26, s26, s27
	s_mul_hi_u32 s28, s20, s24
	s_addc_u32 s25, s25, s29
	s_addc_u32 s26, s28, 0
	s_mul_i32 s24, s20, s24
	s_add_u32 s24, s25, s24
	s_addc_u32 s26, 0, s26
	s_add_u32 s23, s23, s24
	s_cselect_b64 s[24:25], -1, 0
	s_cmp_lg_u64 s[24:25], 0
	s_addc_u32 s20, s20, s26
	s_mul_i32 s24, s7, s20
	s_mul_hi_u32 s25, s7, s23
	s_add_i32 s24, s25, s24
	s_mul_i32 s15, s15, s23
	s_add_i32 s24, s24, s15
	s_mul_i32 s7, s7, s23
	s_mul_hi_u32 s25, s20, s7
	s_mul_i32 s26, s20, s7
	s_mul_i32 s28, s23, s24
	s_mul_hi_u32 s7, s23, s7
	s_mul_hi_u32 s27, s23, s24
	s_add_u32 s7, s7, s28
	s_addc_u32 s27, 0, s27
	s_add_u32 s7, s7, s26
	s_mul_hi_u32 s15, s20, s24
	s_addc_u32 s7, s27, s25
	s_addc_u32 s15, s15, 0
	s_mul_i32 s24, s20, s24
	s_add_u32 s7, s7, s24
	s_addc_u32 s15, 0, s15
	s_add_u32 s7, s23, s7
	s_cselect_b64 s[24:25], -1, 0
	s_cmp_lg_u64 s[24:25], 0
	s_addc_u32 s15, s20, s15
	s_ashr_i32 s24, s21, 31
	s_add_u32 s20, s5, s24
	s_mov_b32 s25, s24
	s_addc_u32 s21, s21, s24
	s_xor_b64 s[20:21], s[20:21], s[24:25]
	s_mul_i32 s26, s20, s15
	s_mul_hi_u32 s27, s20, s7
	s_mul_hi_u32 s23, s20, s15
	s_add_u32 s26, s27, s26
	s_addc_u32 s23, 0, s23
	s_mul_hi_u32 s28, s21, s7
	s_mul_i32 s7, s21, s7
	s_add_u32 s7, s26, s7
	s_mul_hi_u32 s27, s21, s15
	s_addc_u32 s7, s23, s28
	s_addc_u32 s23, s27, 0
	s_mul_i32 s15, s21, s15
	s_add_u32 s7, s7, s15
	s_addc_u32 s15, 0, s23
	s_mul_i32 s23, s18, s15
	s_mul_hi_u32 s26, s18, s7
	s_add_i32 s23, s26, s23
	s_mul_i32 s26, s19, s7
	s_add_i32 s23, s23, s26
	s_sub_i32 s28, s21, s23
	s_mul_i32 s26, s18, s7
	s_sub_u32 s20, s20, s26
	s_cselect_b64 s[26:27], -1, 0
	s_cmp_lg_u64 s[26:27], 0
	s_subb_u32 s30, s28, s19
	s_sub_u32 s31, s20, s18
	s_cselect_b64 s[28:29], -1, 0
	s_cmp_lg_u64 s[28:29], 0
	s_subb_u32 s28, s30, 0
	s_cmp_ge_u32 s28, s19
	s_cselect_b32 s29, -1, 0
	s_cmp_ge_u32 s31, s18
	s_cselect_b32 s30, -1, 0
	s_cmp_eq_u32 s28, s19
	s_cselect_b32 s28, s30, s29
	s_add_u32 s29, s7, 1
	s_addc_u32 s30, s15, 0
	s_add_u32 s31, s7, 2
	s_addc_u32 s33, s15, 0
	s_cmp_lg_u32 s28, 0
	s_cselect_b32 s28, s31, s29
	s_cselect_b32 s29, s33, s30
	s_cmp_lg_u64 s[26:27], 0
	s_subb_u32 s21, s21, s23
	s_cmp_ge_u32 s21, s19
	s_cselect_b32 s23, -1, 0
	s_cmp_ge_u32 s20, s18
	s_cselect_b32 s18, -1, 0
	s_cmp_eq_u32 s21, s19
	s_cselect_b32 s18, s18, s23
	s_cmp_lg_u32 s18, 0
	s_cselect_b32 s19, s29, s15
	s_cselect_b32 s18, s28, s7
	s_xor_b64 s[20:21], s[24:25], 0
	s_xor_b64 s[18:19], s[18:19], s[20:21]
	s_sub_u32 s18, s18, s20
	s_cbranch_execnz .LBB27_6
.LBB27_5:
	v_cvt_f32_u32_e32 v1, s22
	s_sub_i32 s7, 0, s22
	v_rcp_iflag_f32_e32 v1, v1
	s_nop 0
	v_mul_f32_e32 v1, 0x4f7ffffe, v1
	v_cvt_u32_f32_e32 v1, v1
	s_waitcnt lgkmcnt(0)
	v_readfirstlane_b32 s15, v1
	s_mul_i32 s7, s7, s15
	s_mul_hi_u32 s7, s15, s7
	s_add_i32 s15, s15, s7
	s_mul_hi_u32 s7, s5, s15
	s_mul_i32 s16, s7, s22
	s_sub_i32 s5, s5, s16
	s_add_i32 s15, s7, 1
	s_sub_i32 s16, s5, s22
	s_cmp_ge_u32 s5, s22
	s_cselect_b32 s7, s15, s7
	s_cselect_b32 s5, s16, s5
	s_add_i32 s15, s7, 1
	s_cmp_ge_u32 s5, s22
	s_cselect_b32 s18, s15, s7
.LBB27_6:
	s_cmp_eq_u32 s6, s18
	s_waitcnt lgkmcnt(0)
	s_mul_hi_u32 s5, s6, s12
	s_cselect_b64 s[16:17], -1, 0
	s_add_i32 s5, s5, s6
	s_lshr_b32 s7, s5, s13
	s_mul_i32 s5, s7, s14
	s_cmp_eq_u32 s5, s6
	s_mul_hi_u32 s5, s18, s12
	s_cselect_b64 s[20:21], -1, 0
	s_add_i32 s5, s5, s18
	s_lshr_b32 s5, s5, s13
	s_cmp_eq_u32 s7, s5
	s_mul_i32 s5, s5, s14
	s_cselect_b64 s[24:25], -1, 0
	s_cmp_lg_u32 s5, s18
	s_cselect_b64 s[18:19], -1, 0
	s_and_b64 s[18:19], s[24:25], s[18:19]
	s_or_b64 s[16:17], s[16:17], s[20:21]
	s_or_b64 s[16:17], s[16:17], s[18:19]
	s_and_b64 vcc, exec, s[16:17]
	s_cbranch_vccnz .LBB27_23
; %bb.7:
	s_load_dwordx8 s[24:31], s[0:1], 0x20
	s_load_dword s15, s[0:1], 0x40
	s_waitcnt lgkmcnt(0)
	s_mul_hi_u32 s5, s6, s24
	s_add_i32 s5, s5, s6
	s_lshr_b32 s5, s5, s25
	s_mul_i32 s16, s5, s26
	s_sub_i32 s16, s6, s16
	s_mul_hi_u32 s17, s16, s27
	s_add_i32 s17, s16, s17
	s_lshr_b32 s20, s17, s28
	s_mul_i32 s17, s20, s29
	s_sub_i32 s16, s16, s17
	;; [unrolled: 5-line block ×3, first 2 shown]
	s_mul_hi_u32 s16, s15, s12
	s_add_i32 s15, s15, s16
	s_lshr_b32 s23, s15, s13
	s_lshl_b32 s15, s23, 3
	s_lshl_b32 s21, s17, 2
	s_add_i32 s15, s15, s3
	s_cmp_lt_i32 s15, s8
	s_cselect_b64 s[16:17], -1, 0
	s_add_i32 s15, s21, s4
	s_cmp_lt_i32 s15, s10
	s_cselect_b64 s[18:19], -1, 0
	s_and_b64 s[16:17], s[16:17], s[18:19]
	s_andn2_b64 vcc, exec, s[16:17]
	s_cbranch_vccnz .LBB27_23
; %bb.8:
	s_load_dwordx4 s[16:19], s[0:1], 0x0
	s_mov_b32 s0, 0
	s_lshl_b32 s15, s3, 2
	s_lshl_b32 s24, s22, 7
	s_mov_b32 s25, s0
	s_add_i32 s15, s15, s4
	s_waitcnt lgkmcnt(0)
	v_mov_b32_e32 v2, s16
	v_mov_b32_e32 v3, s17
	s_lshl_b64 s[16:17], s[24:25], 2
	s_add_u32 s16, s18, s16
	s_mul_i32 s1, s5, s8
	s_addc_u32 s17, s19, s17
	s_add_i32 s1, s1, s3
	s_mul_i32 s1, s1, s9
	s_mul_i32 s20, s20, s10
	s_add_i32 s1, s1, s4
	s_add_i32 s1, s1, s20
	s_mul_i32 s5, s9, s23
	s_add_i32 s1, s1, s21
	s_lshl_b32 s5, s5, 10
	s_lshl_b32 s1, s1, 7
	s_add_i32 s5, s5, s1
	v_or_b32_e32 v4, s5, v0
	v_ashrrev_i32_e32 v5, 31, v4
	v_lshl_add_u64 v[2:3], v[4:5], 2, v[2:3]
	global_load_dword v1, v[2:3], off
	v_cvt_f32_u32_e32 v4, s22
	s_lshl_b32 s1, s2, 5
	s_add_i32 s4, s15, s1
	s_ashr_i32 s5, s4, 31
	s_lshl_b64 s[4:5], s[4:5], 3
	v_rcp_iflag_f32_e32 v4, v4
	s_add_u32 s4, s18, s4
	s_addc_u32 s5, s19, s5
	s_load_dwordx2 s[4:5], s[4:5], 0x0
	v_mul_f32_e32 v4, 0x4f7ffffe, v4
	v_cvt_u32_f32_e32 v7, v4
	s_add_i32 s24, s2, -1
	v_lshl_or_b32 v6, s15, 7, v0
	s_waitcnt lgkmcnt(0)
	v_mov_b32_e32 v0, s5
	v_mov_b32_e32 v9, s4
	s_mov_b32 s10, 0x3fb8aa3b
	s_mov_b32 s20, 0xc2ce8ed0
	;; [unrolled: 1-line block ×4, first 2 shown]
	v_mov_b32_e32 v8, 0x7f800000
	s_mul_hi_i32 s1, s24, s11
	s_cmp_lg_u64 s[0:1], 0
	s_mul_i32 s8, s24, s11
	s_cbranch_scc0 .LBB27_19
.LBB27_9:
	s_add_u32 s2, s22, 0
	s_addc_u32 s3, 0, 0
	s_xor_b64 s[2:3], s[2:3], 0
	v_cvt_f32_u32_e32 v4, s2
	v_cvt_f32_u32_e32 v5, s3
	s_sub_u32 s9, 0, s2
	s_subb_u32 s25, 0, s3
	v_fmac_f32_e32 v4, 0x4f800000, v5
	v_rcp_f32_e32 v4, v4
	s_nop 0
	v_mul_f32_e32 v4, 0x5f7ffffc, v4
	v_mul_f32_e32 v5, 0x2f800000, v4
	v_trunc_f32_e32 v5, v5
	v_fmac_f32_e32 v4, 0xcf800000, v5
	v_cvt_u32_f32_e32 v5, v5
	v_cvt_u32_f32_e32 v4, v4
	v_readfirstlane_b32 s26, v5
	v_readfirstlane_b32 s4, v4
	s_mul_i32 s5, s9, s26
	s_mul_hi_u32 s28, s9, s4
	s_mul_i32 s27, s25, s4
	s_add_i32 s5, s28, s5
	s_mul_i32 s29, s9, s4
	s_add_i32 s5, s5, s27
	s_mul_i32 s28, s4, s5
	s_mul_hi_u32 s30, s4, s29
	s_mul_hi_u32 s27, s4, s5
	s_add_u32 s28, s30, s28
	s_addc_u32 s27, 0, s27
	s_mul_hi_u32 s31, s26, s29
	s_mul_i32 s29, s26, s29
	s_add_u32 s28, s28, s29
	s_mul_hi_u32 s30, s26, s5
	s_addc_u32 s27, s27, s31
	s_addc_u32 s28, s30, 0
	s_mul_i32 s5, s26, s5
	s_add_u32 s5, s27, s5
	s_addc_u32 s27, 0, s28
	s_add_u32 s28, s4, s5
	s_cselect_b64 s[4:5], -1, 0
	s_cmp_lg_u64 s[4:5], 0
	s_addc_u32 s26, s26, s27
	s_mul_i32 s4, s9, s26
	s_mul_hi_u32 s5, s9, s28
	s_add_i32 s4, s5, s4
	s_mul_i32 s25, s25, s28
	s_add_i32 s4, s4, s25
	s_mul_i32 s9, s9, s28
	s_mul_hi_u32 s25, s26, s9
	s_mul_i32 s27, s26, s9
	s_mul_i32 s30, s28, s4
	s_mul_hi_u32 s9, s28, s9
	s_mul_hi_u32 s29, s28, s4
	s_add_u32 s9, s9, s30
	s_addc_u32 s29, 0, s29
	s_add_u32 s9, s9, s27
	s_mul_hi_u32 s5, s26, s4
	s_addc_u32 s9, s29, s25
	s_addc_u32 s5, s5, 0
	s_mul_i32 s4, s26, s4
	s_add_u32 s4, s9, s4
	s_addc_u32 s9, 0, s5
	s_add_u32 s25, s28, s4
	s_cselect_b64 s[4:5], -1, 0
	s_cmp_lg_u64 s[4:5], 0
	s_addc_u32 s9, s26, s9
	s_ashr_i32 s4, s1, 31
	s_add_u32 s26, s8, s4
	s_mov_b32 s5, s4
	s_addc_u32 s27, s1, s4
	s_xor_b64 s[26:27], s[26:27], s[4:5]
	s_mul_i32 s28, s26, s9
	s_mul_hi_u32 s29, s26, s25
	s_mul_hi_u32 s1, s26, s9
	s_add_u32 s28, s29, s28
	s_addc_u32 s1, 0, s1
	s_mul_hi_u32 s30, s27, s25
	s_mul_i32 s25, s27, s25
	s_add_u32 s25, s28, s25
	s_mul_hi_u32 s29, s27, s9
	s_addc_u32 s1, s1, s30
	s_addc_u32 s25, s29, 0
	s_mul_i32 s9, s27, s9
	s_add_u32 s1, s1, s9
	s_addc_u32 s9, 0, s25
	s_mul_i32 s25, s2, s9
	s_mul_hi_u32 s28, s2, s1
	s_add_i32 s25, s28, s25
	s_mul_i32 s28, s3, s1
	s_add_i32 s25, s25, s28
	s_sub_i32 s30, s27, s25
	s_mul_i32 s28, s2, s1
	s_sub_u32 s26, s26, s28
	s_cselect_b64 s[28:29], -1, 0
	s_cmp_lg_u64 s[28:29], 0
	s_subb_u32 s33, s30, s3
	s_sub_u32 s34, s26, s2
	s_cselect_b64 s[30:31], -1, 0
	s_cmp_lg_u64 s[30:31], 0
	s_subb_u32 s30, s33, 0
	s_cmp_ge_u32 s30, s3
	s_cselect_b32 s31, -1, 0
	s_cmp_ge_u32 s34, s2
	s_cselect_b32 s33, -1, 0
	s_cmp_eq_u32 s30, s3
	s_cselect_b32 s30, s33, s31
	s_add_u32 s31, s1, 1
	s_addc_u32 s33, s9, 0
	s_add_u32 s34, s1, 2
	s_addc_u32 s35, s9, 0
	s_cmp_lg_u32 s30, 0
	s_cselect_b32 s30, s34, s31
	s_cselect_b32 s31, s35, s33
	s_cmp_lg_u64 s[28:29], 0
	s_subb_u32 s25, s27, s25
	s_cmp_ge_u32 s25, s3
	s_cselect_b32 s27, -1, 0
	s_cmp_ge_u32 s26, s2
	s_cselect_b32 s2, -1, 0
	s_cmp_eq_u32 s25, s3
	s_cselect_b32 s2, s2, s27
	s_cmp_lg_u32 s2, 0
	s_cselect_b32 s3, s31, s9
	s_cselect_b32 s2, s30, s1
	s_xor_b64 s[4:5], s[4:5], 0
	s_xor_b64 s[2:3], s[2:3], s[4:5]
	s_sub_u32 s4, s2, s4
	s_cbranch_execnz .LBB27_11
.LBB27_10:
	s_sub_i32 s1, 0, s22
	v_readfirstlane_b32 s2, v7
	s_mul_i32 s1, s1, s2
	s_mul_hi_u32 s1, s2, s1
	s_add_i32 s2, s2, s1
	s_mul_hi_u32 s1, s8, s2
	s_mul_i32 s3, s1, s22
	s_sub_i32 s3, s8, s3
	s_add_i32 s2, s1, 1
	s_sub_i32 s4, s3, s22
	s_cmp_ge_u32 s3, s22
	s_cselect_b32 s1, s2, s1
	s_cselect_b32 s3, s4, s3
	s_add_i32 s2, s1, 1
	s_cmp_ge_u32 s3, s22
	s_cselect_b32 s4, s2, s1
.LBB27_11:
	s_cmp_lg_u32 s6, s4
	s_cbranch_scc0 .LBB27_15
; %bb.12:
	s_add_i32 s1, s24, s22
	s_lshl_b32 s1, s1, 5
	s_add_i32 s2, s1, s15
	s_mov_b32 s3, s0
	s_lshl_b64 s[2:3], s[2:3], 3
	s_add_u32 s8, s18, s2
	s_mul_hi_u32 s1, s4, s12
	s_addc_u32 s9, s19, s3
	s_add_i32 s1, s1, s4
	s_lshr_b32 s1, s1, s13
	s_mul_i32 s2, s1, s14
	s_cmp_eq_u32 s2, s4
	s_cselect_b64 s[2:3], -1, 0
	s_cmp_lt_u32 s1, s7
	s_cselect_b64 s[26:27], -1, 0
	s_or_b64 s[26:27], s[26:27], s[2:3]
	s_mov_b64 s[2:3], -1
	s_and_b64 vcc, exec, s[26:27]
	s_mov_b32 s1, s24
	s_mov_b32 s25, s6
	s_cbranch_vccnz .LBB27_14
; %bb.13:
	s_add_i32 s1, s24, -1
	s_mov_b64 s[2:3], 0
	s_mov_b32 s25, s4
.LBB27_14:
	v_lshl_add_u32 v4, s24, 12, v6
	v_ashrrev_i32_e32 v5, 31, v4
	v_lshl_add_u64 v[4:5], v[4:5], 2, s[16:17]
	global_load_dword v5, v[4:5], off
	s_load_dwordx2 s[4:5], s[8:9], 0x0
	v_max_f32_e32 v4, v9, v9
	s_waitcnt lgkmcnt(0)
	v_max_f32_e64 v10, s4, s4
	v_max_f32_e32 v10, v4, v10
	v_sub_f32_e32 v11, v9, v10
	v_sub_f32_e32 v13, s4, v10
	v_mul_f32_e32 v4, 0x3fb8aa3b, v11
	v_mul_f32_e32 v12, 0x3fb8aa3b, v13
	v_fma_f32 v14, v11, s10, -v4
	v_rndne_f32_e32 v15, v4
	v_fma_f32 v16, v13, s10, -v12
	v_rndne_f32_e32 v17, v12
	v_fmac_f32_e32 v14, 0x32a5705f, v11
	v_sub_f32_e32 v4, v4, v15
	v_fmac_f32_e32 v16, 0x32a5705f, v13
	v_sub_f32_e32 v12, v12, v17
	v_add_f32_e32 v4, v4, v14
	v_cvt_i32_f32_e32 v15, v15
	v_add_f32_e32 v12, v12, v16
	v_exp_f32_e32 v14, v4
	v_cvt_i32_f32_e32 v17, v17
	v_exp_f32_e32 v12, v12
	v_cmp_ngt_f32_e32 vcc, s20, v11
	v_ldexp_f32 v14, v14, v15
	v_mov_b32_e32 v4, s5
	v_ldexp_f32 v12, v12, v17
	v_cndmask_b32_e32 v14, 0, v14, vcc
	v_cmp_ngt_f32_e32 vcc, s20, v13
	s_nop 1
	v_cndmask_b32_e32 v12, 0, v12, vcc
	v_cmp_nlt_f32_e32 vcc, s21, v11
	s_nop 1
	v_cndmask_b32_e32 v14, v8, v14, vcc
	v_cmp_nlt_f32_e32 vcc, s21, v13
	s_nop 1
	v_cndmask_b32_e32 v15, v8, v12, vcc
	v_cmp_le_f32_e32 vcc, s23, v11
	s_nop 1
	v_cndmask_b32_e32 v12, 0, v14, vcc
	v_cmp_le_f32_e32 vcc, s23, v13
	s_nop 1
	v_cndmask_b32_e32 v14, 0, v15, vcc
	s_waitcnt vmcnt(0)
	v_pk_mul_f32 v[4:5], v[4:5], v[14:15] op_sel_hi:[1,0]
	s_nop 0
	v_pk_fma_f32 v[4:5], v[0:1], v[12:13], v[4:5] op_sel_hi:[1,0,1]
	s_cbranch_execz .LBB27_16
	s_branch .LBB27_17
.LBB27_15:
                                        ; implicit-def: $vgpr4_vgpr5
                                        ; implicit-def: $sgpr2_sgpr3
                                        ; implicit-def: $vgpr10
                                        ; implicit-def: $sgpr1
                                        ; implicit-def: $sgpr25
.LBB27_16:
	s_add_i32 s1, s24, -1
	s_mov_b64 s[2:3], 0
	s_mov_b32 s25, s6
	v_mov_b32_e32 v10, v9
	s_waitcnt vmcnt(0)
	v_mov_b64_e32 v[4:5], v[0:1]
.LBB27_17:
	s_andn2_b64 vcc, exec, s[2:3]
	s_cbranch_vccz .LBB27_22
; %bb.18:
	s_mov_b32 s6, s25
	s_mov_b32 s24, s1
	v_mov_b32_e32 v9, v10
	s_waitcnt vmcnt(0)
	v_mov_b64_e32 v[0:1], v[4:5]
	s_mul_hi_i32 s1, s24, s11
	s_cmp_lg_u64 s[0:1], 0
	s_mul_i32 s8, s24, s11
	s_cbranch_scc1 .LBB27_9
.LBB27_19:
                                        ; implicit-def: $sgpr4_sgpr5
	s_branch .LBB27_10
.LBB27_20:
                                        ; implicit-def: $sgpr6_sgpr7
	s_load_dwordx4 s[12:15], s[0:1], 0x44
	s_branch .LBB27_2
.LBB27_21:
                                        ; implicit-def: $sgpr18_sgpr19
	s_branch .LBB27_5
.LBB27_22:
	v_div_scale_f32 v0, s[0:1], v4, v4, v5
	s_waitcnt vmcnt(0)
	v_rcp_f32_e32 v1, v0
	v_div_scale_f32 v6, vcc, v5, v4, v5
	v_fma_f32 v7, -v0, v1, 1.0
	v_fmac_f32_e32 v1, v7, v1
	v_mul_f32_e32 v7, v6, v1
	v_fma_f32 v8, -v0, v7, v6
	v_fmac_f32_e32 v7, v8, v1
	v_fma_f32 v0, -v0, v7, v6
	v_div_fmas_f32 v0, v0, v1, v7
	v_div_fixup_f32 v0, v0, v4, v5
	global_store_dword v[2:3], v0, off
.LBB27_23:
	s_endpgm
	.section	.rodata,"a",@progbits
	.p2align	6, 0x0
	.amdhsa_kernel _ZL33flash_attn_stream_k_fixup_generalILi128ELi8ELi4EEvPfPK15HIP_vector_typeIfLj2EEiiiiS1_IjLj3EES5_S5_S5_
		.amdhsa_group_segment_fixed_size 0
		.amdhsa_private_segment_fixed_size 0
		.amdhsa_kernarg_size 336
		.amdhsa_user_sgpr_count 2
		.amdhsa_user_sgpr_dispatch_ptr 0
		.amdhsa_user_sgpr_queue_ptr 0
		.amdhsa_user_sgpr_kernarg_segment_ptr 1
		.amdhsa_user_sgpr_dispatch_id 0
		.amdhsa_user_sgpr_kernarg_preload_length 0
		.amdhsa_user_sgpr_kernarg_preload_offset 0
		.amdhsa_user_sgpr_private_segment_size 0
		.amdhsa_uses_dynamic_stack 0
		.amdhsa_enable_private_segment 0
		.amdhsa_system_sgpr_workgroup_id_x 1
		.amdhsa_system_sgpr_workgroup_id_y 1
		.amdhsa_system_sgpr_workgroup_id_z 1
		.amdhsa_system_sgpr_workgroup_info 0
		.amdhsa_system_vgpr_workitem_id 0
		.amdhsa_next_free_vgpr 18
		.amdhsa_next_free_sgpr 36
		.amdhsa_accum_offset 20
		.amdhsa_reserve_vcc 1
		.amdhsa_float_round_mode_32 0
		.amdhsa_float_round_mode_16_64 0
		.amdhsa_float_denorm_mode_32 3
		.amdhsa_float_denorm_mode_16_64 3
		.amdhsa_dx10_clamp 1
		.amdhsa_ieee_mode 1
		.amdhsa_fp16_overflow 0
		.amdhsa_tg_split 0
		.amdhsa_exception_fp_ieee_invalid_op 0
		.amdhsa_exception_fp_denorm_src 0
		.amdhsa_exception_fp_ieee_div_zero 0
		.amdhsa_exception_fp_ieee_overflow 0
		.amdhsa_exception_fp_ieee_underflow 0
		.amdhsa_exception_fp_ieee_inexact 0
		.amdhsa_exception_int_div_zero 0
	.end_amdhsa_kernel
	.section	.text._ZL33flash_attn_stream_k_fixup_generalILi128ELi8ELi4EEvPfPK15HIP_vector_typeIfLj2EEiiiiS1_IjLj3EES5_S5_S5_,"axG",@progbits,_ZL33flash_attn_stream_k_fixup_generalILi128ELi8ELi4EEvPfPK15HIP_vector_typeIfLj2EEiiiiS1_IjLj3EES5_S5_S5_,comdat
.Lfunc_end27:
	.size	_ZL33flash_attn_stream_k_fixup_generalILi128ELi8ELi4EEvPfPK15HIP_vector_typeIfLj2EEiiiiS1_IjLj3EES5_S5_S5_, .Lfunc_end27-_ZL33flash_attn_stream_k_fixup_generalILi128ELi8ELi4EEvPfPK15HIP_vector_typeIfLj2EEiiiiS1_IjLj3EES5_S5_S5_
                                        ; -- End function
	.set _ZL33flash_attn_stream_k_fixup_generalILi128ELi8ELi4EEvPfPK15HIP_vector_typeIfLj2EEiiiiS1_IjLj3EES5_S5_S5_.num_vgpr, 18
	.set _ZL33flash_attn_stream_k_fixup_generalILi128ELi8ELi4EEvPfPK15HIP_vector_typeIfLj2EEiiiiS1_IjLj3EES5_S5_S5_.num_agpr, 0
	.set _ZL33flash_attn_stream_k_fixup_generalILi128ELi8ELi4EEvPfPK15HIP_vector_typeIfLj2EEiiiiS1_IjLj3EES5_S5_S5_.numbered_sgpr, 36
	.set _ZL33flash_attn_stream_k_fixup_generalILi128ELi8ELi4EEvPfPK15HIP_vector_typeIfLj2EEiiiiS1_IjLj3EES5_S5_S5_.num_named_barrier, 0
	.set _ZL33flash_attn_stream_k_fixup_generalILi128ELi8ELi4EEvPfPK15HIP_vector_typeIfLj2EEiiiiS1_IjLj3EES5_S5_S5_.private_seg_size, 0
	.set _ZL33flash_attn_stream_k_fixup_generalILi128ELi8ELi4EEvPfPK15HIP_vector_typeIfLj2EEiiiiS1_IjLj3EES5_S5_S5_.uses_vcc, 1
	.set _ZL33flash_attn_stream_k_fixup_generalILi128ELi8ELi4EEvPfPK15HIP_vector_typeIfLj2EEiiiiS1_IjLj3EES5_S5_S5_.uses_flat_scratch, 0
	.set _ZL33flash_attn_stream_k_fixup_generalILi128ELi8ELi4EEvPfPK15HIP_vector_typeIfLj2EEiiiiS1_IjLj3EES5_S5_S5_.has_dyn_sized_stack, 0
	.set _ZL33flash_attn_stream_k_fixup_generalILi128ELi8ELi4EEvPfPK15HIP_vector_typeIfLj2EEiiiiS1_IjLj3EES5_S5_S5_.has_recursion, 0
	.set _ZL33flash_attn_stream_k_fixup_generalILi128ELi8ELi4EEvPfPK15HIP_vector_typeIfLj2EEiiiiS1_IjLj3EES5_S5_S5_.has_indirect_call, 0
	.section	.AMDGPU.csdata,"",@progbits
; Kernel info:
; codeLenInByte = 2940
; TotalNumSgprs: 42
; NumVgprs: 18
; NumAgprs: 0
; TotalNumVgprs: 18
; ScratchSize: 0
; MemoryBound: 0
; FloatMode: 240
; IeeeMode: 1
; LDSByteSize: 0 bytes/workgroup (compile time only)
; SGPRBlocks: 5
; VGPRBlocks: 2
; NumSGPRsForWavesPerEU: 42
; NumVGPRsForWavesPerEU: 18
; AccumOffset: 20
; Occupancy: 8
; WaveLimiterHint : 0
; COMPUTE_PGM_RSRC2:SCRATCH_EN: 0
; COMPUTE_PGM_RSRC2:USER_SGPR: 2
; COMPUTE_PGM_RSRC2:TRAP_HANDLER: 0
; COMPUTE_PGM_RSRC2:TGID_X_EN: 1
; COMPUTE_PGM_RSRC2:TGID_Y_EN: 1
; COMPUTE_PGM_RSRC2:TGID_Z_EN: 1
; COMPUTE_PGM_RSRC2:TIDIG_COMP_CNT: 0
; COMPUTE_PGM_RSRC3_GFX90A:ACCUM_OFFSET: 4
; COMPUTE_PGM_RSRC3_GFX90A:TG_SPLIT: 0
	.section	.text._ZL26flash_attn_combine_resultsILi128EEvPKfPK15HIP_vector_typeIfLj2EEPfi,"axG",@progbits,_ZL26flash_attn_combine_resultsILi128EEvPKfPK15HIP_vector_typeIfLj2EEPfi,comdat
	.globl	_ZL26flash_attn_combine_resultsILi128EEvPKfPK15HIP_vector_typeIfLj2EEPfi ; -- Begin function _ZL26flash_attn_combine_resultsILi128EEvPKfPK15HIP_vector_typeIfLj2EEPfi
	.p2align	8
	.type	_ZL26flash_attn_combine_resultsILi128EEvPKfPK15HIP_vector_typeIfLj2EEPfi,@function
_ZL26flash_attn_combine_resultsILi128EEvPKfPK15HIP_vector_typeIfLj2EEPfi: ; @_ZL26flash_attn_combine_resultsILi128EEvPKfPK15HIP_vector_typeIfLj2EEPfi
; %bb.0:
	s_load_dwordx2 s[6:7], s[0:1], 0x20
	s_load_dword s19, s[0:1], 0x18
	s_load_dwordx4 s[8:11], s[0:1], 0x0
	s_load_dwordx2 s[14:15], s[0:1], 0x10
	s_waitcnt lgkmcnt(0)
	s_mul_i32 s0, s6, s4
	s_add_i32 s0, s0, s2
	s_mul_i32 s18, s0, s7
	s_add_i32 s18, s18, s3
	s_lshl_b32 s20, s19, 1
	s_mul_i32 s2, s18, s19
	v_cmp_gt_i32_e32 vcc, s20, v0
	s_and_saveexec_b64 s[0:1], vcc
	s_cbranch_execz .LBB28_13
; %bb.1:
	v_xad_u32 v1, v0, -1, s20
	s_movk_i32 s4, 0x7f
	s_ashr_i32 s3, s2, 31
	v_cmp_lt_u32_e32 vcc, s4, v1
	s_mov_b64 s[6:7], -1
	v_mov_b32_e32 v2, v0
	s_and_saveexec_b64 s[4:5], vcc
	s_cbranch_execz .LBB28_10
; %bb.2:
	v_lshrrev_b32_e32 v6, 7, v1
	s_lshl_b64 s[6:7], s[2:3], 3
	v_add_u32_e32 v2, -1, v6
	s_add_u32 s6, s10, s6
	v_or_b32_e32 v1, 0x80, v0
	v_lshrrev_b32_e32 v3, 1, v2
	s_addc_u32 s7, s11, s7
	s_mov_b32 s21, 0
	v_add_u32_e32 v7, 1, v3
	v_cmp_lt_u32_e32 vcc, 13, v2
	v_mov_b32_e32 v4, 0
	v_mov_b64_e32 v[2:3], v[0:1]
	s_and_saveexec_b64 s[12:13], vcc
	s_cbranch_execz .LBB28_6
; %bb.3:
	v_and_b32_e32 v8, -8, v7
	v_lshl_add_u32 v9, v0, 2, 0
	s_mov_b64 s[16:17], 0
	v_mov_b32_e32 v5, 0
	v_mov_b64_e32 v[2:3], v[0:1]
.LBB28_4:                               ; =>This Inner Loop Header: Depth=1
	v_mov_b32_e32 v4, v2
	v_lshl_add_u64 v[24:25], v[4:5], 2, s[6:7]
	v_mov_b32_e32 v4, v3
	v_add_u32_e32 v10, 0x100, v3
	v_mov_b32_e32 v11, v5
	v_lshl_add_u64 v[26:27], v[4:5], 2, s[6:7]
	v_add_u32_e32 v4, 0x100, v2
	v_lshl_add_u64 v[10:11], v[10:11], 2, s[6:7]
	global_load_dword v1, v[24:25], off
	v_lshl_add_u64 v[24:25], v[4:5], 2, s[6:7]
	v_add_u32_e32 v4, 0x200, v2
	global_load_dword v28, v[26:27], off
	global_load_dword v29, v[24:25], off
	;; [unrolled: 1-line block ×3, first 2 shown]
	v_lshl_add_u64 v[10:11], v[4:5], 2, s[6:7]
	v_add_u32_e32 v4, 0x300, v2
	v_add_u32_e32 v12, 0x200, v3
	v_mov_b32_e32 v13, v5
	v_add_u32_e32 v14, 0x300, v3
	v_mov_b32_e32 v15, v5
	v_lshl_add_u64 v[24:25], v[4:5], 2, s[6:7]
	v_add_u32_e32 v4, 0x400, v2
	v_lshl_add_u64 v[12:13], v[12:13], 2, s[6:7]
	v_lshl_add_u64 v[14:15], v[14:15], 2, s[6:7]
	global_load_dword v26, v[10:11], off
	global_load_dword v27, v[12:13], off
	;; [unrolled: 1-line block ×4, first 2 shown]
	v_lshl_add_u64 v[10:11], v[4:5], 2, s[6:7]
	v_add_u32_e32 v4, 0x500, v2
	v_add_u32_e32 v16, 0x400, v3
	v_mov_b32_e32 v17, v5
	v_add_u32_e32 v18, 0x500, v3
	v_mov_b32_e32 v19, v5
	v_lshl_add_u64 v[12:13], v[4:5], 2, s[6:7]
	v_add_u32_e32 v4, 0x600, v2
	v_add_u32_e32 v20, 0x600, v3
	v_mov_b32_e32 v21, v5
	v_add_u32_e32 v22, 0x700, v3
	v_mov_b32_e32 v23, v5
	v_lshl_add_u64 v[16:17], v[16:17], 2, s[6:7]
	v_lshl_add_u64 v[18:19], v[18:19], 2, s[6:7]
	global_load_dword v14, v[10:11], off
	global_load_dword v15, v[16:17], off
	;; [unrolled: 1-line block ×4, first 2 shown]
	v_lshl_add_u64 v[10:11], v[4:5], 2, s[6:7]
	v_add_u32_e32 v4, 0x700, v2
	v_lshl_add_u64 v[20:21], v[20:21], 2, s[6:7]
	v_lshl_add_u64 v[22:23], v[22:23], 2, s[6:7]
	;; [unrolled: 1-line block ×3, first 2 shown]
	global_load_dword v16, v[10:11], off
	global_load_dword v17, v[20:21], off
	;; [unrolled: 1-line block ×4, first 2 shown]
	v_add_u32_e32 v8, -8, v8
	s_add_i32 s21, s21, 16
	v_cmp_eq_u32_e32 vcc, 0, v8
	v_add_u32_e32 v3, 0x800, v3
	v_mov_b32_e32 v4, s21
	s_or_b64 s[16:17], vcc, s[16:17]
	v_add_u32_e32 v2, 0x800, v2
	s_waitcnt vmcnt(14)
	ds_write2st64_b32 v9, v1, v28 offset1:2
	s_waitcnt vmcnt(12)
	ds_write2st64_b32 v9, v29, v30 offset0:4 offset1:6
	s_waitcnt vmcnt(10)
	ds_write2st64_b32 v9, v26, v27 offset0:8 offset1:10
	;; [unrolled: 2-line block ×7, first 2 shown]
	v_add_u32_e32 v9, 0x2000, v9
	s_andn2_b64 exec, exec, s[16:17]
	s_cbranch_execnz .LBB28_4
; %bb.5:
	s_or_b64 exec, exec, s[16:17]
.LBB28_6:
	s_or_b64 exec, exec, s[12:13]
	v_and_b32_e32 v1, 7, v7
	v_cmp_ne_u32_e32 vcc, 0, v1
	s_and_saveexec_b64 s[12:13], vcc
	s_cbranch_execz .LBB28_9
; %bb.7:
	v_lshlrev_b32_e32 v5, 2, v0
	v_lshl_or_b32 v4, v4, 9, v5
	v_add_u32_e32 v7, 0, v4
	s_mov_b64 s[16:17], 0
	v_mov_b32_e32 v5, 0
.LBB28_8:                               ; =>This Inner Loop Header: Depth=1
	v_mov_b32_e32 v4, v2
	v_lshl_add_u64 v[8:9], v[4:5], 2, s[6:7]
	v_mov_b32_e32 v4, v3
	v_lshl_add_u64 v[10:11], v[4:5], 2, s[6:7]
	global_load_dword v4, v[8:9], off
	global_load_dword v12, v[10:11], off
	v_add_u32_e32 v1, -1, v1
	v_cmp_eq_u32_e32 vcc, 0, v1
	v_add_u32_e32 v2, 0x100, v2
	v_add_u32_e32 v3, 0x100, v3
	s_or_b64 s[16:17], vcc, s[16:17]
	s_waitcnt vmcnt(0)
	ds_write2st64_b32 v7, v4, v12 offset1:2
	v_add_u32_e32 v7, 0x400, v7
	s_andn2_b64 exec, exec, s[16:17]
	s_cbranch_execnz .LBB28_8
.LBB28_9:
	s_or_b64 exec, exec, s[12:13]
	v_add_u32_e32 v1, 1, v6
	v_and_b32_e32 v3, 0x3fffffe, v1
	v_cmp_ne_u32_e32 vcc, v1, v3
	v_lshl_or_b32 v2, v3, 7, v0
	s_orn2_b64 s[6:7], vcc, exec
.LBB28_10:
	s_or_b64 exec, exec, s[4:5]
	s_and_b64 exec, exec, s[6:7]
	s_cbranch_execz .LBB28_13
; %bb.11:
	s_lshl_b64 s[4:5], s[2:3], 3
	s_add_u32 s4, s10, s4
	v_mov_b32_e32 v3, 0
	s_addc_u32 s5, s11, s5
	v_lshl_add_u64 v[4:5], v[2:3], 2, s[4:5]
	v_lshl_add_u32 v1, v2, 2, 0
	s_mov_b64 s[4:5], 0
	s_mov_b64 s[6:7], 0x200
.LBB28_12:                              ; =>This Inner Loop Header: Depth=1
	global_load_dword v3, v[4:5], off
	v_add_u32_e32 v2, 0x80, v2
	v_cmp_le_i32_e32 vcc, s20, v2
	v_lshl_add_u64 v[4:5], v[4:5], 0, s[6:7]
	s_or_b64 s[4:5], vcc, s[4:5]
	s_waitcnt vmcnt(0)
	ds_write_b32 v1, v3
	v_add_u32_e32 v1, 0x200, v1
	s_andn2_b64 exec, exec, s[4:5]
	s_cbranch_execnz .LBB28_12
.LBB28_13:
	s_or_b64 exec, exec, s[0:1]
	v_mov_b32_e32 v1, 0
	s_waitcnt lgkmcnt(0)
	s_barrier
	ds_read_b32 v1, v1
	s_cmp_lt_i32 s19, 2
	s_cbranch_scc1 .LBB28_21
; %bb.14:
	s_cmp_eq_u32 s19, 2
	s_cbranch_scc1 .LBB28_18
; %bb.15:
	s_add_i32 s3, s19, -1
	s_and_b32 s4, s3, -2
	s_add_i32 s6, 0, 8
	s_mov_b32 s5, 2
	s_waitcnt lgkmcnt(0)
	v_mov_b32_e32 v4, v1
.LBB28_16:                              ; =>This Inner Loop Header: Depth=1
	v_mov_b32_e32 v2, v1
	v_mov_b32_e32 v1, s6
	;; [unrolled: 1-line block ×3, first 2 shown]
	ds_read2_b32 v[4:5], v1 offset1:2
	s_cmp_lg_u32 s4, s5
	s_cselect_b64 s[10:11], -1, 0
	v_max_f32_e32 v1, v3, v3
	v_max_f32_e32 v6, v2, v2
	s_waitcnt lgkmcnt(0)
	v_cmp_u_f32_e32 vcc, v5, v5
	v_max_f32_e32 v7, v5, v5
	v_max_f32_e32 v8, v4, v4
	v_cndmask_b32_e64 v5, 0, 1, vcc
	v_cmp_u_f32_e32 vcc, v4, v4
	v_readfirstlane_b32 s0, v5
	s_lshl_b32 s0, s0, 1
	v_cndmask_b32_e64 v9, 0, 1, vcc
	v_max_f32_e32 v4, v1, v7
	v_readfirstlane_b32 s1, v9
	s_or_b32 s0, s1, s0
	s_and_b32 s7, s0, 3
	s_cmp_lg_u32 s7, 0
	s_cselect_b64 s[0:1], -1, 0
	s_cmp_eq_u32 s7, 0
	s_cselect_b64 s[12:13], -1, 0
	s_and_b64 s[10:11], s[12:13], s[10:11]
	v_max_f32_e32 v1, v6, v8
	s_add_i32 s5, s5, 2
	s_add_i32 s6, s6, 16
	s_and_b64 vcc, exec, s[10:11]
	s_cbranch_vccnz .LBB28_16
; %bb.17:
	s_add_i32 s5, s5, -4
	s_and_b64 s[6:7], s[0:1], exec
	s_cselect_b32 s5, s5, s3
	s_or_b32 s5, s5, 1
	v_cndmask_b32_e64 v1, v1, v2, s[0:1]
	v_cndmask_b32_e64 v2, v4, v3, s[0:1]
	s_cmp_lg_u32 s3, s4
	v_max_f32_e32 v2, v2, v2
	v_max_f32_e32 v1, v1, v1
	s_cselect_b64 s[6:7], -1, 0
	v_max_f32_e32 v1, v1, v2
	s_or_b64 s[0:1], s[6:7], s[0:1]
	s_and_b64 vcc, exec, s[0:1]
	s_cbranch_vccnz .LBB28_19
	s_branch .LBB28_21
.LBB28_18:
	s_mov_b32 s5, 1
	s_cbranch_execz .LBB28_21
.LBB28_19:
	s_lshl_b32 s1, s5, 3
	s_sub_i32 s0, s19, s5
	s_add_i32 s1, s1, 0
.LBB28_20:                              ; =>This Inner Loop Header: Depth=1
	v_mov_b32_e32 v2, s1
	ds_read_b32 v2, v2
	s_waitcnt lgkmcnt(1)
	v_max_f32_e32 v1, v1, v1
	s_add_i32 s0, s0, -1
	s_add_i32 s1, s1, 8
	s_cmp_eq_u32 s0, 0
	s_waitcnt lgkmcnt(0)
	v_max_f32_e32 v2, v2, v2
	v_max_f32_e32 v1, v1, v2
	s_cbranch_scc0 .LBB28_20
.LBB28_21:
	s_cmp_lt_i32 s19, 1
	s_cbranch_scc1 .LBB28_26
; %bb.22:
	s_lshl_b32 s0, s2, 7
	s_ashr_i32 s1, s0, 31
	s_lshl_b64 s[0:1], s[0:1], 2
	s_add_u32 s16, s8, s0
	s_addc_u32 s17, s9, s1
	s_cmp_lt_u32 s19, 8
	s_cbranch_scc1 .LBB28_27
; %bb.23:
	v_mov_b32_e32 v7, 0
	s_and_b32 s20, s19, 0x7ffffff8
	v_or_b32_e32 v4, 0x380, v0
	s_mov_b32 s21, 0
	s_mov_b32 s22, 0x3fb8aa3b
	;; [unrolled: 1-line block ×4, first 2 shown]
	v_mov_b32_e32 v8, 0x7f800000
	s_mov_b32 s25, 0
	v_mov_b32_e32 v2, v7
	v_mov_b32_e32 v3, v7
.LBB28_24:                              ; =>This Inner Loop Header: Depth=1
	v_add_u32_e32 v6, 0xfffffc80, v4
	v_lshl_add_u64 v[26:27], v[6:7], 2, s[16:17]
	v_add_u32_e32 v6, 0xfffffd00, v4
	v_mov_b32_e32 v9, s21
	v_lshl_add_u64 v[30:31], v[6:7], 2, s[16:17]
	v_add_u32_e32 v6, 0xfffffd80, v4
	ds_read2_b64 v[10:13], v9 offset1:1
	ds_read2_b64 v[14:17], v9 offset0:2 offset1:3
	ds_read2_b64 v[18:21], v9 offset0:4 offset1:5
	;; [unrolled: 1-line block ×3, first 2 shown]
	global_load_dword v33, v[26:27], off
	global_load_dword v35, v[30:31], off
	v_lshl_add_u64 v[26:27], v[6:7], 2, s[16:17]
	v_add_u32_e32 v6, 0xfffffe00, v4
	v_lshl_add_u64 v[30:31], v[6:7], 2, s[16:17]
	v_add_u32_e32 v6, 0xfffffe80, v4
	global_load_dword v37, v[26:27], off
	global_load_dword v39, v[30:31], off
	v_lshl_add_u64 v[26:27], v[6:7], 2, s[16:17]
	v_add_u32_e32 v6, 0xffffff00, v4
	s_waitcnt lgkmcnt(3)
	v_mov_b32_e32 v32, v11
	v_sub_f32_e32 v9, v12, v1
	v_mov_b32_e32 v34, v13
	global_load_dword v11, v[26:27], off
	v_lshl_add_u64 v[12:13], v[6:7], 2, s[16:17]
	s_waitcnt lgkmcnt(2)
	v_mov_b32_e32 v36, v15
	v_add_u32_e32 v6, 0xffffff80, v4
	global_load_dword v15, v[12:13], off
	v_mov_b32_e32 v5, v7
	v_lshl_add_u64 v[12:13], v[6:7], 2, s[16:17]
	v_lshl_add_u64 v[28:29], v[4:5], 2, s[16:17]
	v_sub_f32_e32 v5, v10, v1
	v_mov_b32_e32 v38, v17
	s_waitcnt lgkmcnt(1)
	v_mov_b32_e32 v10, v19
	global_load_dword v17, v[12:13], off
	global_load_dword v19, v[28:29], off
	v_sub_f32_e32 v30, v14, v1
	v_sub_f32_e32 v31, v16, v1
	;; [unrolled: 1-line block ×3, first 2 shown]
	v_mov_b32_e32 v14, v21
	s_waitcnt lgkmcnt(0)
	v_sub_f32_e32 v21, v22, v1
	v_mov_b32_e32 v16, v23
	v_sub_f32_e32 v22, v24, v1
	v_mul_f32_e32 v23, 0x3fb8aa3b, v5
	v_mov_b32_e32 v18, v25
	v_mul_f32_e32 v24, 0x3fb8aa3b, v9
	v_mul_f32_e32 v25, 0x3fb8aa3b, v30
	;; [unrolled: 1-line block ×5, first 2 shown]
	v_fma_f32 v43, v5, s22, -v23
	v_rndne_f32_e32 v44, v23
	v_sub_f32_e32 v20, v20, v1
	v_fma_f32 v45, v9, s22, -v24
	v_rndne_f32_e32 v46, v24
	v_fma_f32 v47, v30, s22, -v25
	v_rndne_f32_e32 v48, v25
	v_fma_f32 v51, v40, s22, -v27
	v_rndne_f32_e32 v52, v27
	v_fma_f32 v55, v21, s22, -v42
	v_rndne_f32_e32 v56, v42
	v_fma_f32 v57, v22, s22, -v6
	v_rndne_f32_e32 v58, v6
	v_fmac_f32_e32 v43, 0x32a5705f, v5
	v_sub_f32_e32 v12, v23, v44
	v_mul_f32_e32 v26, 0x3fb8aa3b, v31
	v_mul_f32_e32 v41, 0x3fb8aa3b, v20
	v_fmac_f32_e32 v45, 0x32a5705f, v9
	v_sub_f32_e32 v23, v24, v46
	v_fmac_f32_e32 v47, 0x32a5705f, v30
	v_sub_f32_e32 v25, v25, v48
	v_fmac_f32_e32 v51, 0x32a5705f, v40
	v_sub_f32_e32 v27, v27, v52
	v_fmac_f32_e32 v55, 0x32a5705f, v21
	v_sub_f32_e32 v42, v42, v56
	v_fmac_f32_e32 v57, 0x32a5705f, v22
	v_sub_f32_e32 v6, v6, v58
	v_add_f32_e32 v12, v12, v43
	v_fma_f32 v49, v31, s22, -v26
	v_rndne_f32_e32 v50, v26
	v_fma_f32 v53, v20, s22, -v41
	v_rndne_f32_e32 v54, v41
	v_cvt_i32_f32_e32 v13, v44
	v_add_f32_e32 v23, v23, v45
	v_add_f32_e32 v25, v25, v47
	;; [unrolled: 1-line block ×5, first 2 shown]
	v_exp_f32_e32 v12, v12
	v_cvt_i32_f32_e32 v24, v46
	v_cvt_i32_f32_e32 v28, v48
	v_fmac_f32_e32 v49, 0x32a5705f, v31
	v_sub_f32_e32 v26, v26, v50
	v_cvt_i32_f32_e32 v29, v50
	v_cvt_i32_f32_e32 v44, v52
	v_fmac_f32_e32 v53, 0x32a5705f, v20
	v_sub_f32_e32 v41, v41, v54
	v_cvt_i32_f32_e32 v48, v56
	v_cvt_i32_f32_e32 v50, v58
	v_exp_f32_e32 v23, v23
	v_exp_f32_e32 v25, v25
	;; [unrolled: 1-line block ×5, first 2 shown]
	v_add_f32_e32 v26, v26, v49
	v_add_f32_e32 v41, v41, v53
	v_cvt_i32_f32_e32 v46, v54
	v_exp_f32_e32 v26, v26
	v_exp_f32_e32 v41, v41
	v_ldexp_f32 v12, v12, v13
	v_cmp_ngt_f32_e64 s[12:13], s23, v5
	v_ldexp_f32 v13, v23, v24
	v_cmp_ngt_f32_e32 vcc, s23, v9
	v_ldexp_f32 v23, v25, v28
	v_ldexp_f32 v25, v27, v44
	;; [unrolled: 1-line block ×3, first 2 shown]
	v_cmp_ngt_f32_e64 s[8:9], s23, v21
	v_ldexp_f32 v6, v6, v50
	v_cmp_ngt_f32_e64 s[10:11], s23, v22
	v_cndmask_b32_e64 v12, 0, v12, s[12:13]
	v_cmp_nlt_f32_e64 s[12:13], s24, v5
	v_cmp_ngt_f32_e64 s[0:1], s23, v30
	v_cndmask_b32_e32 v13, 0, v13, vcc
	v_cmp_nlt_f32_e32 vcc, s24, v9
	v_cndmask_b32_e64 v27, 0, v27, s[8:9]
	v_cmp_nlt_f32_e64 s[8:9], s24, v21
	v_cndmask_b32_e64 v21, 0, v6, s[10:11]
	v_cndmask_b32_e64 v6, v8, v12, s[12:13]
	v_ldexp_f32 v24, v26, v29
	v_cmp_ngt_f32_e64 s[2:3], s23, v31
	v_cmp_ngt_f32_e64 s[4:5], s23, v40
	v_ldexp_f32 v26, v41, v46
	v_cmp_ngt_f32_e64 s[6:7], s23, v20
	v_cndmask_b32_e64 v9, 0, v23, s[0:1]
	v_cmp_nlt_f32_e64 s[0:1], s24, v30
	v_cndmask_b32_e32 v12, v8, v13, vcc
	s_waitcnt vmcnt(7)
	v_pk_fma_f32 v[2:3], v[6:7], v[32:33], v[2:3] op_sel_hi:[0,1,1]
	v_cndmask_b32_e64 v23, 0, v24, s[2:3]
	v_cmp_nlt_f32_e64 s[2:3], s24, v31
	v_cndmask_b32_e64 v24, 0, v25, s[4:5]
	v_cndmask_b32_e64 v25, 0, v26, s[6:7]
	v_cmp_nlt_f32_e64 s[6:7], s24, v20
	v_cndmask_b32_e64 v20, v8, v9, s[0:1]
	s_waitcnt vmcnt(6)
	v_pk_fma_f32 v[2:3], v[12:13], v[34:35], v[2:3] op_sel_hi:[0,1,1]
	v_cmp_nlt_f32_e64 s[4:5], s24, v40
	v_cmp_nlt_f32_e64 s[10:11], s24, v22
	v_cndmask_b32_e64 v22, v8, v23, s[2:3]
	s_waitcnt vmcnt(5)
	v_pk_fma_f32 v[2:3], v[20:21], v[36:37], v[2:3] op_sel_hi:[0,1,1]
	v_cndmask_b32_e64 v24, v8, v24, s[4:5]
	s_waitcnt vmcnt(4)
	v_pk_fma_f32 v[2:3], v[22:23], v[38:39], v[2:3] op_sel_hi:[0,1,1]
	;; [unrolled: 3-line block ×4, first 2 shown]
	s_add_i32 s25, s25, 8
	s_add_i32 s21, s21, 64
	v_cndmask_b32_e64 v30, v8, v21, s[10:11]
	s_waitcnt vmcnt(1)
	v_pk_fma_f32 v[2:3], v[28:29], v[16:17], v[2:3] op_sel_hi:[0,1,1]
	s_cmp_eq_u32 s20, s25
	v_add_u32_e32 v4, 0x400, v4
	s_waitcnt vmcnt(0)
	v_pk_fma_f32 v[2:3], v[30:31], v[18:19], v[2:3] op_sel_hi:[0,1,1]
	s_cbranch_scc0 .LBB28_24
; %bb.25:
	s_and_b32 s0, s19, 7
	s_cmp_eq_u32 s0, 0
	s_cbranch_scc0 .LBB28_28
	s_branch .LBB28_30
.LBB28_26:
	s_waitcnt lgkmcnt(0)
	v_mov_b32_e32 v1, 0x7fc00000
	s_branch .LBB28_31
.LBB28_27:
	v_mov_b32_e32 v2, 0
	s_mov_b32 s20, 0
	v_mov_b32_e32 v3, v2
	s_and_b32 s0, s19, 7
	s_cmp_eq_u32 s0, 0
	s_cbranch_scc1 .LBB28_30
.LBB28_28:
	s_lshl_b32 s1, s20, 3
	v_lshl_or_b32 v4, s20, 7, v0
	s_add_i32 s1, s1, 0
	s_mov_b32 s2, 0x3fb8aa3b
	s_mov_b32 s3, 0xc2ce8ed0
	;; [unrolled: 1-line block ×3, first 2 shown]
	v_mov_b32_e32 v6, 0x7f800000
	v_mov_b32_e32 v5, 0
.LBB28_29:                              ; =>This Inner Loop Header: Depth=1
	v_lshl_add_u64 v[8:9], v[4:5], 2, s[16:17]
	global_load_dword v9, v[8:9], off
	v_mov_b32_e32 v7, s1
	ds_read_b64 v[10:11], v7
	s_add_i32 s1, s1, 8
	s_add_i32 s0, s0, -1
	v_add_u32_e32 v4, 0x80, v4
	s_cmp_lg_u32 s0, 0
	s_waitcnt lgkmcnt(0)
	v_sub_f32_e32 v7, v10, v1
	v_mul_f32_e32 v8, 0x3fb8aa3b, v7
	v_fma_f32 v10, v7, s2, -v8
	v_rndne_f32_e32 v12, v8
	v_fmac_f32_e32 v10, 0x32a5705f, v7
	v_sub_f32_e32 v8, v8, v12
	v_add_f32_e32 v8, v8, v10
	v_cvt_i32_f32_e32 v12, v12
	v_exp_f32_e32 v10, v8
	v_cmp_ngt_f32_e32 vcc, s3, v7
	v_mov_b32_e32 v8, v11
	v_ldexp_f32 v10, v10, v12
	v_cndmask_b32_e32 v10, 0, v10, vcc
	v_cmp_nlt_f32_e32 vcc, s4, v7
	s_nop 1
	v_cndmask_b32_e32 v10, v6, v10, vcc
	s_waitcnt vmcnt(0)
	v_pk_fma_f32 v[2:3], v[10:11], v[8:9], v[2:3] op_sel_hi:[0,1,1]
	s_cbranch_scc1 .LBB28_29
.LBB28_30:
	s_waitcnt lgkmcnt(0)
	v_div_scale_f32 v1, s[0:1], v2, v2, v3
	v_rcp_f32_e32 v4, v1
	v_div_scale_f32 v5, vcc, v3, v2, v3
	v_fma_f32 v6, -v1, v4, 1.0
	v_fmac_f32_e32 v4, v6, v4
	v_mul_f32_e32 v6, v5, v4
	v_fma_f32 v7, -v1, v6, v5
	v_fmac_f32_e32 v6, v7, v4
	v_fma_f32 v1, -v1, v6, v5
	v_div_fmas_f32 v1, v1, v4, v6
	v_div_fixup_f32 v1, v1, v2, v3
.LBB28_31:
	s_lshl_b32 s0, s18, 7
	s_ashr_i32 s1, s0, 31
	s_lshl_b64 s[0:1], s[0:1], 2
	s_add_u32 s0, s14, s0
	s_addc_u32 s1, s15, s1
	v_lshlrev_b32_e32 v0, 2, v0
	global_store_dword v0, v1, s[0:1]
	s_endpgm
	.section	.rodata,"a",@progbits
	.p2align	6, 0x0
	.amdhsa_kernel _ZL26flash_attn_combine_resultsILi128EEvPKfPK15HIP_vector_typeIfLj2EEPfi
		.amdhsa_group_segment_fixed_size 0
		.amdhsa_private_segment_fixed_size 0
		.amdhsa_kernarg_size 288
		.amdhsa_user_sgpr_count 2
		.amdhsa_user_sgpr_dispatch_ptr 0
		.amdhsa_user_sgpr_queue_ptr 0
		.amdhsa_user_sgpr_kernarg_segment_ptr 1
		.amdhsa_user_sgpr_dispatch_id 0
		.amdhsa_user_sgpr_kernarg_preload_length 0
		.amdhsa_user_sgpr_kernarg_preload_offset 0
		.amdhsa_user_sgpr_private_segment_size 0
		.amdhsa_uses_dynamic_stack 0
		.amdhsa_enable_private_segment 0
		.amdhsa_system_sgpr_workgroup_id_x 1
		.amdhsa_system_sgpr_workgroup_id_y 1
		.amdhsa_system_sgpr_workgroup_id_z 1
		.amdhsa_system_sgpr_workgroup_info 0
		.amdhsa_system_vgpr_workitem_id 0
		.amdhsa_next_free_vgpr 59
		.amdhsa_next_free_sgpr 26
		.amdhsa_accum_offset 60
		.amdhsa_reserve_vcc 1
		.amdhsa_float_round_mode_32 0
		.amdhsa_float_round_mode_16_64 0
		.amdhsa_float_denorm_mode_32 3
		.amdhsa_float_denorm_mode_16_64 3
		.amdhsa_dx10_clamp 1
		.amdhsa_ieee_mode 1
		.amdhsa_fp16_overflow 0
		.amdhsa_tg_split 0
		.amdhsa_exception_fp_ieee_invalid_op 0
		.amdhsa_exception_fp_denorm_src 0
		.amdhsa_exception_fp_ieee_div_zero 0
		.amdhsa_exception_fp_ieee_overflow 0
		.amdhsa_exception_fp_ieee_underflow 0
		.amdhsa_exception_fp_ieee_inexact 0
		.amdhsa_exception_int_div_zero 0
	.end_amdhsa_kernel
	.section	.text._ZL26flash_attn_combine_resultsILi128EEvPKfPK15HIP_vector_typeIfLj2EEPfi,"axG",@progbits,_ZL26flash_attn_combine_resultsILi128EEvPKfPK15HIP_vector_typeIfLj2EEPfi,comdat
.Lfunc_end28:
	.size	_ZL26flash_attn_combine_resultsILi128EEvPKfPK15HIP_vector_typeIfLj2EEPfi, .Lfunc_end28-_ZL26flash_attn_combine_resultsILi128EEvPKfPK15HIP_vector_typeIfLj2EEPfi
                                        ; -- End function
	.set _ZL26flash_attn_combine_resultsILi128EEvPKfPK15HIP_vector_typeIfLj2EEPfi.num_vgpr, 59
	.set _ZL26flash_attn_combine_resultsILi128EEvPKfPK15HIP_vector_typeIfLj2EEPfi.num_agpr, 0
	.set _ZL26flash_attn_combine_resultsILi128EEvPKfPK15HIP_vector_typeIfLj2EEPfi.numbered_sgpr, 26
	.set _ZL26flash_attn_combine_resultsILi128EEvPKfPK15HIP_vector_typeIfLj2EEPfi.num_named_barrier, 0
	.set _ZL26flash_attn_combine_resultsILi128EEvPKfPK15HIP_vector_typeIfLj2EEPfi.private_seg_size, 0
	.set _ZL26flash_attn_combine_resultsILi128EEvPKfPK15HIP_vector_typeIfLj2EEPfi.uses_vcc, 1
	.set _ZL26flash_attn_combine_resultsILi128EEvPKfPK15HIP_vector_typeIfLj2EEPfi.uses_flat_scratch, 0
	.set _ZL26flash_attn_combine_resultsILi128EEvPKfPK15HIP_vector_typeIfLj2EEPfi.has_dyn_sized_stack, 0
	.set _ZL26flash_attn_combine_resultsILi128EEvPKfPK15HIP_vector_typeIfLj2EEPfi.has_recursion, 0
	.set _ZL26flash_attn_combine_resultsILi128EEvPKfPK15HIP_vector_typeIfLj2EEPfi.has_indirect_call, 0
	.section	.AMDGPU.csdata,"",@progbits
; Kernel info:
; codeLenInByte = 2924
; TotalNumSgprs: 32
; NumVgprs: 59
; NumAgprs: 0
; TotalNumVgprs: 59
; ScratchSize: 0
; MemoryBound: 0
; FloatMode: 240
; IeeeMode: 1
; LDSByteSize: 0 bytes/workgroup (compile time only)
; SGPRBlocks: 3
; VGPRBlocks: 7
; NumSGPRsForWavesPerEU: 32
; NumVGPRsForWavesPerEU: 59
; AccumOffset: 60
; Occupancy: 8
; WaveLimiterHint : 0
; COMPUTE_PGM_RSRC2:SCRATCH_EN: 0
; COMPUTE_PGM_RSRC2:USER_SGPR: 2
; COMPUTE_PGM_RSRC2:TRAP_HANDLER: 0
; COMPUTE_PGM_RSRC2:TGID_X_EN: 1
; COMPUTE_PGM_RSRC2:TGID_Y_EN: 1
; COMPUTE_PGM_RSRC2:TGID_Z_EN: 1
; COMPUTE_PGM_RSRC2:TIDIG_COMP_CNT: 0
; COMPUTE_PGM_RSRC3_GFX90A:ACCUM_OFFSET: 14
; COMPUTE_PGM_RSRC3_GFX90A:TG_SPLIT: 0
	.section	.text._ZL18flash_attn_ext_f16ILi256ELi256ELi8ELi4ELb0ELb0EEvPKcS1_S1_S1_S1_PKiPfP15HIP_vector_typeIfLj2EEffffjfiS5_IjLj3EEiiiiiiiiiiiliiliiiiil,"axG",@progbits,_ZL18flash_attn_ext_f16ILi256ELi256ELi8ELi4ELb0ELb0EEvPKcS1_S1_S1_S1_PKiPfP15HIP_vector_typeIfLj2EEffffjfiS5_IjLj3EEiiiiiiiiiiiliiliiiiil,comdat
	.globl	_ZL18flash_attn_ext_f16ILi256ELi256ELi8ELi4ELb0ELb0EEvPKcS1_S1_S1_S1_PKiPfP15HIP_vector_typeIfLj2EEffffjfiS5_IjLj3EEiiiiiiiiiiiliiliiiiil ; -- Begin function _ZL18flash_attn_ext_f16ILi256ELi256ELi8ELi4ELb0ELb0EEvPKcS1_S1_S1_S1_PKiPfP15HIP_vector_typeIfLj2EEffffjfiS5_IjLj3EEiiiiiiiiiiiliiliiiiil
	.p2align	8
	.type	_ZL18flash_attn_ext_f16ILi256ELi256ELi8ELi4ELb0ELb0EEvPKcS1_S1_S1_S1_PKiPfP15HIP_vector_typeIfLj2EEffffjfiS5_IjLj3EEiiiiiiiiiiiliiliiiiil,@function
_ZL18flash_attn_ext_f16ILi256ELi256ELi8ELi4ELb0ELb0EEvPKcS1_S1_S1_S1_PKiPfP15HIP_vector_typeIfLj2EEffffjfiS5_IjLj3EEiiiiiiiiiiiliiliiiiil: ; @_ZL18flash_attn_ext_f16ILi256ELi256ELi8ELi4ELb0ELb0EEvPKcS1_S1_S1_S1_PKiPfP15HIP_vector_typeIfLj2EEffffjfiS5_IjLj3EEiiiiiiiiiiiliiliiiiil
; %bb.0:
	s_load_dwordx2 s[4:5], s[0:1], 0x80
	s_load_dwordx4 s[36:39], s[0:1], 0x64
	s_load_dword s33, s[0:1], 0xd0
	s_mov_b32 s6, 0
	s_waitcnt lgkmcnt(0)
	s_abs_i32 s3, s5
	v_cvt_f32_u32_e32 v1, s3
	s_sub_i32 s9, 0, s3
	s_abs_i32 s8, s37
	s_xor_b32 s7, s37, s5
	v_rcp_iflag_f32_e32 v1, v1
	s_ashr_i32 s7, s7, 31
	v_mul_f32_e32 v1, 0x4f7ffffe, v1
	v_cvt_u32_f32_e32 v1, v1
	s_nop 0
	v_readfirstlane_b32 s10, v1
	s_mul_i32 s9, s9, s10
	s_mul_hi_u32 s9, s10, s9
	s_add_i32 s10, s10, s9
	s_mul_hi_u32 s9, s8, s10
	s_mul_i32 s10, s9, s3
	s_sub_i32 s8, s8, s10
	s_add_i32 s11, s9, 1
	s_sub_i32 s10, s8, s3
	s_cmp_ge_u32 s8, s3
	s_cselect_b32 s9, s11, s9
	s_cselect_b32 s8, s10, s8
	s_add_i32 s10, s9, 1
	s_cmp_ge_u32 s8, s3
	s_cselect_b32 s3, s10, s9
	s_add_i32 s4, s4, 63
	s_xor_b32 s3, s3, s7
	s_ashr_i32 s8, s4, 31
	s_sub_i32 s3, s3, s7
	s_lshr_b32 s7, s8, 26
	s_add_i32 s4, s4, s7
	s_ashr_i32 s79, s4, 6
	s_add_i32 s4, s36, 7
	s_lshr_b32 s75, s4, 3
	s_add_i32 s4, s3, 3
	s_ashr_i32 s7, s4, 31
	s_lshr_b32 s7, s7, 30
	s_add_i32 s4, s4, s7
	s_ashr_i32 s4, s4, 2
	s_mul_i32 s76, s75, s79
	s_mul_i32 s77, s76, s4
	;; [unrolled: 1-line block ×4, first 2 shown]
	s_ashr_i32 s11, s10, 31
	s_mul_i32 s4, s11, s2
	s_mul_hi_u32 s5, s10, s2
	s_add_i32 s7, s5, s4
	s_cmp_lg_u64 s[6:7], 0
	s_mul_i32 s6, s10, s2
	s_cbranch_scc0 .LBB29_310
; %bb.1:
	s_add_u32 s4, s33, 0
	s_addc_u32 s5, 0, 0
	s_xor_b64 s[8:9], s[4:5], 0
	v_cvt_f32_u32_e32 v1, s8
	v_cvt_f32_u32_e32 v2, s9
	s_sub_u32 s14, 0, s8
	s_subb_u32 s15, 0, s9
	v_fmamk_f32 v1, v2, 0x4f800000, v1
	v_rcp_f32_e32 v1, v1
	s_nop 0
	v_mul_f32_e32 v1, 0x5f7ffffc, v1
	v_mul_f32_e32 v2, 0x2f800000, v1
	v_trunc_f32_e32 v2, v2
	v_fmamk_f32 v1, v2, 0xcf800000, v1
	v_cvt_u32_f32_e32 v2, v2
	v_cvt_u32_f32_e32 v1, v1
	v_readfirstlane_b32 s16, v2
	v_readfirstlane_b32 s12, v1
	s_mul_i32 s13, s14, s16
	s_mul_hi_u32 s18, s14, s12
	s_mul_i32 s17, s15, s12
	s_add_i32 s13, s18, s13
	s_add_i32 s13, s13, s17
	s_mul_i32 s19, s14, s12
	s_mul_i32 s18, s12, s13
	s_mul_hi_u32 s20, s12, s19
	s_mul_hi_u32 s17, s12, s13
	s_add_u32 s18, s20, s18
	s_addc_u32 s17, 0, s17
	s_mul_hi_u32 s21, s16, s19
	s_mul_i32 s19, s16, s19
	s_add_u32 s18, s18, s19
	s_mul_hi_u32 s20, s16, s13
	s_addc_u32 s17, s17, s21
	s_addc_u32 s18, s20, 0
	s_mul_i32 s13, s16, s13
	s_add_u32 s13, s17, s13
	s_addc_u32 s17, 0, s18
	s_add_u32 s18, s12, s13
	s_cselect_b64 s[12:13], -1, 0
	s_cmp_lg_u64 s[12:13], 0
	s_addc_u32 s16, s16, s17
	s_mul_i32 s12, s14, s16
	s_mul_hi_u32 s13, s14, s18
	s_add_i32 s12, s13, s12
	s_mul_i32 s15, s15, s18
	s_add_i32 s12, s12, s15
	s_mul_i32 s14, s14, s18
	s_mul_hi_u32 s15, s16, s14
	s_mul_i32 s17, s16, s14
	s_mul_i32 s20, s18, s12
	s_mul_hi_u32 s14, s18, s14
	s_mul_hi_u32 s19, s18, s12
	s_add_u32 s14, s14, s20
	s_addc_u32 s19, 0, s19
	s_add_u32 s14, s14, s17
	s_mul_hi_u32 s13, s16, s12
	s_addc_u32 s14, s19, s15
	s_addc_u32 s13, s13, 0
	s_mul_i32 s12, s16, s12
	s_add_u32 s12, s14, s12
	s_addc_u32 s14, 0, s13
	s_add_u32 s17, s18, s12
	s_cselect_b64 s[12:13], -1, 0
	s_cmp_lg_u64 s[12:13], 0
	s_addc_u32 s16, s16, s14
	s_ashr_i32 s12, s7, 31
	s_add_u32 s14, s6, s12
	s_mov_b32 s13, s12
	s_addc_u32 s15, s7, s12
	s_xor_b64 s[14:15], s[14:15], s[12:13]
	s_mul_i32 s18, s14, s16
	s_mul_hi_u32 s19, s14, s17
	s_mul_hi_u32 s7, s14, s16
	s_add_u32 s18, s19, s18
	s_addc_u32 s7, 0, s7
	s_mul_hi_u32 s20, s15, s17
	s_mul_i32 s17, s15, s17
	s_add_u32 s17, s18, s17
	s_mul_hi_u32 s19, s15, s16
	s_addc_u32 s7, s7, s20
	s_addc_u32 s17, s19, 0
	s_mul_i32 s16, s15, s16
	s_add_u32 s7, s7, s16
	s_addc_u32 s20, 0, s17
	s_mul_i32 s16, s8, s20
	s_mul_hi_u32 s17, s8, s7
	s_add_i32 s16, s17, s16
	s_mul_i32 s17, s9, s7
	s_add_i32 s21, s16, s17
	s_sub_i32 s18, s15, s21
	s_mul_i32 s16, s8, s7
	s_sub_u32 s14, s14, s16
	s_cselect_b64 s[16:17], -1, 0
	s_cmp_lg_u64 s[16:17], 0
	s_subb_u32 s22, s18, s9
	s_sub_u32 s23, s14, s8
	s_cselect_b64 s[18:19], -1, 0
	s_cmp_lg_u64 s[18:19], 0
	s_subb_u32 s18, s22, 0
	s_cmp_ge_u32 s18, s9
	s_cselect_b32 s19, -1, 0
	s_cmp_ge_u32 s23, s8
	s_cselect_b32 s22, -1, 0
	s_cmp_eq_u32 s18, s9
	s_cselect_b32 s18, s22, s19
	s_add_u32 s19, s7, 1
	s_addc_u32 s22, s20, 0
	s_add_u32 s23, s7, 2
	s_addc_u32 s24, s20, 0
	s_cmp_lg_u32 s18, 0
	s_cselect_b32 s18, s23, s19
	s_cselect_b32 s19, s24, s22
	s_cmp_lg_u64 s[16:17], 0
	s_subb_u32 s15, s15, s21
	s_cmp_ge_u32 s15, s9
	s_cselect_b32 s16, -1, 0
	s_cmp_ge_u32 s14, s8
	s_cselect_b32 s8, -1, 0
	s_cmp_eq_u32 s15, s9
	s_cselect_b32 s8, s8, s16
	s_cmp_lg_u32 s8, 0
	s_cselect_b32 s9, s19, s20
	s_cselect_b32 s8, s18, s7
	s_xor_b64 s[12:13], s[12:13], 0
	s_xor_b64 s[8:9], s[8:9], s[12:13]
	s_sub_u32 s54, s8, s12
	s_load_dwordx2 s[52:53], s[0:1], 0x74
	v_cvt_f32_u32_e32 v1, s33
	s_cbranch_execnz .LBB29_3
.LBB29_2:
	v_rcp_iflag_f32_e32 v2, v1
	s_sub_i32 s4, 0, s33
	v_mul_f32_e32 v2, 0x4f7ffffe, v2
	v_cvt_u32_f32_e32 v2, v2
	s_nop 0
	v_readfirstlane_b32 s5, v2
	s_mul_i32 s4, s4, s5
	s_mul_hi_u32 s4, s5, s4
	s_add_i32 s5, s5, s4
	s_mul_hi_u32 s4, s6, s5
	s_mul_i32 s7, s4, s33
	s_sub_i32 s6, s6, s7
	s_add_i32 s5, s4, 1
	s_sub_i32 s7, s6, s33
	s_cmp_ge_u32 s6, s33
	s_cselect_b32 s4, s5, s4
	s_cselect_b32 s6, s7, s6
	s_add_i32 s5, s4, 1
	s_cmp_ge_u32 s6, s33
	s_cselect_b32 s54, s5, s4
.LBB29_3:
	s_add_i32 s4, s2, 1
	s_mul_i32 s5, s11, s4
	s_mul_hi_u32 s6, s10, s4
	s_add_i32 s9, s6, s5
	s_mov_b32 s8, 0
	s_cmp_lg_u64 s[8:9], 0
	s_mul_i32 s8, s10, s4
	s_cbranch_scc0 .LBB29_311
; %bb.4:
	s_add_u32 s4, s33, 0
	s_addc_u32 s5, 0, 0
	s_xor_b64 s[6:7], s[4:5], 0
	v_cvt_f32_u32_e32 v2, s6
	v_cvt_f32_u32_e32 v3, s7
	s_sub_u32 s12, 0, s6
	s_subb_u32 s13, 0, s7
	v_fmamk_f32 v2, v3, 0x4f800000, v2
	v_rcp_f32_e32 v2, v2
	s_nop 0
	v_mul_f32_e32 v2, 0x5f7ffffc, v2
	v_mul_f32_e32 v3, 0x2f800000, v2
	v_trunc_f32_e32 v3, v3
	v_fmamk_f32 v2, v3, 0xcf800000, v2
	v_cvt_u32_f32_e32 v3, v3
	v_cvt_u32_f32_e32 v2, v2
	v_readfirstlane_b32 s14, v3
	v_readfirstlane_b32 s10, v2
	s_mul_i32 s11, s12, s14
	s_mul_hi_u32 s16, s12, s10
	s_mul_i32 s15, s13, s10
	s_add_i32 s11, s16, s11
	s_add_i32 s11, s11, s15
	s_mul_i32 s17, s12, s10
	s_mul_i32 s16, s10, s11
	s_mul_hi_u32 s18, s10, s17
	s_mul_hi_u32 s15, s10, s11
	s_add_u32 s16, s18, s16
	s_addc_u32 s15, 0, s15
	s_mul_hi_u32 s19, s14, s17
	s_mul_i32 s17, s14, s17
	s_add_u32 s16, s16, s17
	s_mul_hi_u32 s18, s14, s11
	s_addc_u32 s15, s15, s19
	s_addc_u32 s16, s18, 0
	s_mul_i32 s11, s14, s11
	s_add_u32 s11, s15, s11
	s_addc_u32 s15, 0, s16
	s_add_u32 s16, s10, s11
	s_cselect_b64 s[10:11], -1, 0
	s_cmp_lg_u64 s[10:11], 0
	s_addc_u32 s14, s14, s15
	s_mul_i32 s10, s12, s14
	s_mul_hi_u32 s11, s12, s16
	s_add_i32 s10, s11, s10
	s_mul_i32 s13, s13, s16
	s_add_i32 s10, s10, s13
	s_mul_i32 s12, s12, s16
	s_mul_hi_u32 s13, s14, s12
	s_mul_i32 s15, s14, s12
	s_mul_i32 s18, s16, s10
	s_mul_hi_u32 s12, s16, s12
	s_mul_hi_u32 s17, s16, s10
	s_add_u32 s12, s12, s18
	s_addc_u32 s17, 0, s17
	s_add_u32 s12, s12, s15
	s_mul_hi_u32 s11, s14, s10
	s_addc_u32 s12, s17, s13
	s_addc_u32 s11, s11, 0
	s_mul_i32 s10, s14, s10
	s_add_u32 s10, s12, s10
	s_addc_u32 s12, 0, s11
	s_add_u32 s15, s16, s10
	s_cselect_b64 s[10:11], -1, 0
	s_cmp_lg_u64 s[10:11], 0
	s_addc_u32 s14, s14, s12
	s_ashr_i32 s10, s9, 31
	s_add_u32 s12, s8, s10
	s_mov_b32 s11, s10
	s_addc_u32 s13, s9, s10
	s_xor_b64 s[12:13], s[12:13], s[10:11]
	s_mul_i32 s16, s12, s14
	s_mul_hi_u32 s17, s12, s15
	s_mul_hi_u32 s9, s12, s14
	s_add_u32 s16, s17, s16
	s_addc_u32 s9, 0, s9
	s_mul_hi_u32 s18, s13, s15
	s_mul_i32 s15, s13, s15
	s_add_u32 s15, s16, s15
	s_mul_hi_u32 s17, s13, s14
	s_addc_u32 s9, s9, s18
	s_addc_u32 s15, s17, 0
	s_mul_i32 s14, s13, s14
	s_add_u32 s9, s9, s14
	s_addc_u32 s18, 0, s15
	s_mul_i32 s14, s6, s18
	s_mul_hi_u32 s15, s6, s9
	s_add_i32 s14, s15, s14
	s_mul_i32 s15, s7, s9
	s_add_i32 s19, s14, s15
	s_sub_i32 s16, s13, s19
	s_mul_i32 s14, s6, s9
	s_sub_u32 s12, s12, s14
	s_cselect_b64 s[14:15], -1, 0
	s_cmp_lg_u64 s[14:15], 0
	s_subb_u32 s20, s16, s7
	s_sub_u32 s21, s12, s6
	s_cselect_b64 s[16:17], -1, 0
	s_cmp_lg_u64 s[16:17], 0
	s_subb_u32 s16, s20, 0
	s_cmp_ge_u32 s16, s7
	s_cselect_b32 s17, -1, 0
	s_cmp_ge_u32 s21, s6
	s_cselect_b32 s20, -1, 0
	s_cmp_eq_u32 s16, s7
	s_cselect_b32 s16, s20, s17
	s_add_u32 s17, s9, 1
	s_addc_u32 s20, s18, 0
	s_add_u32 s21, s9, 2
	s_addc_u32 s22, s18, 0
	s_cmp_lg_u32 s16, 0
	s_cselect_b32 s16, s21, s17
	s_cselect_b32 s17, s22, s20
	s_cmp_lg_u64 s[14:15], 0
	s_subb_u32 s13, s13, s19
	s_cmp_ge_u32 s13, s7
	s_cselect_b32 s14, -1, 0
	s_cmp_ge_u32 s12, s6
	s_cselect_b32 s6, -1, 0
	s_cmp_eq_u32 s13, s7
	s_cselect_b32 s6, s6, s14
	s_cmp_lg_u32 s6, 0
	s_cselect_b32 s7, s17, s18
	s_cselect_b32 s6, s16, s9
	s_xor_b64 s[10:11], s[10:11], 0
	s_xor_b64 s[6:7], s[6:7], s[10:11]
	s_sub_u32 s6, s6, s10
	s_subb_u32 s7, s7, s11
	s_load_dwordx2 s[44:45], s[0:1], 0x5c
	v_mov_b64_e32 v[6:7], s[6:7]
	s_cbranch_execnz .LBB29_6
.LBB29_5:
	v_rcp_iflag_f32_e32 v1, v1
	s_sub_i32 s4, 0, s33
	v_mul_f32_e32 v1, 0x4f7ffffe, v1
	v_cvt_u32_f32_e32 v1, v1
	v_mul_lo_u32 v2, s4, v1
	v_mul_hi_u32 v2, v1, v2
	v_add_u32_e32 v1, v1, v2
	v_mul_hi_u32 v1, s8, v1
	v_mul_lo_u32 v3, v1, s33
	v_sub_u32_e32 v3, s8, v3
	v_add_u32_e32 v2, 1, v1
	v_subrev_u32_e32 v4, s33, v3
	v_cmp_le_u32_e32 vcc, s33, v3
	s_nop 1
	v_cndmask_b32_e32 v3, v3, v4, vcc
	v_cndmask_b32_e32 v1, v1, v2, vcc
	v_add_u32_e32 v2, 1, v1
	v_cmp_le_u32_e32 vcc, s33, v3
	s_nop 1
	v_cndmask_b32_e32 v6, v1, v2, vcc
.LBB29_6:
	s_abs_i32 s80, s79
	v_cvt_f32_u32_e32 v1, s80
	s_load_dwordx16 s[16:31], s[0:1], 0x0
	s_load_dword s4, s[0:1], 0x40
	s_load_dwordx2 s[50:51], s[0:1], 0x8c
	s_load_dwordx4 s[40:43], s[0:1], 0x98
	s_load_dwordx2 s[46:47], s[0:1], 0xa8
	s_load_dwordx2 s[56:57], s[0:1], 0xb8
	;; [unrolled: 1-line block ×3, first 2 shown]
	s_waitcnt lgkmcnt(0)
	s_ashr_i32 s14, s50, 2
	s_sub_i32 s6, 0, s80
	v_rcp_iflag_f32_e32 v1, v1
	s_abs_i32 s1, s54
	s_ashr_i32 s55, s39, 3
	s_ashr_i32 s74, s52, 3
	v_mul_f32_e32 v1, 0x4f7ffffe, v1
	v_cvt_u32_f32_e32 v1, v1
	s_ashr_i32 s38, s57, 1
	s_ashr_i32 s34, s42, 2
	;; [unrolled: 1-line block ×3, first 2 shown]
	v_readfirstlane_b32 s50, v1
	s_mul_i32 s6, s6, s50
	s_mul_hi_u32 s6, s50, s6
	s_add_i32 s50, s50, s6
	s_mul_hi_u32 s6, s1, s50
	s_mul_i32 s6, s6, s80
	s_sub_i32 s1, s1, s6
	s_ashr_i32 s42, s79, 31
	s_sub_i32 s6, s1, s80
	s_cmp_ge_u32 s1, s80
	s_cselect_b32 s1, s6, s1
	s_sub_i32 s6, s1, s80
	s_cmp_ge_u32 s1, s80
	s_cselect_b32 s1, s6, s1
	s_xor_b32 s1, s1, s0
	s_sub_i32 s70, s1, s0
	v_subrev_u32_e32 v1, s54, v6
	v_add_u32_e32 v1, s70, v1
	v_cvt_f16_f32_e32 v86, s4
	v_cmp_ge_i32_e32 vcc, s54, v6
	v_cmp_gt_i32_e64 s[0:1], s79, v1
	s_or_b64 s[0:1], s[0:1], vcc
	v_bfe_u32 v65, v0, 10, 10
	s_mov_b32 s5, 0
	v_min_i32_e32 v134, s79, v1
	v_cmp_lt_i32_e64 s[8:9], s54, v6
	s_and_b64 vcc, exec, s[0:1]
	v_bfe_u32 v7, v0, 10, 2
	v_lshlrev_b32_e32 v197, 3, v65
	v_lshrrev_b32_e32 v63, 10, v0
	v_add_u32_e32 v85, 4, v65
	v_add_u32_e32 v84, 8, v65
	;; [unrolled: 1-line block ×7, first 2 shown]
	s_cbranch_vccz .LBB29_9
; %bb.7:
	s_andn2_b64 vcc, exec, s[8:9]
	s_cbranch_vccz .LBB29_273
.LBB29_8:
	s_endpgm
.LBB29_9:
	v_and_b32_e32 v2, 0x7f0, v197
	s_movk_i32 s12, 0x210
	v_and_b32_e32 v4, 15, v0
	v_lshrrev_b32_e32 v9, 1, v0
	v_mad_u32_u24 v3, v2, s12, 0
	v_mul_u32_u24_e32 v5, 0x210, v4
	v_and_b32_e32 v9, 0x78, v9
	v_add3_u32 v67, v3, v5, v9
	v_bfe_u32 v3, v0, 5, 5
	v_lshl_add_u32 v71, v65, 1, v3
	v_lshlrev_b32_e32 v3, 4, v65
	v_and_or_b32 v2, v0, 12, v2
	v_and_b32_e32 v11, 16, v3
	v_bfe_u32 v13, v0, 2, 8
	v_lshrrev_b32_e32 v2, 2, v2
	s_movk_i32 s0, 0x90
	v_mul_u32_u24_e32 v12, 0x210, v11
	v_and_b32_e32 v14, 60, v13
	v_and_b32_e32 v16, 8, v197
	v_or_b32_e32 v13, 3, v13
	v_mad_u32_u24 v48, v71, s0, 0
	v_add_u32_e32 v153, 0, v9
	v_mad_u32_u24 v2, v2, s0, 0
	s_movk_i32 s0, 0x420
	v_add_u32_e32 v15, v14, v11
	v_add_u16_e32 v11, v14, v11
	v_mul_u32_u24_e32 v14, 0x210, v14
	v_mul_u32_u24_e32 v13, 0x210, v13
	v_add3_u32 v154, v153, v5, v12
	v_mad_u32_u24 v5, v16, s0, 0
	v_lshlrev_b32_e32 v9, 1, v4
	v_add3_u32 v156, v5, v14, v9
	v_add3_u32 v157, v5, v13, v9
	v_bfe_u32 v5, v0, 10, 1
	v_cmp_eq_u32_e64 s[0:1], 0, v5
	v_and_b32_e32 v5, 0x400, v0
	v_cmp_ne_u32_e64 s[10:11], 0, v5
	v_bfe_u32 v5, v63, 1, 9
	v_lshrrev_b16_e32 v11, 1, v11
	v_add_u32_e32 v9, 2, v5
	v_lshl_add_u32 v155, v11, 2, v2
	v_lshlrev_b32_e32 v11, 1, v9
	v_and_b32_e32 v12, 15, v9
	s_movk_i32 s13, 0x1e0
	v_add_u32_e32 v50, 4, v5
	v_and_or_b32 v49, v11, s13, v12
	v_lshlrev_b32_e32 v11, 1, v50
	v_and_b32_e32 v12, 15, v50
	v_add_u32_e32 v52, 6, v5
	v_and_or_b32 v51, v11, s13, v12
	v_lshlrev_b32_e32 v11, 1, v52
	v_and_b32_e32 v12, 15, v52
	v_add_u32_e32 v54, 8, v5
	v_and_or_b32 v53, v11, s13, v12
	v_lshlrev_b32_e32 v11, 1, v54
	v_and_b32_e32 v12, 15, v54
	v_add_u32_e32 v56, 10, v5
	v_and_or_b32 v55, v11, s13, v12
	v_lshlrev_b32_e32 v11, 1, v56
	v_and_b32_e32 v12, 15, v56
	v_add_u32_e32 v58, 12, v5
	v_and_or_b32 v57, v11, s13, v12
	v_lshlrev_b32_e32 v11, 1, v58
	v_and_b32_e32 v12, 15, v58
	v_add_u32_e32 v60, 14, v5
	s_cmp_eq_u64 s[24:25], 0
	v_and_or_b32 v59, v11, s13, v12
	v_lshlrev_b32_e32 v11, 1, v60
	v_and_b32_e32 v12, 15, v60
	v_add_u32_e32 v62, 18, v5
	s_cselect_b64 s[58:59], -1, 0
	s_cmp_lg_u64 s[26:27], 0
	v_and_or_b32 v61, v11, s13, v12
	v_lshlrev_b32_e32 v11, 1, v62
	v_and_b32_e32 v12, 15, v62
	v_add_u32_e32 v66, 20, v5
	s_cselect_b64 s[60:61], -1, 0
	s_lshl_b32 s4, s2, 5
	v_and_or_b32 v64, v11, s13, v12
	v_lshlrev_b32_e32 v11, 1, v66
	v_and_b32_e32 v12, 15, v66
	v_add_u32_e32 v69, 22, v5
	s_ashr_i32 s39, s38, 31
	s_ashr_i32 s15, s14, 31
	s_lshl_b32 s6, s14, 3
	s_ashr_i32 s35, s34, 31
	s_lshl_b32 s7, s34, 3
	s_lshl_b64 s[4:5], s[4:5], 3
	v_and_or_b32 v68, v11, s13, v12
	v_lshlrev_b32_e32 v11, 1, v69
	v_and_b32_e32 v12, 15, v69
	v_add_u32_e32 v72, 24, v5
	s_add_u32 s8, s30, s4
	v_and_or_b32 v70, v11, s13, v12
	v_lshlrev_b32_e32 v11, 1, v72
	v_and_b32_e32 v12, 15, v72
	v_add_u32_e32 v74, 26, v5
	s_addc_u32 s9, s31, s5
	v_and_or_b32 v73, v11, s13, v12
	v_lshlrev_b32_e32 v11, 1, v74
	v_and_b32_e32 v12, 15, v74
	s_abs_i32 s57, s78
	v_and_or_b32 v75, v11, s13, v12
	v_cvt_f32_u32_e32 v11, s57
	s_abs_i32 s81, s77
	v_add_u32_e32 v76, 28, v5
	v_cvt_f32_u32_e32 v14, s81
	v_rcp_iflag_f32_e32 v11, v11
	v_and_b32_e32 v8, 0x3ff, v0
	v_lshl_add_u32 v2, v15, 1, v2
	v_lshlrev_b32_e32 v12, 1, v76
	v_mul_f32_e32 v11, 0x4f7ffffe, v11
	v_cvt_u32_f32_e32 v11, v11
	v_and_b32_e32 v13, 15, v76
	v_add_u32_e32 v78, 30, v5
	v_and_or_b32 v77, v12, s13, v13
	v_lshlrev_b32_e32 v12, 1, v78
	v_and_b32_e32 v13, 15, v78
	s_sub_i32 s4, 0, s57
	v_add_u32_e32 v162, 64, v2
	v_add_u32_e32 v163, 0x44, v2
	v_or_b32_e32 v2, v3, v8
	v_and_or_b32 v79, v12, s13, v13
	v_mul_lo_u32 v13, s4, v11
	v_mul_u32_u24_e32 v164, 0x210, v2
	v_or_b32_e32 v2, v3, v4
	v_and_b32_e32 v4, 31, v0
	v_lshlrev_b32_e32 v1, 2, v8
	v_rcp_iflag_f32_e32 v12, v14
	v_mul_hi_u32 v13, v11, v13
	s_abs_i32 s83, s56
	v_or_b32_e32 v3, v3, v4
	v_mul_u32_u24_e32 v166, 0x210, v2
	v_add_u32_e32 v2, 16, v5
	v_and_b32_e32 v10, 0x7c, v1
	v_add_u32_e32 v158, v11, v13
	v_cvt_f32_u32_e32 v13, s83
	v_lshlrev_b32_e32 v46, 1, v8
	v_mul_u32_u24_e32 v165, 0x210, v3
	v_bfe_u32 v3, v65, 1, 4
	v_lshlrev_b32_e32 v5, 1, v2
	v_mul_u32_u24_e32 v17, 0x180, v71
	v_lshlrev_b32_e32 v18, 2, v10
	v_and_b32_e32 v46, 62, v46
	v_and_or_b32 v5, v5, s13, v3
	v_lshrrev_b32_e32 v2, 2, v2
	v_add3_u32 v152, v48, v17, v18
	s_abs_i32 s82, s76
	v_lshl_add_u32 v161, v46, 1, v48
	v_lshrrev_b32_e32 v48, 2, v50
	v_lshrrev_b32_e32 v50, 2, v54
	v_accvgpr_write_b32 a59, v2
	v_mad_u32_u24 v2, v5, s12, 0
	v_mul_f32_e32 v11, 0x4f7ffffe, v12
	v_cvt_f32_u32_e32 v12, s82
	s_movk_i32 s63, 0xe0
	v_accvgpr_write_b32 a53, v50
	v_mad_u32_u24 v50, v55, s12, 0
	v_mad_u32_u24 v5, v64, s12, 0
	v_lshrrev_b32_e32 v55, 2, v66
	v_accvgpr_write_b32 a60, v2
	v_add_u32_e32 v2, v2, v1
	v_rcp_iflag_f32_e32 v13, v13
	v_and_or_b32 v3, v63, s63, v3
	v_accvgpr_write_b32 a62, v55
	v_mad_u32_u24 v55, v68, s12, 0
	v_accvgpr_write_b32 a77, v2
	v_add_u32_e32 v2, v5, v1
	v_mad_u32_u24 v167, v3, s12, 0
	v_mad_u32_u24 v3, v49, s12, 0
	v_accvgpr_write_b32 a50, v48
	v_mad_u32_u24 v48, v51, s12, 0
	v_mad_u32_u24 v49, v53, s12, 0
	;; [unrolled: 1-line block ×3, first 2 shown]
	v_lshrrev_b32_e32 v53, 2, v58
	v_mad_u32_u24 v57, v70, s12, 0
	v_lshrrev_b32_e32 v58, 2, v72
	v_accvgpr_write_b32 a78, v2
	v_add_u32_e32 v2, v55, v1
	v_accvgpr_write_b32 a65, v58
	v_mad_u32_u24 v58, v73, s12, 0
	v_accvgpr_write_b32 a79, v2
	v_add_u32_e32 v2, v57, v1
	v_cvt_u32_f32_e32 v11, v11
	v_rcp_iflag_f32_e32 v12, v12
	v_accvgpr_write_b32 a56, v53
	v_mad_u32_u24 v53, v59, s12, 0
	v_mad_u32_u24 v54, v61, s12, 0
	;; [unrolled: 1-line block ×3, first 2 shown]
	v_lshrrev_b32_e32 v61, 2, v76
	v_accvgpr_write_b32 a80, v2
	v_add_u32_e32 v2, v58, v1
	v_mul_f32_e32 v13, 0x4f7ffffe, v13
	v_accvgpr_write_b32 a68, v61
	v_mad_u32_u24 v61, v77, s12, 0
	v_accvgpr_write_b32 a81, v2
	v_add_u32_e32 v2, v59, v1
	v_cvt_u32_f32_e32 v13, v13
	v_accvgpr_write_b32 a82, v2
	v_add_u32_e32 v2, v61, v1
	s_sub_i32 s4, 0, s81
	v_accvgpr_write_b32 a49, v3
	v_add_u32_e32 v192, v3, v1
	v_add_u32_e32 v3, v48, v1
	v_accvgpr_write_b32 a83, v2
	v_and_b32_e32 v2, 3, v52
	v_mul_lo_u32 v14, s4, v11
	v_mul_f32_e32 v12, 0x4f7ffffe, v12
	v_accvgpr_write_b32 a71, v3
	v_add_u32_e32 v3, v49, v1
	v_accvgpr_write_b32 a86, v2
	v_and_b32_e32 v2, 3, v56
	v_mul_hi_u32 v14, v11, v14
	v_cvt_u32_f32_e32 v12, v12
	s_sub_i32 s4, 0, s83
	v_accvgpr_write_b32 a72, v3
	v_add_u32_e32 v3, v50, v1
	v_accvgpr_write_b32 a88, v2
	v_and_b32_e32 v2, 3, v60
	v_add_u32_e32 v159, v11, v14
	v_mul_lo_u32 v11, s4, v13
	v_accvgpr_write_b32 a73, v3
	v_add_u32_e32 v3, v51, v1
	v_accvgpr_write_b32 a90, v2
	v_and_b32_e32 v2, 3, v62
	v_mul_hi_u32 v11, v13, v11
	v_mul_lo_u32 v14, s14, v71
	v_mul_lo_u32 v30, s34, v71
	v_mad_u32_u24 v64, v79, s12, 0
	v_accvgpr_write_b32 a74, v3
	v_add_u32_e32 v3, v53, v1
	v_accvgpr_write_b32 a92, v2
	v_and_b32_e32 v2, 3, v69
	v_add_u32_e32 v160, v13, v11
	v_or_b32_e32 v11, v197, v8
	v_add_u32_e32 v16, s6, v14
	v_add_u32_e32 v32, s7, v30
	;; [unrolled: 1-line block ×4, first 2 shown]
	v_accvgpr_write_b32 a75, v3
	v_add_u32_e32 v3, v54, v1
	v_add_u32_e32 v1, v64, v1
	v_accvgpr_write_b32 a94, v2
	v_and_b32_e32 v2, 3, v74
	v_readfirstlane_b32 s62, v12
	v_lshlrev_b32_e32 v12, 3, v11
	v_mov_b32_e32 v13, 0
	v_add_u32_e32 v18, s6, v16
	v_add_u32_e32 v34, s7, v32
	v_accvgpr_write_b32 a84, v1
	v_lshrrev_b32_e32 v1, 2, v52
	v_accvgpr_write_b32 a96, v2
	v_and_b32_e32 v2, 3, v78
	v_add_u32_e32 v20, s6, v18
	v_add_u32_e32 v36, s7, v34
	v_accvgpr_write_b32 a76, v3
	v_accvgpr_write_b32 a85, v1
	v_lshrrev_b32_e32 v1, 2, v56
	v_accvgpr_write_b32 a98, v2
	v_lshl_add_u64 v[2:3], s[8:9], 0, v[12:13]
	v_mov_b32_e32 v11, v13
	v_add_u32_e32 v22, s6, v20
	v_add_u32_e32 v38, s7, v36
	v_accvgpr_write_b32 a87, v1
	v_lshrrev_b32_e32 v1, 2, v60
	v_accvgpr_write_b32 a101, v3
	v_add_u32_e32 v24, s6, v22
	v_add_u32_e32 v40, s7, v38
	s_sub_i32 s13, 0, s82
	v_accvgpr_write_b32 a89, v1
	v_lshrrev_b32_e32 v1, 2, v62
	v_accvgpr_write_b32 a100, v2
	v_lshl_add_u64 v[2:3], s[22:23], 0, v[10:11]
	v_add_u32_e32 v26, s6, v24
	v_ashrrev_i32_e32 v31, 31, v30
	v_add_u32_e32 v42, s7, v40
	s_mul_i32 s13, s13, s62
	v_accvgpr_write_b32 a91, v1
	v_lshrrev_b32_e32 v1, 2, v69
	v_accvgpr_write_b32 a103, v3
	v_add_u32_e32 v28, s6, v26
	v_add_u32_e32 v44, s7, v42
	s_mul_hi_u32 s13, s62, s13
	v_accvgpr_write_b32 a93, v1
	v_lshrrev_b32_e32 v1, 2, v74
	v_accvgpr_write_b32 a102, v2
	v_lshl_add_u64 v[2:3], v[30:31], 2, s[20:21]
	s_mov_b32 s71, 0x10001
	v_ashrrev_i32_e32 v15, 31, v14
	v_ashrrev_i32_e32 v17, 31, v16
	;; [unrolled: 1-line block ×15, first 2 shown]
	s_add_i32 s88, s62, s13
	s_lshl_b64 s[62:63], s[38:39], 1
	v_mad_u32_u24 v216, v65, s12, v190
	v_accvgpr_write_b32 a95, v1
	v_lshrrev_b32_e32 v1, 2, v78
	v_mbcnt_lo_u32_b32 v240, -1, 0
	v_accvgpr_write_b32 a105, v3
	s_mul_i32 s84, s36, s37
	v_accvgpr_write_b32 a40, v197
	v_cmp_gt_u32_e64 s[4:5], 16, v8
	v_cmp_gt_u32_e64 s[6:7], 32, v8
	v_accvgpr_write_b32 a51, v48
	v_accvgpr_write_b32 a52, v49
	;; [unrolled: 1-line block ×13, first 2 shown]
	s_ashr_i32 s85, s78, 31
	s_ashr_i32 s86, s77, 31
	;; [unrolled: 1-line block ×3, first 2 shown]
	v_lshlrev_b32_e32 v48, 4, v4
	v_mov_b32_e32 v49, v13
	s_lshl_b64 s[64:65], s[34:35], 8
	s_lshl_b64 s[66:67], s[14:15], 8
	s_mov_b32 s39, 0x3fb8aa3b
	s_mov_b32 s63, 0xc2ce8ed0
	s_mov_b32 s89, 0x42b17218
	s_mov_b32 s90, 0xc1a00000
	s_mov_b32 s91, 0x5040100
	s_movk_i32 s92, 0x47
	s_mov_b64 s[68:69], 0x80
	v_accvgpr_write_b32 a48, v86
	v_mul_lo_u32 v207, v86, s71
	v_add_u32_e32 v208, 0x1080, v152
	v_add_u32_e32 v209, 0x2100, v152
	;; [unrolled: 1-line block ×7, first 2 shown]
	v_mul_u32_u24_e32 v215, 0x210, v65
	v_accvgpr_write_b32 a47, v85
	v_lshrrev_b32_e32 v217, 2, v85
	v_add_u32_e32 v218, 0x840, v216
	v_accvgpr_write_b32 a46, v84
	v_lshrrev_b32_e32 v219, 2, v84
	v_add_u32_e32 v220, 0x1080, v216
	;; [unrolled: 3-line block ×7, first 2 shown]
	v_bfe_u32 v231, v63, 3, 7
	v_lshrrev_b32_e32 v232, 2, v9
	v_and_b32_e32 v50, 3, v9
	v_accvgpr_write_b32 a97, v1
	v_mbcnt_hi_u32_b32 v241, -1, v240
	v_mov_b32_e32 v242, 0x7f800000
	v_and_b32_e32 v66, 3, v0
	v_bfe_u32 v70, v65, 1, 2
	v_mad_u64_u32 v[72:73], s[8:9], v7, s74, v[8:9]
	v_accvgpr_write_b32 a104, v2
	v_lshl_add_u64 v[78:79], v[32:33], 2, s[20:21]
	v_lshl_add_u64 v[80:81], v[34:35], 2, s[20:21]
	;; [unrolled: 1-line block ×15, first 2 shown]
	s_branch .LBB29_12
.LBB29_10:                              ;   in Loop: Header=BB29_12 Depth=1
	s_or_b64 exec, exec, s[70:71]
	s_barrier
.LBB29_11:                              ;   in Loop: Header=BB29_12 Depth=1
	s_add_i32 s8, s54, s79
	s_abs_i32 s12, s8
	s_mul_hi_u32 s13, s12, s50
	s_mul_i32 s13, s13, s80
	s_sub_i32 s12, s12, s13
	s_ashr_i32 s9, s8, 31
	s_sub_i32 s13, s12, s80
	s_cmp_ge_u32 s12, s80
	s_cselect_b32 s12, s13, s12
	s_sub_i32 s13, s12, s80
	s_cmp_ge_u32 s12, s80
	s_cselect_b32 s12, s13, s12
	s_xor_b32 s12, s12, s9
	s_sub_i32 s9, s9, s12
	s_add_i32 s54, s8, s9
	v_subrev_u32_e32 v1, s54, v6
	v_cmp_lt_i32_e64 s[8:9], s54, v6
	v_cmp_le_i32_e32 vcc, s79, v1
	s_and_b64 s[12:13], vcc, s[8:9]
	v_min_i32_e32 v134, s79, v1
	s_mov_b32 s70, 0
	s_and_b64 vcc, exec, s[12:13]
	s_cbranch_vccz .LBB29_272
.LBB29_12:                              ; =>This Loop Header: Depth=1
                                        ;     Child Loop BB29_181 Depth 2
                                        ;     Child Loop BB29_51 Depth 2
	s_abs_i32 s9, s54
	v_mul_hi_u32 v1, s9, v158
	v_mul_lo_u32 v2, v1, s57
	v_sub_u32_e32 v2, s9, v2
	v_add_u32_e32 v3, 1, v1
	v_subrev_u32_e32 v4, s57, v2
	v_cmp_le_u32_e32 vcc, s57, v2
	s_ashr_i32 s8, s54, 31
	s_xor_b32 s8, s8, s85
	v_cndmask_b32_e32 v1, v1, v3, vcc
	v_cndmask_b32_e32 v2, v2, v4, vcc
	v_add_u32_e32 v3, 1, v1
	v_cmp_le_u32_e32 vcc, s57, v2
	s_nop 1
	v_cndmask_b32_e32 v1, v1, v3, vcc
	v_xor_b32_e32 v1, s8, v1
	v_subrev_u32_e32 v1, s8, v1
	v_mul_lo_u32 v2, v1, s78
	v_sub_u32_e32 v3, s54, v2
	v_sub_u32_e32 v4, 0, v3
	v_max_i32_e32 v4, v3, v4
	v_mul_hi_u32 v5, v4, v159
	v_mul_lo_u32 v9, v5, s81
	v_sub_u32_e32 v4, v4, v9
	v_add_u32_e32 v9, 1, v5
	v_subrev_u32_e32 v11, s81, v4
	v_cmp_le_u32_e32 vcc, s81, v4
	v_ashrrev_i32_e32 v2, 31, v3
	v_xor_b32_e32 v2, s86, v2
	v_cndmask_b32_e32 v5, v5, v9, vcc
	v_cndmask_b32_e32 v4, v4, v11, vcc
	v_add_u32_e32 v9, 1, v5
	v_cmp_le_u32_e32 vcc, s81, v4
	s_nop 1
	v_cndmask_b32_e32 v4, v5, v9, vcc
	v_xor_b32_e32 v4, v4, v2
	v_sub_u32_e32 v2, v4, v2
	v_mul_lo_u32 v4, v2, s77
	v_sub_u32_e32 v3, v3, v4
	v_sub_u32_e32 v5, 0, v3
	v_max_i32_e32 v5, v3, v5
	v_mul_hi_u32 v9, v5, s88
	v_mul_lo_u32 v11, v9, s82
	v_sub_u32_e32 v5, v5, v11
	v_add_u32_e32 v11, 1, v9
	v_subrev_u32_e32 v12, s82, v5
	v_cmp_le_u32_e32 vcc, s82, v5
	v_ashrrev_i32_e32 v4, 31, v3
	v_xor_b32_e32 v4, s87, v4
	v_cndmask_b32_e32 v9, v9, v11, vcc
	v_cndmask_b32_e32 v5, v5, v12, vcc
	v_add_u32_e32 v11, 1, v9
	v_cmp_le_u32_e32 vcc, s82, v5
	s_nop 1
	v_cndmask_b32_e32 v5, v9, v11, vcc
	v_xor_b32_e32 v5, v5, v4
	v_sub_u32_e32 v4, v5, v4
	v_mul_lo_u32 v5, v4, s76
	v_sub_u32_e32 v3, v3, v5
	v_sub_u32_e32 v9, 0, v3
	v_ashrrev_i32_e32 v5, 31, v3
	v_max_i32_e32 v3, v3, v9
	v_mul_hi_u32 v9, v3, s50
	v_mul_lo_u32 v11, v9, s80
	v_sub_u32_e32 v3, v3, v11
	v_add_u32_e32 v11, 1, v9
	v_subrev_u32_e32 v12, s80, v3
	v_cmp_le_u32_e32 vcc, s80, v3
	v_xor_b32_e32 v5, s42, v5
	s_nop 0
	v_cndmask_b32_e32 v9, v9, v11, vcc
	v_cndmask_b32_e32 v3, v3, v12, vcc
	v_add_u32_e32 v11, 1, v9
	v_cmp_le_u32_e32 vcc, s80, v3
	s_nop 1
	v_cndmask_b32_e32 v3, v9, v11, vcc
	v_xor_b32_e32 v3, v3, v5
	s_andn2_b64 vcc, exec, s[60:61]
	v_sub_u32_e32 v3, v3, v5
	s_cbranch_vccnz .LBB29_14
; %bb.13:                               ;   in Loop: Header=BB29_12 Depth=1
	v_mul_lo_u32 v5, v1, s75
	v_add_u32_e32 v52, v3, v5
	v_ashrrev_i32_e32 v53, 31, v52
	v_lshlrev_b64 v[52:53], 2, v[52:53]
	v_lshl_add_u64 v[52:53], s[26:27], 0, v[52:53]
	global_load_dword v5, v[52:53], off
	s_waitcnt vmcnt(0)
	v_ashrrev_i32_e32 v9, 31, v5
	v_lshrrev_b32_e32 v9, 26, v9
	v_add_u32_e32 v5, v5, v9
	v_ashrrev_i32_e32 v5, 6, v5
	v_min_i32_e32 v134, v134, v5
.LBB29_14:                              ;   in Loop: Header=BB29_12 Depth=1
	v_mul_lo_u32 v5, v2, s3
	v_lshlrev_b32_e32 v11, 2, v4
	v_add_u32_e32 v4, v11, v5
	v_ashrrev_i32_e32 v5, 31, v1
	v_mul_hi_u32 v9, s40, v1
	v_mul_lo_u32 v12, s40, v5
	v_add_u32_e32 v9, v9, v12
	v_mul_lo_u32 v12, s41, v1
	v_add_u32_e32 v119, v9, v12
	v_sub_u32_e32 v9, 0, v1
	v_max_i32_e32 v9, v1, v9
	v_mul_hi_u32 v12, v9, v160
	v_mul_lo_u32 v12, v12, s83
	v_sub_u32_e32 v9, v9, v12
	v_subrev_u32_e32 v12, s83, v9
	v_cmp_le_u32_e32 vcc, s83, v9
	v_mul_lo_u32 v52, v1, s53
	v_ashrrev_i32_e32 v53, 31, v52
	v_cndmask_b32_e32 v9, v9, v12, vcc
	v_subrev_u32_e32 v12, s83, v9
	v_cmp_le_u32_e32 vcc, s83, v9
	v_mul_lo_u32 v54, v4, s52
	v_lshl_add_u64 v[52:53], s[16:17], 0, v[52:53]
	v_cndmask_b32_e32 v9, v9, v12, vcc
	v_xor_b32_e32 v9, v9, v5
	v_sub_u32_e32 v9, v9, v5
	v_ashrrev_i32_e32 v12, 31, v9
	v_mul_lo_u32 v12, s48, v12
	v_mul_hi_u32 v51, s48, v9
	v_add_u32_e32 v12, v51, v12
	v_mul_lo_u32 v51, s49, v9
	v_mul_lo_u32 v122, s48, v9
	;; [unrolled: 1-line block ×3, first 2 shown]
	v_add_u32_e32 v9, v4, v9
	v_add_u32_e32 v123, v12, v51
	v_lshlrev_b32_e32 v12, 7, v9
	v_mul_hi_u32 v9, s46, v1
	v_mul_lo_u32 v5, s46, v5
	v_ashrrev_i32_e32 v55, 31, v54
	v_mul_lo_u32 v118, s40, v1
	v_mul_lo_u32 v120, v2, s51
	v_add_u32_e32 v5, v9, v5
	v_mul_lo_u32 v9, s47, v1
	v_lshl_add_u64 v[128:129], v[52:53], 0, v[54:55]
	v_lshl_add_u64 v[52:53], s[18:19], 0, v[118:119]
	v_ashrrev_i32_e32 v121, 31, v120
	v_add_u32_e32 v125, v5, v9
	v_ashrrev_i32_e32 v5, 31, v4
	v_lshl_add_u64 v[114:115], v[52:53], 0, v[120:121]
	v_lshlrev_b64 v[52:53], 3, v[12:13]
	v_mul_lo_u32 v124, s46, v1
	v_mul_lo_u32 v126, v2, s43
	v_lshlrev_b64 v[4:5], 2, v[4:5]
	v_lshl_add_u64 v[108:109], s[28:29], 0, v[52:53]
	v_lshl_add_u64 v[52:53], s[20:21], 0, v[124:125]
	v_ashrrev_i32_e32 v127, 31, v126
	v_lshl_add_u64 v[4:5], s[24:25], 0, v[4:5]
	v_lshlrev_b32_e32 v73, 3, v3
	v_bfe_u32 v1, v63, 2, 8
	v_lshl_add_u64 v[116:117], s[22:23], 0, v[122:123]
	v_lshl_add_u64 v[112:113], v[52:53], 0, v[126:127]
	v_cndmask_b32_e64 v111, v5, 0, s[58:59]
	v_cndmask_b32_e64 v110, v4, 0, s[58:59]
	s_cmp_lg_u32 s70, 0
	v_add_u32_e32 v135, v1, v73
	v_or_b32_e32 v136, v7, v11
	s_cbranch_scc0 .LBB29_52
; %bb.15:                               ;   in Loop: Header=BB29_12 Depth=1
	v_cmp_le_i32_e64 s[8:9], s36, v135
	v_cmp_le_i32_e64 s[12:13], s3, v136
	v_cmp_gt_i32_e32 vcc, s3, v136
	s_or_b64 s[8:9], s[8:9], s[12:13]
	s_and_saveexec_b64 s[12:13], s[8:9]
	s_xor_b64 s[8:9], exec, s[12:13]
; %bb.16:                               ;   in Loop: Header=BB29_12 Depth=1
	v_add_u32_e32 v1, v190, v215
	ds_write2st64_b32 v1, v13, v13 offset1:1
; %bb.17:                               ;   in Loop: Header=BB29_12 Depth=1
	s_andn2_saveexec_b64 s[8:9], s[8:9]
	s_cbranch_execz .LBB29_19
; %bb.18:                               ;   in Loop: Header=BB29_12 Depth=1
	v_mad_u64_u32 v[2:3], s[12:13], v135, s55, v[72:73]
	v_ashrrev_i32_e32 v3, 31, v2
	v_lshl_add_u64 v[2:3], v[2:3], 3, v[128:129]
	global_load_dwordx2 v[4:5], v[2:3], off
	s_nop 0
	global_load_dwordx2 v[2:3], v[2:3], off offset:512
	s_waitcnt vmcnt(1)
	v_cvt_pk_f16_f32 v1, v4, v5
	s_waitcnt vmcnt(0)
	v_cvt_pk_f16_f32 v2, v2, v3
	v_pk_mul_f16 v1, v1, v207
	v_pk_mul_f16 v2, v2, v207
	ds_write2st64_b32 v216, v1, v2 offset1:1
.LBB29_19:                              ;   in Loop: Header=BB29_12 Depth=1
	s_or_b64 exec, exec, s[8:9]
	v_add_u32_e32 v1, v217, v73
	v_cmp_le_i32_e64 s[8:9], s36, v1
	s_xor_b64 s[12:13], vcc, -1
	s_or_b64 s[8:9], s[8:9], s[12:13]
	s_and_saveexec_b64 s[72:73], s[8:9]
	s_xor_b64 s[8:9], exec, s[72:73]
; %bb.20:                               ;   in Loop: Header=BB29_12 Depth=1
	v_add_u32_e32 v1, v190, v215
	v_add_u32_e32 v1, 64, v1
	ds_write2st64_b32 v1, v13, v13 offset0:8 offset1:9
                                        ; implicit-def: $vgpr1
; %bb.21:                               ;   in Loop: Header=BB29_12 Depth=1
	s_andn2_saveexec_b64 s[8:9], s[8:9]
	s_cbranch_execz .LBB29_23
; %bb.22:                               ;   in Loop: Header=BB29_12 Depth=1
	v_mad_u64_u32 v[2:3], s[72:73], v1, s55, v[72:73]
	v_ashrrev_i32_e32 v3, 31, v2
	v_lshl_add_u64 v[2:3], v[2:3], 3, v[128:129]
	global_load_dwordx2 v[4:5], v[2:3], off
	s_nop 0
	global_load_dwordx2 v[2:3], v[2:3], off offset:512
	s_waitcnt vmcnt(1)
	v_cvt_pk_f16_f32 v1, v4, v5
	s_waitcnt vmcnt(0)
	v_cvt_pk_f16_f32 v2, v2, v3
	v_pk_mul_f16 v1, v1, v207
	v_pk_mul_f16 v2, v2, v207
	ds_write2st64_b32 v218, v1, v2 offset1:1
.LBB29_23:                              ;   in Loop: Header=BB29_12 Depth=1
	s_or_b64 exec, exec, s[8:9]
	v_add_u32_e32 v1, v219, v73
	v_cmp_le_i32_e32 vcc, s36, v1
	s_or_b64 s[8:9], vcc, s[12:13]
	s_and_saveexec_b64 s[72:73], s[8:9]
	s_xor_b64 s[8:9], exec, s[72:73]
; %bb.24:                               ;   in Loop: Header=BB29_12 Depth=1
	v_add_u32_e32 v1, v190, v215
	v_add_u32_e32 v1, 0x80, v1
	ds_write2st64_b32 v1, v13, v13 offset0:16 offset1:17
                                        ; implicit-def: $vgpr1
; %bb.25:                               ;   in Loop: Header=BB29_12 Depth=1
	s_andn2_saveexec_b64 s[8:9], s[8:9]
	s_cbranch_execz .LBB29_27
; %bb.26:                               ;   in Loop: Header=BB29_12 Depth=1
	v_mad_u64_u32 v[2:3], s[72:73], v1, s55, v[72:73]
	v_ashrrev_i32_e32 v3, 31, v2
	v_lshl_add_u64 v[2:3], v[2:3], 3, v[128:129]
	global_load_dwordx2 v[4:5], v[2:3], off
	s_nop 0
	global_load_dwordx2 v[2:3], v[2:3], off offset:512
	s_waitcnt vmcnt(1)
	v_cvt_pk_f16_f32 v1, v4, v5
	s_waitcnt vmcnt(0)
	v_cvt_pk_f16_f32 v2, v2, v3
	v_pk_mul_f16 v1, v1, v207
	v_pk_mul_f16 v2, v2, v207
	ds_write2st64_b32 v220, v1, v2 offset1:1
.LBB29_27:                              ;   in Loop: Header=BB29_12 Depth=1
	s_or_b64 exec, exec, s[8:9]
	v_add_u32_e32 v1, v221, v73
	v_cmp_le_i32_e32 vcc, s36, v1
	s_or_b64 s[8:9], vcc, s[12:13]
	;; [unrolled: 29-line block ×3, first 2 shown]
	s_and_saveexec_b64 s[72:73], s[8:9]
	s_xor_b64 s[8:9], exec, s[72:73]
; %bb.32:                               ;   in Loop: Header=BB29_12 Depth=1
	v_add_u32_e32 v1, v190, v215
	ds_write2st64_b32 v1, v13, v13 offset0:33 offset1:34
                                        ; implicit-def: $vgpr1
; %bb.33:                               ;   in Loop: Header=BB29_12 Depth=1
	s_andn2_saveexec_b64 s[8:9], s[8:9]
	s_cbranch_execz .LBB29_35
; %bb.34:                               ;   in Loop: Header=BB29_12 Depth=1
	v_mad_u64_u32 v[2:3], s[72:73], v1, s55, v[72:73]
	v_ashrrev_i32_e32 v3, 31, v2
	v_lshl_add_u64 v[2:3], v[2:3], 3, v[128:129]
	global_load_dwordx2 v[4:5], v[2:3], off
	s_nop 0
	global_load_dwordx2 v[2:3], v[2:3], off offset:512
	s_waitcnt vmcnt(1)
	v_cvt_pk_f16_f32 v1, v4, v5
	s_waitcnt vmcnt(0)
	v_cvt_pk_f16_f32 v2, v2, v3
	v_pk_mul_f16 v1, v1, v207
	v_pk_mul_f16 v2, v2, v207
	ds_write2st64_b32 v224, v1, v2 offset1:1
.LBB29_35:                              ;   in Loop: Header=BB29_12 Depth=1
	s_or_b64 exec, exec, s[8:9]
	v_add_u32_e32 v1, v225, v73
	v_cmp_le_i32_e32 vcc, s36, v1
	s_or_b64 s[8:9], vcc, s[12:13]
	s_and_saveexec_b64 s[72:73], s[8:9]
	s_xor_b64 s[8:9], exec, s[72:73]
; %bb.36:                               ;   in Loop: Header=BB29_12 Depth=1
	v_add_u32_e32 v1, v190, v215
	v_add_u32_e32 v1, 64, v1
	ds_write2st64_b32 v1, v13, v13 offset0:41 offset1:42
                                        ; implicit-def: $vgpr1
; %bb.37:                               ;   in Loop: Header=BB29_12 Depth=1
	s_andn2_saveexec_b64 s[8:9], s[8:9]
	s_cbranch_execz .LBB29_39
; %bb.38:                               ;   in Loop: Header=BB29_12 Depth=1
	v_mad_u64_u32 v[2:3], s[72:73], v1, s55, v[72:73]
	v_ashrrev_i32_e32 v3, 31, v2
	v_lshl_add_u64 v[2:3], v[2:3], 3, v[128:129]
	global_load_dwordx2 v[4:5], v[2:3], off
	s_nop 0
	global_load_dwordx2 v[2:3], v[2:3], off offset:512
	s_waitcnt vmcnt(1)
	v_cvt_pk_f16_f32 v1, v4, v5
	s_waitcnt vmcnt(0)
	v_cvt_pk_f16_f32 v2, v2, v3
	v_pk_mul_f16 v1, v1, v207
	v_pk_mul_f16 v2, v2, v207
	ds_write2st64_b32 v226, v1, v2 offset1:1
.LBB29_39:                              ;   in Loop: Header=BB29_12 Depth=1
	s_or_b64 exec, exec, s[8:9]
	v_add_u32_e32 v1, v227, v73
	v_cmp_le_i32_e32 vcc, s36, v1
	s_or_b64 s[8:9], vcc, s[12:13]
	s_and_saveexec_b64 s[72:73], s[8:9]
	s_xor_b64 s[8:9], exec, s[72:73]
; %bb.40:                               ;   in Loop: Header=BB29_12 Depth=1
	v_add_u32_e32 v1, v190, v215
	;; [unrolled: 29-line block ×3, first 2 shown]
	v_add_u32_e32 v1, 0xc0, v1
	ds_write2st64_b32 v1, v13, v13 offset0:57 offset1:58
                                        ; implicit-def: $vgpr1
; %bb.45:                               ;   in Loop: Header=BB29_12 Depth=1
	s_andn2_saveexec_b64 s[8:9], s[8:9]
	s_cbranch_execz .LBB29_47
; %bb.46:                               ;   in Loop: Header=BB29_12 Depth=1
	v_mad_u64_u32 v[2:3], s[12:13], v1, s55, v[72:73]
	v_ashrrev_i32_e32 v3, 31, v2
	v_lshl_add_u64 v[2:3], v[2:3], 3, v[128:129]
	global_load_dwordx2 v[4:5], v[2:3], off
	s_nop 0
	global_load_dwordx2 v[2:3], v[2:3], off offset:512
	s_waitcnt vmcnt(1)
	v_cvt_pk_f16_f32 v1, v4, v5
	s_waitcnt vmcnt(0)
	v_cvt_pk_f16_f32 v2, v2, v3
	v_pk_mul_f16 v1, v1, v207
	v_pk_mul_f16 v2, v2, v207
	ds_write2st64_b32 v230, v1, v2 offset1:1
.LBB29_47:                              ;   in Loop: Header=BB29_12 Depth=1
	s_or_b64 exec, exec, s[8:9]
	s_waitcnt lgkmcnt(0)
	s_barrier
	ds_read2_b64 a[32:35], v67 offset1:4
	ds_read2_b64 a[28:31], v67 offset0:8 offset1:12
	ds_read2_b64 a[24:27], v67 offset0:16 offset1:20
	ds_read2_b64 a[20:23], v67 offset0:24 offset1:28
	ds_read2_b64 a[16:19], v67 offset0:32 offset1:36
	ds_read2_b64 a[12:15], v67 offset0:40 offset1:44
	ds_read2_b64 a[8:11], v67 offset0:48 offset1:52
	ds_read2_b64 a[4:7], v67 offset0:56 offset1:60
	v_add_u32_e32 v143, -1, v134
	v_cmp_lt_i32_e32 vcc, s70, v143
	s_and_b64 vcc, exec, vcc
	s_mov_b64 s[8:9], -1
	s_waitcnt lgkmcnt(0)
	s_barrier
                                        ; implicit-def: $vgpr137
                                        ; implicit-def: $vgpr140
                                        ; implicit-def: $vgpr138
	s_cbranch_vccnz .LBB29_49
; %bb.48:                               ;   in Loop: Header=BB29_12 Depth=1
	v_and_b32_e32 v1, 64, v241
	v_add_u32_e32 v137, 64, v1
	v_xor_b32_e32 v140, 32, v241
	v_xor_b32_e32 v138, 16, v241
	s_mov_b64 s[8:9], 0
.LBB29_49:                              ;   in Loop: Header=BB29_12 Depth=1
	v_add_u32_e32 v1, v73, v71
	v_mul_hi_u32 v2, s44, v1
	v_add_u32_e32 v2, v1, v2
	v_lshrrev_b32_e32 v2, s45, v2
	v_mul_lo_u32 v2, v2, s36
	v_sub_u32_e32 v1, v1, v2
	s_andn2_b64 vcc, exec, s[8:9]
	v_mad_i64_i32 v[2:3], s[8:9], v1, s38, 0
	s_cbranch_vccnz .LBB29_53
; %bb.50:                               ;   in Loop: Header=BB29_12 Depth=1
	v_mbcnt_hi_u32_b32 v139, -1, v240
	v_and_b32_e32 v1, 64, v139
	v_add_u32_e32 v137, 64, v1
	v_xor_b32_e32 v140, 32, v139
	v_cmp_lt_i32_e32 vcc, v140, v137
	v_xor_b32_e32 v138, 16, v139
	v_lshl_add_u64 v[4:5], v[2:3], 1, v[116:117]
	v_cndmask_b32_e32 v1, v139, v140, vcc
	v_cmp_lt_i32_e32 vcc, v138, v137
	v_lshlrev_b32_e32 v12, 1, v46
	v_lshlrev_b32_e32 v144, 2, v1
	v_cndmask_b32_e32 v1, v139, v138, vcc
	v_lshl_add_u64 v[4:5], v[4:5], 0, v[12:13]
	v_lshlrev_b32_e32 v145, 2, v1
	s_lshl_b32 s8, s70, 6
	v_mov_b32_e32 v58, 0
	v_mov_b32_e32 v141, 0xfeffffff
	;; [unrolled: 1-line block ×34, first 2 shown]
.LBB29_51:                              ;   Parent Loop BB29_12 Depth=1
                                        ; =>  This Inner Loop Header: Depth=2
	s_ashr_i32 s9, s8, 31
	v_lshl_add_u64 v[52:53], s[8:9], 1, v[4:5]
	global_load_dword v12, v[52:53], off
	s_mul_hi_i32 s13, s8, s14
	s_mul_i32 s12, s8, s14
	s_lshl_b64 s[12:13], s[12:13], 2
	v_lshl_add_u64 v[52:53], v[114:115], 0, s[12:13]
	v_lshl_add_u64 v[54:55], v[14:15], 2, v[52:53]
	;; [unrolled: 1-line block ×9, first 2 shown]
	v_add_u32_e32 v47, 0x4000, v154
	v_mov_b32_e32 v9, v141
	v_mov_b32_e32 v1, v142
	s_mul_hi_i32 s13, s8, s34
	s_mul_i32 s12, s8, s34
	s_lshl_b64 s[12:13], s[12:13], 2
	s_add_i32 s70, s70, 1
	s_add_i32 s8, s8, 64
	s_waitcnt vmcnt(0)
	ds_write_b32 v161, v12 offset:33792
	v_lshlrev_b32_e32 v12, 2, v10
	v_lshl_add_u64 v[54:55], v[54:55], 0, v[12:13]
	v_lshl_add_u64 v[176:177], v[52:53], 0, v[12:13]
	global_load_dwordx4 v[52:55], v[54:55], off
	v_lshl_add_u64 v[56:57], v[56:57], 0, v[12:13]
	v_lshl_add_u64 v[68:69], v[68:69], 0, v[12:13]
	;; [unrolled: 1-line block ×6, first 2 shown]
	s_waitcnt vmcnt(0)
	ds_write_b128 v152, v[52:55]
	global_load_dwordx4 v[52:55], v[56:57], off
	s_waitcnt vmcnt(0)
	ds_write_b128 v208, v[52:55]
	global_load_dwordx4 v[52:55], v[68:69], off
	;; [unrolled: 3-line block ×7, first 2 shown]
	s_waitcnt vmcnt(0)
	ds_write_b128 v214, v[52:55]
	s_waitcnt lgkmcnt(0)
	s_barrier
	ds_read2_b64 v[52:55], v154 offset1:4
	s_waitcnt lgkmcnt(0)
	v_mfma_f32_16x16x16_f16 a[0:3], v[52:53], a[32:33], 0
	v_mfma_f32_16x16x16_f16 a[0:3], v[54:55], a[34:35], a[0:3]
	ds_read2_b64 v[52:55], v154 offset0:8 offset1:12
	s_waitcnt lgkmcnt(0)
	v_mfma_f32_16x16x16_f16 a[0:3], v[52:53], a[28:29], a[0:3]
	v_mfma_f32_16x16x16_f16 a[0:3], v[54:55], a[30:31], a[0:3]
	ds_read2_b64 v[52:55], v154 offset0:16 offset1:20
	;; [unrolled: 4-line block ×15, first 2 shown]
	v_add_u32_e32 v47, 0x8400, v155
	s_waitcnt lgkmcnt(0)
	v_mfma_f32_16x16x16_f16 a[36:39], v[52:53], a[4:5], a[36:39]
	s_barrier
	ds_read2_b32 v[52:53], v47 offset1:1
	v_mfma_f32_16x16x16_f16 a[36:39], v[54:55], a[6:7], a[36:39]
	v_accvgpr_read_b32 v54, a2
	s_waitcnt lgkmcnt(0)
	v_cvt_f32_f16_e32 v47, v52
	v_cvt_f32_f16_sdwa v51, v52 dst_sel:DWORD dst_unused:UNUSED_PAD src0_sel:WORD_1
	v_accvgpr_read_b32 v52, a0
	v_add_f32_e32 v47, v52, v47
	v_accvgpr_read_b32 v52, a1
	v_add_f32_e32 v51, v52, v51
	v_cvt_f32_f16_e32 v52, v53
	v_cvt_f32_f16_sdwa v53, v53 dst_sel:DWORD dst_unused:UNUSED_PAD src0_sel:WORD_1
	v_accvgpr_read_b32 v56, a36
	v_accvgpr_read_b32 v59, a38
	v_add_f32_e32 v52, v54, v52
	v_accvgpr_read_b32 v54, a3
	v_add_f32_e32 v53, v54, v53
	ds_read_b32 v54, v162 offset:33792
	v_add_f32_e32 v61, 0x40051340, v51
	v_add_f32_e32 v68, 0x40051340, v53
	s_waitcnt lgkmcnt(0)
	v_cvt_f32_f16_e32 v55, v54
	v_cvt_f32_f16_sdwa v54, v54 dst_sel:DWORD dst_unused:UNUSED_PAD src0_sel:WORD_1
	v_add_f32_e32 v55, v56, v55
	v_accvgpr_read_b32 v56, a37
	v_add_f32_e32 v54, v56, v54
	ds_read_b32 v56, v163 offset:33792
	s_waitcnt lgkmcnt(0)
	v_cvt_f32_f16_e32 v57, v56
	v_cvt_f32_f16_sdwa v56, v56 dst_sel:DWORD dst_unused:UNUSED_PAD src0_sel:WORD_1
	v_add_f32_e32 v57, v59, v57
	v_accvgpr_read_b32 v59, a39
	v_add_f32_e32 v59, v59, v56
	v_add_f32_e32 v56, 0x40051340, v47
	v_max3_f32 v56, v9, v56, v61
	v_add_f32_e32 v61, 0x40051340, v52
	v_max3_f32 v56, v56, v61, v68
	v_add_f32_e32 v61, 0x40051340, v55
	v_add_f32_e32 v68, 0x40051340, v54
	v_max3_f32 v56, v56, v61, v68
	v_add_f32_e32 v61, 0x40051340, v57
	v_add_f32_e32 v68, 0x40051340, v59
	v_max3_f32 v56, v56, v61, v68
	ds_bpermute_b32 v61, v144, v56
	s_waitcnt lgkmcnt(0)
	v_max_f32_e32 v61, v61, v61
	v_max_f32_e32 v56, v56, v61
	ds_bpermute_b32 v61, v145, v56
	s_waitcnt lgkmcnt(0)
	v_max_f32_e32 v61, v61, v61
	v_max_f32_e32 v141, v56, v61
	v_sub_f32_e32 v47, v47, v141
	v_mul_f32_e32 v56, 0x3fb8aa3b, v47
	v_fma_f32 v61, v47, s39, -v56
	v_rndne_f32_e32 v68, v56
	v_fmac_f32_e32 v61, 0x32a5705f, v47
	v_sub_f32_e32 v56, v56, v68
	v_add_f32_e32 v56, v56, v61
	v_exp_f32_e32 v56, v56
	v_cvt_i32_f32_e32 v61, v68
	v_cmp_ngt_f32_e32 vcc, s63, v47
	v_sub_f32_e32 v9, v9, v141
	v_ldexp_f32 v56, v56, v61
	v_cndmask_b32_e32 v56, 0, v56, vcc
	v_cmp_nlt_f32_e32 vcc, s89, v47
	v_sub_f32_e32 v47, v51, v141
	v_mul_f32_e32 v51, 0x3fb8aa3b, v47
	v_fma_f32 v61, v47, s39, -v51
	v_rndne_f32_e32 v68, v51
	v_fmac_f32_e32 v61, 0x32a5705f, v47
	v_sub_f32_e32 v51, v51, v68
	v_add_f32_e32 v51, v51, v61
	v_exp_f32_e32 v51, v51
	v_cvt_i32_f32_e32 v61, v68
	v_cndmask_b32_e32 v56, v242, v56, vcc
	v_cmp_ngt_f32_e32 vcc, s63, v47
	v_ldexp_f32 v51, v51, v61
	s_nop 0
	v_cndmask_b32_e32 v51, 0, v51, vcc
	v_cmp_nlt_f32_e32 vcc, s89, v47
	s_nop 1
	v_cndmask_b32_e32 v130, v242, v51, vcc
	v_sub_f32_e32 v51, v52, v141
	v_mul_f32_e32 v52, 0x3fb8aa3b, v51
	v_fma_f32 v61, v51, s39, -v52
	v_rndne_f32_e32 v68, v52
	v_fmac_f32_e32 v61, 0x32a5705f, v51
	v_sub_f32_e32 v52, v52, v68
	v_add_f32_e32 v52, v52, v61
	v_exp_f32_e32 v52, v52
	v_cvt_i32_f32_e32 v61, v68
	v_cmp_ngt_f32_e32 vcc, s63, v51
	v_add_f32_e32 v47, v56, v130
	v_lshl_add_u64 v[68:69], v[112:113], 0, s[12:13]
	v_ldexp_f32 v52, v52, v61
	v_cndmask_b32_e32 v52, 0, v52, vcc
	v_cmp_nlt_f32_e32 vcc, s89, v51
	v_sub_f32_e32 v51, v53, v141
	v_lshl_add_u64 v[74:75], v[30:31], 2, v[68:69]
	v_cndmask_b32_e32 v194, v242, v52, vcc
	v_mul_f32_e32 v52, 0x3fb8aa3b, v51
	v_fma_f32 v53, v51, s39, -v52
	v_rndne_f32_e32 v61, v52
	v_fmac_f32_e32 v53, 0x32a5705f, v51
	v_sub_f32_e32 v52, v52, v61
	v_add_f32_e32 v52, v52, v53
	v_exp_f32_e32 v52, v52
	v_cvt_i32_f32_e32 v53, v61
	v_cmp_ngt_f32_e32 vcc, s63, v51
	v_add_f32_e32 v47, v194, v47
	v_lshl_add_u64 v[74:75], v[74:75], 0, v[12:13]
	v_ldexp_f32 v52, v52, v53
	v_cndmask_b32_e32 v52, 0, v52, vcc
	v_cmp_nlt_f32_e32 vcc, s89, v51
	v_sub_f32_e32 v51, v55, v141
	v_lshl_add_u64 v[168:169], v[36:37], 2, v[68:69]
	v_cndmask_b32_e32 v196, v242, v52, vcc
	v_mul_f32_e32 v52, 0x3fb8aa3b, v51
	v_fma_f32 v53, v51, s39, -v52
	v_rndne_f32_e32 v55, v52
	v_fmac_f32_e32 v53, 0x32a5705f, v51
	v_sub_f32_e32 v52, v52, v55
	v_add_f32_e32 v52, v52, v53
	v_exp_f32_e32 v52, v52
	v_cvt_i32_f32_e32 v53, v55
	v_cmp_ngt_f32_e32 vcc, s63, v51
	v_add_f32_e32 v47, v196, v47
	v_lshl_add_u64 v[168:169], v[168:169], 0, v[12:13]
	v_ldexp_f32 v52, v52, v53
	v_cndmask_b32_e32 v52, 0, v52, vcc
	v_cmp_nlt_f32_e32 vcc, s89, v51
	v_sub_f32_e32 v51, v54, v141
	v_cvt_pk_f16_f32 v130, v56, v130
	v_cndmask_b32_e32 v195, v242, v52, vcc
	v_mul_f32_e32 v52, 0x3fb8aa3b, v51
	v_fma_f32 v53, v51, s39, -v52
	v_rndne_f32_e32 v54, v52
	v_fmac_f32_e32 v53, 0x32a5705f, v51
	v_sub_f32_e32 v52, v52, v54
	v_add_f32_e32 v52, v52, v53
	v_exp_f32_e32 v52, v52
	v_cvt_i32_f32_e32 v53, v54
	v_cmp_ngt_f32_e32 vcc, s63, v51
	v_add_f32_e32 v47, v195, v47
	v_ldexp_f32 v52, v52, v53
	v_cndmask_b32_e32 v52, 0, v52, vcc
	v_cmp_nlt_f32_e32 vcc, s89, v51
	v_sub_f32_e32 v51, v57, v141
	s_nop 0
	v_cndmask_b32_e32 v233, v242, v52, vcc
	v_mul_f32_e32 v52, 0x3fb8aa3b, v51
	v_fma_f32 v53, v51, s39, -v52
	v_rndne_f32_e32 v54, v52
	v_fmac_f32_e32 v53, 0x32a5705f, v51
	v_sub_f32_e32 v52, v52, v54
	v_add_f32_e32 v52, v52, v53
	v_exp_f32_e32 v52, v52
	v_cvt_i32_f32_e32 v53, v54
	v_cmp_ngt_f32_e32 vcc, s63, v51
	v_add_f32_e32 v47, v233, v47
	v_ldexp_f32 v52, v52, v53
	v_cndmask_b32_e32 v52, 0, v52, vcc
	v_cmp_nlt_f32_e32 vcc, s89, v51
	v_sub_f32_e32 v51, v59, v141
	s_nop 0
	v_cndmask_b32_e32 v53, v242, v52, vcc
	v_mul_f32_e32 v52, 0x3fb8aa3b, v51
	v_fma_f32 v54, v51, s39, -v52
	v_rndne_f32_e32 v55, v52
	v_fmac_f32_e32 v54, 0x32a5705f, v51
	v_sub_f32_e32 v52, v52, v55
	v_add_f32_e32 v52, v52, v54
	v_exp_f32_e32 v52, v52
	v_cvt_i32_f32_e32 v54, v55
	v_cmp_ngt_f32_e32 vcc, s63, v51
	v_add_f32_e32 v47, v53, v47
	v_ldexp_f32 v52, v52, v54
	v_cndmask_b32_e32 v52, 0, v52, vcc
	v_cmp_nlt_f32_e32 vcc, s89, v51
	s_nop 1
	v_cndmask_b32_e32 v55, v242, v52, vcc
	v_add_f32_e32 v142, v55, v47
	v_mul_f32_e32 v47, 0x3fb8aa3b, v9
	v_fma_f32 v51, v9, s39, -v47
	v_rndne_f32_e32 v52, v47
	v_fmac_f32_e32 v51, 0x32a5705f, v9
	v_sub_f32_e32 v47, v47, v52
	v_add_f32_e32 v47, v47, v51
	v_exp_f32_e32 v47, v47
	v_cvt_i32_f32_e32 v51, v52
	v_cmp_ngt_f32_e32 vcc, s63, v9
	v_ldexp_f32 v47, v47, v51
	s_nop 0
	v_cndmask_b32_e32 v47, 0, v47, vcc
	v_cmp_nlt_f32_e32 vcc, s89, v9
	s_nop 1
	v_cndmask_b32_e32 v47, v242, v47, vcc
	v_cmp_le_f32_e32 vcc, s90, v9
	s_nop 1
	v_cndmask_b32_e32 v9, 0, v47, vcc
	v_fmac_f32_e32 v142, v1, v9
	v_cvt_f16_f32_e32 v1, v9
	v_cmp_lt_i32_e32 vcc, s70, v143
	s_and_b64 vcc, exec, vcc
	v_mul_u32_u24_e32 v47, 0x10001, v1
	v_pk_mul_f16 v185, v199, v47
	v_pk_mul_f16 v183, v198, v47
	v_lshl_add_u64 v[198:199], v[38:39], 2, v[68:69]
	v_pk_mul_f16 v9, v203, v47
	v_pk_mul_f16 v189, v202, v47
	v_lshl_add_u64 v[202:203], v[198:199], 0, v[12:13]
	v_lshl_add_u64 v[198:199], v[40:41], 2, v[68:69]
	v_pk_mul_f16 v59, v238, v47
	v_lshl_add_u64 v[238:239], v[198:199], 0, v[12:13]
	v_lshl_add_u64 v[198:199], v[42:43], 2, v[68:69]
	v_pk_mul_f16 v188, v201, v47
	v_pk_mul_f16 v186, v200, v47
	v_lshl_add_u64 v[244:245], v[198:199], 0, v[12:13]
	global_load_dwordx4 v[198:201], v[74:75], off
	v_pk_mul_f16 v61, v133, v47
	v_pk_mul_f16 v173, v132, v47
	v_lshl_add_u64 v[132:133], v[32:33], 2, v[68:69]
	v_lshl_add_u64 v[132:133], v[132:133], 0, v[12:13]
	v_pk_mul_f16 v54, v151, v47
	v_pk_mul_f16 v52, v150, v47
	v_lshl_add_u64 v[150:151], v[34:35], 2, v[68:69]
	v_lshl_add_u64 v[150:151], v[150:151], 0, v[12:13]
	;; [unrolled: 1-line block ×4, first 2 shown]
	v_pk_mul_f16 v57, v237, v47
	v_pk_mul_f16 v236, v236, v47
	;; [unrolled: 1-line block ×21, first 2 shown]
	v_cvt_f32_f16_e32 v60, v59
	v_cvt_f32_f16_sdwa v59, v59 dst_sel:DWORD dst_unused:UNUSED_PAD src0_sel:WORD_1
	v_cvt_f32_f16_e32 v74, v57
	v_cvt_f32_f16_sdwa v57, v57 dst_sel:DWORD dst_unused:UNUSED_PAD src0_sel:WORD_1
	v_cvt_pk_f16_f32 v131, v194, v196
	v_accvgpr_write_b32 a0, v60
	v_accvgpr_write_b32 a1, v59
	;; [unrolled: 1-line block ×4, first 2 shown]
	s_waitcnt vmcnt(0)
	ds_write_b128 v152, v[198:201]
	global_load_dwordx4 v[198:201], v[132:133], off
	v_cvt_pk_f16_f32 v133, v53, v55
	v_cvt_pk_f16_f32 v132, v195, v233
	v_cvt_f32_f16_e32 v55, v236
	s_waitcnt vmcnt(0)
	ds_write_b128 v208, v[198:201]
	global_load_dwordx4 v[198:201], v[150:151], off
	s_waitcnt vmcnt(0)
	ds_write_b128 v209, v[198:201]
	global_load_dwordx4 v[198:201], v[168:169], off
	s_waitcnt vmcnt(0)
	ds_write_b128 v210, v[198:201]
	global_load_dwordx4 v[198:201], v[202:203], off
	s_waitcnt vmcnt(0)
	ds_write_b128 v211, v[198:201]
	global_load_dwordx4 v[198:201], v[238:239], off
	s_waitcnt vmcnt(0)
	ds_write_b128 v212, v[198:201]
	global_load_dwordx4 v[198:201], v[244:245], off
	s_waitcnt vmcnt(0)
	ds_write_b128 v213, v[198:201]
	global_load_dwordx4 v[198:201], v[68:69], off
	s_waitcnt vmcnt(0)
	ds_write_b128 v214, v[198:201]
	s_waitcnt lgkmcnt(0)
	s_barrier
	ds_read_u16 v12, v156 offset:528
	ds_read_u16 v47, v156 offset:1056
	ds_read_u16 v68, v157
	ds_read_u16 v75, v157 offset:32
	s_waitcnt lgkmcnt(1)
	v_perm_b32 v69, v68, v47, s91
	ds_read_u16 v47, v156
	ds_read_u16 v76, v156 offset:32
	s_waitcnt lgkmcnt(1)
	v_perm_b32 v68, v12, v47, s91
	s_nop 1
	v_mfma_f32_16x16x16_f16 a[0:3], v[68:69], v[130:131], a[0:3]
	ds_read_u16 v59, v156 offset:16896
	ds_read_u16 v60, v156 offset:17424
	;; [unrolled: 1-line block ×4, first 2 shown]
	s_nop 3
	v_accvgpr_read_b32 v47, a1
	v_cvt_f16_f32_e32 v47, v47
	v_accvgpr_read_b32 v12, a0
	v_accvgpr_read_b32 v56, a2
	;; [unrolled: 1-line block ×3, first 2 shown]
	v_cvt_f16_f32_e32 v12, v12
	v_cvt_f16_f32_e32 v56, v56
	;; [unrolled: 1-line block ×3, first 2 shown]
	v_cvt_f32_f16_e32 v47, v47
	v_cvt_f32_f16_e32 v12, v12
	;; [unrolled: 1-line block ×4, first 2 shown]
	s_waitcnt lgkmcnt(0)
	v_perm_b32 v57, v69, v68, s91
	v_perm_b32 v56, v60, v59, s91
	v_accvgpr_write_b32 a1, v47
	ds_read_u16 v47, v156 offset:560
	ds_read_u16 v53, v156 offset:1088
	v_accvgpr_write_b32 a0, v12
	v_accvgpr_write_b32 a2, v74
	v_accvgpr_write_b32 a3, v77
	v_cvt_f32_f16_e32 v59, v234
	v_cvt_f32_f16_sdwa v60, v234 dst_sel:DWORD dst_unused:UNUSED_PAD src0_sel:WORD_1
	v_mfma_f32_16x16x16_f16 a[0:3], v[56:57], v[132:133], a[0:3]
	v_cvt_f32_f16_sdwa v57, v236 dst_sel:DWORD dst_unused:UNUSED_PAD src0_sel:WORD_1
	s_waitcnt lgkmcnt(0)
	v_perm_b32 v69, v75, v53, s91
	v_perm_b32 v68, v47, v76, s91
	v_cvt_f32_f16_e32 v74, v205
	v_cvt_f32_f16_sdwa v75, v205 dst_sel:DWORD dst_unused:UNUSED_PAD src0_sel:WORD_1
	s_nop 1
	v_accvgpr_read_b32 v12, a0
	v_accvgpr_read_b32 v56, a1
	;; [unrolled: 1-line block ×4, first 2 shown]
	v_accvgpr_write_b32 a0, v55
	v_accvgpr_write_b32 a1, v57
	;; [unrolled: 1-line block ×4, first 2 shown]
	v_cvt_pk_f16_f32 v237, v237, v239
	s_nop 0
	v_mfma_f32_16x16x16_f16 a[0:3], v[68:69], v[130:131], a[0:3]
	ds_read_u16 v59, v156 offset:16928
	ds_read_u16 v60, v156 offset:17456
	;; [unrolled: 1-line block ×4, first 2 shown]
	s_waitcnt lgkmcnt(0)
	v_perm_b32 v69, v69, v68, s91
	s_nop 1
	v_accvgpr_read_b32 v47, a0
	v_accvgpr_read_b32 v53, a1
	;; [unrolled: 1-line block ×4, first 2 shown]
	v_cvt_f16_f32_e32 v47, v47
	v_cvt_f16_f32_e32 v53, v53
	v_cvt_f16_f32_e32 v55, v55
	v_cvt_f16_f32_e32 v57, v57
	v_cvt_f32_f16_e32 v47, v47
	v_cvt_f32_f16_e32 v53, v53
	;; [unrolled: 1-line block ×4, first 2 shown]
	v_perm_b32 v68, v60, v59, s91
	v_accvgpr_write_b32 a0, v47
	v_accvgpr_write_b32 a1, v53
	;; [unrolled: 1-line block ×4, first 2 shown]
	ds_read_u16 v47, v156 offset:64
	ds_read_u16 v53, v156 offset:592
	;; [unrolled: 1-line block ×4, first 2 shown]
	v_mfma_f32_16x16x16_f16 a[0:3], v[68:69], v[132:133], a[0:3]
	v_cvt_f32_f16_e32 v59, v206
	v_cvt_f32_f16_sdwa v60, v206 dst_sel:DWORD dst_unused:UNUSED_PAD src0_sel:WORD_1
	s_waitcnt lgkmcnt(2)
	v_perm_b32 v68, v53, v47, s91
	s_waitcnt lgkmcnt(0)
	v_perm_b32 v69, v57, v55, s91
	s_nop 1
	v_accvgpr_read_b32 v235, a0
	v_accvgpr_read_b32 v236, a1
	;; [unrolled: 1-line block ×4, first 2 shown]
	v_accvgpr_write_b32 a0, v59
	v_accvgpr_write_b32 a1, v60
	;; [unrolled: 1-line block ×4, first 2 shown]
	v_cvt_pk_f16_f32 v236, v235, v236
	v_cvt_pk_f16_f32 v235, v238, v243
	v_mfma_f32_16x16x16_f16 a[0:3], v[68:69], v[130:131], a[0:3]
	ds_read_u16 v59, v156 offset:16960
	ds_read_u16 v60, v156 offset:17488
	;; [unrolled: 1-line block ×4, first 2 shown]
	v_cvt_pk_f16_f32 v238, v12, v56
	s_waitcnt lgkmcnt(0)
	v_perm_b32 v69, v69, v68, s91
	s_nop 0
	v_accvgpr_read_b32 v47, a0
	v_accvgpr_read_b32 v53, a1
	;; [unrolled: 1-line block ×4, first 2 shown]
	v_cvt_f16_f32_e32 v47, v47
	v_cvt_f16_f32_e32 v53, v53
	;; [unrolled: 1-line block ×4, first 2 shown]
	v_cvt_f32_f16_e32 v47, v47
	v_cvt_f32_f16_e32 v53, v53
	;; [unrolled: 1-line block ×4, first 2 shown]
	v_perm_b32 v68, v60, v59, s91
	v_accvgpr_write_b32 a0, v47
	v_accvgpr_write_b32 a1, v53
	;; [unrolled: 1-line block ×4, first 2 shown]
	ds_read_u16 v47, v156 offset:96
	ds_read_u16 v53, v156 offset:624
	;; [unrolled: 1-line block ×4, first 2 shown]
	v_mfma_f32_16x16x16_f16 a[0:3], v[68:69], v[132:133], a[0:3]
	v_cvt_f32_f16_e32 v59, v51
	v_cvt_f32_f16_sdwa v51, v51 dst_sel:DWORD dst_unused:UNUSED_PAD src0_sel:WORD_1
	v_cvt_f32_f16_e32 v60, v9
	v_cvt_f32_f16_sdwa v9, v9 dst_sel:DWORD dst_unused:UNUSED_PAD src0_sel:WORD_1
	s_waitcnt lgkmcnt(0)
	v_perm_b32 v69, v57, v55, s91
	v_perm_b32 v68, v53, v47, s91
	s_nop 0
	v_accvgpr_read_b32 v205, a0
	v_accvgpr_read_b32 v206, a1
	v_accvgpr_read_b32 v244, a2
	v_accvgpr_read_b32 v245, a3
	v_accvgpr_write_b32 a0, v59
	v_accvgpr_write_b32 a1, v51
	v_accvgpr_write_b32 a2, v60
	v_accvgpr_write_b32 a3, v9
	ds_read_u16 v55, v156 offset:16992
	ds_read_u16 v57, v156 offset:17520
	ds_read_u16 v59, v156 offset:18048
	ds_read_u16 v60, v157 offset:16992
	v_mfma_f32_16x16x16_f16 a[0:3], v[68:69], v[130:131], a[0:3]
	v_cvt_pk_f16_f32 v206, v205, v206
	s_waitcnt lgkmcnt(2)
	v_perm_b32 v68, v57, v55, s91
	v_cvt_f32_f16_e32 v55, v189
	s_waitcnt lgkmcnt(0)
	v_perm_b32 v69, v60, v59, s91
	v_cvt_f32_f16_sdwa v57, v189 dst_sel:DWORD dst_unused:UNUSED_PAD src0_sel:WORD_1
	v_cvt_f32_f16_e32 v59, v188
	v_cvt_f32_f16_sdwa v60, v188 dst_sel:DWORD dst_unused:UNUSED_PAD src0_sel:WORD_1
	v_cvt_pk_f16_f32 v205, v244, v245
	v_accvgpr_read_b32 v9, a0
	v_accvgpr_read_b32 v47, a1
	v_accvgpr_read_b32 v51, a2
	v_accvgpr_read_b32 v53, a3
	v_cvt_f16_f32_e32 v9, v9
	v_cvt_f16_f32_e32 v47, v47
	v_cvt_f16_f32_e32 v51, v51
	v_cvt_f16_f32_e32 v53, v53
	v_cvt_f32_f16_e32 v9, v9
	v_cvt_f32_f16_e32 v47, v47
	v_cvt_f32_f16_e32 v51, v51
	v_cvt_f32_f16_e32 v53, v53
	v_accvgpr_write_b32 a0, v9
	v_accvgpr_write_b32 a1, v47
	v_accvgpr_write_b32 a2, v51
	v_accvgpr_write_b32 a3, v53
	ds_read_u16 v9, v156 offset:128
	ds_read_u16 v47, v156 offset:656
	ds_read_u16 v51, v156 offset:1184
	ds_read_u16 v53, v157 offset:128
	v_mfma_f32_16x16x16_f16 a[0:3], v[68:69], v[132:133], a[0:3]
	s_waitcnt lgkmcnt(2)
	v_perm_b32 v68, v47, v9, s91
	s_waitcnt lgkmcnt(0)
	v_perm_b32 v69, v53, v51, s91
	s_nop 3
	v_accvgpr_read_b32 v203, a0
	v_accvgpr_read_b32 v204, a1
	v_accvgpr_read_b32 v246, a2
	v_accvgpr_read_b32 v247, a3
	v_accvgpr_write_b32 a0, v55
	v_accvgpr_write_b32 a1, v57
	v_accvgpr_write_b32 a2, v59
	v_accvgpr_write_b32 a3, v60
	ds_read_u16 v55, v156 offset:17024
	ds_read_u16 v57, v156 offset:17552
	ds_read_u16 v59, v156 offset:18080
	ds_read_u16 v60, v157 offset:17024
	v_mfma_f32_16x16x16_f16 a[0:3], v[68:69], v[130:131], a[0:3]
	v_cvt_pk_f16_f32 v204, v203, v204
	s_waitcnt lgkmcnt(2)
	v_perm_b32 v68, v57, v55, s91
	v_cvt_f32_f16_e32 v55, v186
	s_waitcnt lgkmcnt(0)
	v_perm_b32 v69, v60, v59, s91
	v_cvt_f32_f16_sdwa v57, v186 dst_sel:DWORD dst_unused:UNUSED_PAD src0_sel:WORD_1
	v_cvt_f32_f16_e32 v59, v185
	v_cvt_f32_f16_sdwa v60, v185 dst_sel:DWORD dst_unused:UNUSED_PAD src0_sel:WORD_1
	v_cvt_pk_f16_f32 v203, v246, v247
	v_accvgpr_read_b32 v9, a0
	v_accvgpr_read_b32 v47, a1
	v_accvgpr_read_b32 v51, a2
	v_accvgpr_read_b32 v53, a3
	v_cvt_f16_f32_e32 v9, v9
	v_cvt_f16_f32_e32 v47, v47
	v_cvt_f16_f32_e32 v51, v51
	v_cvt_f16_f32_e32 v53, v53
	v_cvt_f32_f16_e32 v9, v9
	v_cvt_f32_f16_e32 v47, v47
	v_cvt_f32_f16_e32 v51, v51
	v_cvt_f32_f16_e32 v53, v53
	v_accvgpr_write_b32 a0, v9
	v_accvgpr_write_b32 a1, v47
	v_accvgpr_write_b32 a2, v51
	v_accvgpr_write_b32 a3, v53
	ds_read_u16 v9, v156 offset:160
	ds_read_u16 v47, v156 offset:688
	ds_read_u16 v51, v156 offset:1216
	ds_read_u16 v53, v157 offset:160
	v_mfma_f32_16x16x16_f16 a[0:3], v[68:69], v[132:133], a[0:3]
	s_waitcnt lgkmcnt(2)
	v_perm_b32 v68, v47, v9, s91
	s_waitcnt lgkmcnt(0)
	;; [unrolled: 49-line block ×5, first 2 shown]
	v_perm_b32 v69, v53, v51, s91
	s_nop 3
	v_accvgpr_read_b32 v184, a0
	v_accvgpr_read_b32 v187, a1
	;; [unrolled: 1-line block ×4, first 2 shown]
	v_accvgpr_write_b32 a0, v55
	v_accvgpr_write_b32 a1, v57
	;; [unrolled: 1-line block ×4, first 2 shown]
	ds_read_u16 v55, v156 offset:17152
	ds_read_u16 v57, v156 offset:17680
	;; [unrolled: 1-line block ×4, first 2 shown]
	v_mfma_f32_16x16x16_f16 a[0:3], v[68:69], v[130:131], a[0:3]
	v_cvt_pk_f16_f32 v187, v184, v187
	s_waitcnt lgkmcnt(2)
	v_perm_b32 v68, v57, v55, s91
	v_cvt_f32_f16_e32 v57, v174
	s_waitcnt lgkmcnt(0)
	v_perm_b32 v69, v60, v59, s91
	v_cvt_f32_f16_sdwa v59, v174 dst_sel:DWORD dst_unused:UNUSED_PAD src0_sel:WORD_1
	v_cvt_f32_f16_e32 v60, v54
	v_cvt_pk_f16_f32 v184, v254, v255
	v_accvgpr_read_b32 v9, a0
	v_accvgpr_read_b32 v47, a1
	;; [unrolled: 1-line block ×4, first 2 shown]
	v_cvt_f16_f32_e32 v9, v9
	v_cvt_f16_f32_e32 v47, v47
	;; [unrolled: 1-line block ×4, first 2 shown]
	v_cvt_f32_f16_e32 v9, v9
	v_cvt_f32_f16_e32 v47, v47
	;; [unrolled: 1-line block ×4, first 2 shown]
	v_accvgpr_write_b32 a0, v9
	v_accvgpr_write_b32 a1, v47
	;; [unrolled: 1-line block ×4, first 2 shown]
	ds_read_u16 v9, v156 offset:288
	ds_read_u16 v47, v156 offset:816
	;; [unrolled: 1-line block ×4, first 2 shown]
	v_mfma_f32_16x16x16_f16 a[0:3], v[68:69], v[132:133], a[0:3]
	v_cvt_f32_f16_sdwa v68, v54 dst_sel:DWORD dst_unused:UNUSED_PAD src0_sel:WORD_1
	s_waitcnt lgkmcnt(2)
	v_perm_b32 v54, v47, v9, s91
	s_waitcnt lgkmcnt(0)
	v_perm_b32 v55, v53, v51, s91
	s_nop 2
	v_accvgpr_read_b32 v178, a0
	v_accvgpr_read_b32 v181, a1
	;; [unrolled: 1-line block ×4, first 2 shown]
	v_accvgpr_write_b32 a0, v57
	v_accvgpr_write_b32 a1, v59
	;; [unrolled: 1-line block ×4, first 2 shown]
	v_cvt_f32_f16_sdwa v60, v147 dst_sel:DWORD dst_unused:UNUSED_PAD src0_sel:WORD_1
	v_cvt_pk_f16_f32 v181, v178, v181
	v_mfma_f32_16x16x16_f16 a[0:3], v[54:55], v[130:131], a[0:3]
	ds_read_u16 v54, v156 offset:17184
	ds_read_u16 v57, v156 offset:17712
	ds_read_u16 v55, v156 offset:18240
	ds_read_u16 v59, v157 offset:17184
	v_cvt_pk_f16_f32 v178, v196, v234
	s_waitcnt lgkmcnt(2)
	v_perm_b32 v54, v57, v54, s91
	v_cvt_f32_f16_sdwa v57, v52 dst_sel:DWORD dst_unused:UNUSED_PAD src0_sel:WORD_1
	v_accvgpr_read_b32 v9, a0
	v_accvgpr_read_b32 v47, a1
	;; [unrolled: 1-line block ×4, first 2 shown]
	v_cvt_f16_f32_e32 v9, v9
	v_cvt_f16_f32_e32 v47, v47
	;; [unrolled: 1-line block ×4, first 2 shown]
	v_cvt_f32_f16_e32 v9, v9
	v_cvt_f32_f16_e32 v47, v47
	v_cvt_f32_f16_e32 v51, v51
	v_cvt_f32_f16_e32 v53, v53
	s_waitcnt lgkmcnt(0)
	v_perm_b32 v55, v59, v55, s91
	v_accvgpr_write_b32 a0, v9
	v_accvgpr_write_b32 a1, v47
	;; [unrolled: 1-line block ×4, first 2 shown]
	ds_read_u16 v9, v156 offset:320
	ds_read_u16 v47, v156 offset:848
	;; [unrolled: 1-line block ×4, first 2 shown]
	v_mfma_f32_16x16x16_f16 a[0:3], v[54:55], v[132:133], a[0:3]
	v_cvt_f32_f16_e32 v55, v52
	v_cvt_f32_f16_e32 v59, v1
	v_cvt_f32_f16_sdwa v1, v1 dst_sel:DWORD dst_unused:UNUSED_PAD src0_sel:WORD_1
	s_waitcnt lgkmcnt(0)
	v_perm_b32 v53, v53, v51, s91
	v_perm_b32 v52, v47, v9, s91
	s_nop 1
	v_accvgpr_read_b32 v151, a0
	v_accvgpr_read_b32 v175, a1
	;; [unrolled: 1-line block ×4, first 2 shown]
	v_accvgpr_write_b32 a0, v55
	v_accvgpr_write_b32 a1, v57
	v_accvgpr_write_b32 a2, v59
	v_accvgpr_write_b32 a3, v1
	v_cvt_f32_f16_e32 v59, v147
	v_cvt_pk_f16_f32 v175, v151, v175
	v_mfma_f32_16x16x16_f16 a[0:3], v[52:53], v[130:131], a[0:3]
	ds_read_u16 v52, v156 offset:17216
	ds_read_u16 v55, v156 offset:17744
	;; [unrolled: 1-line block ×4, first 2 shown]
	v_cvt_pk_f16_f32 v151, v54, v189
	s_waitcnt lgkmcnt(2)
	v_perm_b32 v52, v55, v52, s91
	v_cvt_f32_f16_e32 v55, v148
	v_accvgpr_read_b32 v1, a0
	v_accvgpr_read_b32 v9, a1
	v_accvgpr_read_b32 v47, a2
	v_accvgpr_read_b32 v51, a3
	v_cvt_f16_f32_e32 v1, v1
	v_cvt_f16_f32_e32 v9, v9
	v_cvt_f16_f32_e32 v47, v47
	v_cvt_f16_f32_e32 v51, v51
	v_cvt_f32_f16_e32 v1, v1
	v_cvt_f32_f16_e32 v9, v9
	v_cvt_f32_f16_e32 v47, v47
	v_cvt_f32_f16_e32 v51, v51
	s_waitcnt lgkmcnt(0)
	v_perm_b32 v53, v57, v53, s91
	v_accvgpr_write_b32 a0, v1
	v_accvgpr_write_b32 a1, v9
	v_accvgpr_write_b32 a2, v47
	v_accvgpr_write_b32 a3, v51
	ds_read_u16 v1, v156 offset:352
	ds_read_u16 v9, v156 offset:880
	ds_read_u16 v47, v156 offset:1408
	ds_read_u16 v51, v157 offset:352
	v_mfma_f32_16x16x16_f16 a[0:3], v[52:53], v[132:133], a[0:3]
	v_cvt_f32_f16_sdwa v57, v148 dst_sel:DWORD dst_unused:UNUSED_PAD src0_sel:WORD_1
	s_waitcnt lgkmcnt(2)
	v_perm_b32 v52, v9, v1, s91
	s_waitcnt lgkmcnt(0)
	v_perm_b32 v53, v51, v47, s91
	s_nop 2
	v_accvgpr_read_b32 v149, a0
	v_accvgpr_read_b32 v150, a1
	v_accvgpr_read_b32 v188, a2
	v_accvgpr_read_b32 v186, a3
	v_accvgpr_write_b32 a0, v55
	v_accvgpr_write_b32 a1, v57
	v_accvgpr_write_b32 a2, v59
	v_accvgpr_write_b32 a3, v60
	v_cvt_f32_f16_e32 v59, v61
	v_cvt_f32_f16_sdwa v60, v61 dst_sel:DWORD dst_unused:UNUSED_PAD src0_sel:WORD_1
	v_mfma_f32_16x16x16_f16 a[0:3], v[52:53], v[130:131], a[0:3]
	ds_read_u16 v52, v156 offset:17248
	ds_read_u16 v55, v156 offset:17776
	ds_read_u16 v53, v156 offset:18304
	ds_read_u16 v57, v157 offset:17248
	v_cvt_pk_f16_f32 v150, v149, v150
	v_cvt_pk_f16_f32 v149, v188, v186
	s_waitcnt lgkmcnt(2)
	v_perm_b32 v52, v55, v52, s91
	v_cvt_f32_f16_e32 v55, v146
	v_accvgpr_read_b32 v1, a0
	v_accvgpr_read_b32 v9, a1
	v_accvgpr_read_b32 v47, a2
	v_accvgpr_read_b32 v51, a3
	v_cvt_f16_f32_e32 v1, v1
	v_cvt_f16_f32_e32 v9, v9
	v_cvt_f16_f32_e32 v47, v47
	v_cvt_f16_f32_e32 v51, v51
	v_cvt_f32_f16_e32 v1, v1
	v_cvt_f32_f16_e32 v9, v9
	v_cvt_f32_f16_e32 v47, v47
	v_cvt_f32_f16_e32 v51, v51
	s_waitcnt lgkmcnt(0)
	v_perm_b32 v53, v57, v53, s91
	v_accvgpr_write_b32 a0, v1
	v_accvgpr_write_b32 a1, v9
	v_accvgpr_write_b32 a2, v47
	v_accvgpr_write_b32 a3, v51
	ds_read_u16 v1, v156 offset:384
	ds_read_u16 v9, v156 offset:912
	ds_read_u16 v47, v156 offset:1440
	ds_read_u16 v51, v157 offset:384
	v_mfma_f32_16x16x16_f16 a[0:3], v[52:53], v[132:133], a[0:3]
	v_cvt_f32_f16_sdwa v57, v146 dst_sel:DWORD dst_unused:UNUSED_PAD src0_sel:WORD_1
	s_waitcnt lgkmcnt(2)
	v_perm_b32 v52, v9, v1, s91
	s_waitcnt lgkmcnt(0)
	v_perm_b32 v53, v51, v47, s91
	s_nop 2
	v_accvgpr_read_b32 v147, a0
	v_accvgpr_read_b32 v148, a1
	v_accvgpr_read_b32 v185, a2
	v_accvgpr_read_b32 v183, a3
	v_accvgpr_write_b32 a0, v55
	v_accvgpr_write_b32 a1, v57
	v_accvgpr_write_b32 a2, v59
	v_accvgpr_write_b32 a3, v60
	v_cvt_f32_f16_e32 v59, v172
	v_cvt_f32_f16_sdwa v60, v172 dst_sel:DWORD dst_unused:UNUSED_PAD src0_sel:WORD_1
	v_mfma_f32_16x16x16_f16 a[0:3], v[52:53], v[130:131], a[0:3]
	ds_read_u16 v52, v156 offset:17280
	ds_read_u16 v55, v156 offset:17808
	ds_read_u16 v53, v156 offset:18336
	ds_read_u16 v57, v157 offset:17280
	v_cvt_pk_f16_f32 v148, v147, v148
	;; [unrolled: 49-line block ×3, first 2 shown]
	s_waitcnt lgkmcnt(2)
	v_perm_b32 v52, v55, v52, s91
	v_cvt_f32_f16_e32 v55, v64
	v_accvgpr_read_b32 v1, a0
	v_accvgpr_read_b32 v9, a1
	;; [unrolled: 1-line block ×4, first 2 shown]
	v_cvt_f16_f32_e32 v1, v1
	v_cvt_f16_f32_e32 v9, v9
	v_cvt_f16_f32_e32 v47, v47
	v_cvt_f16_f32_e32 v51, v51
	v_cvt_f32_f16_e32 v1, v1
	v_cvt_f32_f16_e32 v9, v9
	;; [unrolled: 1-line block ×4, first 2 shown]
	s_waitcnt lgkmcnt(0)
	v_perm_b32 v53, v57, v53, s91
	v_accvgpr_write_b32 a0, v1
	v_accvgpr_write_b32 a1, v9
	;; [unrolled: 1-line block ×4, first 2 shown]
	ds_read_u16 v1, v156 offset:448
	ds_read_u16 v9, v156 offset:976
	;; [unrolled: 1-line block ×4, first 2 shown]
	v_mfma_f32_16x16x16_f16 a[0:3], v[52:53], v[132:133], a[0:3]
	v_cvt_f32_f16_sdwa v57, v64 dst_sel:DWORD dst_unused:UNUSED_PAD src0_sel:WORD_1
	s_waitcnt lgkmcnt(2)
	v_perm_b32 v52, v9, v1, s91
	s_waitcnt lgkmcnt(0)
	v_perm_b32 v53, v51, v47, s91
	s_nop 2
	v_accvgpr_read_b32 v177, a0
	v_accvgpr_read_b32 v172, a1
	v_accvgpr_read_b32 v195, a2
	v_accvgpr_read_b32 v176, a3
	v_accvgpr_write_b32 a0, v55
	v_accvgpr_write_b32 a1, v57
	;; [unrolled: 1-line block ×4, first 2 shown]
	v_cvt_f32_f16_e32 v59, v58
	v_cvt_f32_f16_sdwa v58, v58 dst_sel:DWORD dst_unused:UNUSED_PAD src0_sel:WORD_1
	v_mfma_f32_16x16x16_f16 a[0:3], v[52:53], v[130:131], a[0:3]
	ds_read_u16 v52, v156 offset:17344
	ds_read_u16 v55, v156 offset:17872
	;; [unrolled: 1-line block ×4, first 2 shown]
	s_waitcnt lgkmcnt(2)
	v_perm_b32 v52, v55, v52, s91
	v_cvt_f32_f16_e32 v55, v171
	s_nop 0
	v_accvgpr_read_b32 v1, a0
	v_accvgpr_read_b32 v9, a1
	;; [unrolled: 1-line block ×4, first 2 shown]
	v_cvt_f16_f32_e32 v1, v1
	v_cvt_f16_f32_e32 v9, v9
	;; [unrolled: 1-line block ×4, first 2 shown]
	v_cvt_f32_f16_e32 v1, v1
	v_cvt_f32_f16_e32 v9, v9
	;; [unrolled: 1-line block ×4, first 2 shown]
	s_waitcnt lgkmcnt(0)
	v_perm_b32 v53, v57, v53, s91
	v_accvgpr_write_b32 a0, v1
	v_accvgpr_write_b32 a1, v9
	;; [unrolled: 1-line block ×4, first 2 shown]
	ds_read_u16 v1, v156 offset:480
	ds_read_u16 v9, v156 offset:1008
	;; [unrolled: 1-line block ×4, first 2 shown]
	v_mfma_f32_16x16x16_f16 a[0:3], v[52:53], v[132:133], a[0:3]
	v_cvt_f32_f16_sdwa v57, v171 dst_sel:DWORD dst_unused:UNUSED_PAD src0_sel:WORD_1
	s_waitcnt lgkmcnt(2)
	v_perm_b32 v52, v9, v1, s91
	s_waitcnt lgkmcnt(0)
	v_perm_b32 v53, v51, v47, s91
	s_nop 2
	v_accvgpr_read_b32 v62, a0
	v_accvgpr_read_b32 v64, a1
	;; [unrolled: 1-line block ×4, first 2 shown]
	v_accvgpr_write_b32 a0, v55
	v_accvgpr_write_b32 a1, v57
	;; [unrolled: 1-line block ×4, first 2 shown]
	v_cvt_pk_f16_f32 v64, v62, v64
	v_cvt_pk_f16_f32 v62, v174, v173
	v_mfma_f32_16x16x16_f16 a[0:3], v[52:53], v[130:131], a[0:3]
	ds_read_u16 v52, v156 offset:17376
	ds_read_u16 v55, v156 offset:17904
	;; [unrolled: 1-line block ×4, first 2 shown]
	s_waitcnt lgkmcnt(0)
	s_barrier
	v_perm_b32 v52, v55, v52, s91
	s_nop 0
	v_accvgpr_read_b32 v1, a0
	v_accvgpr_read_b32 v9, a1
	;; [unrolled: 1-line block ×4, first 2 shown]
	v_cvt_f16_f32_e32 v1, v1
	v_cvt_f16_f32_e32 v9, v9
	;; [unrolled: 1-line block ×4, first 2 shown]
	v_cvt_f32_f16_e32 v1, v1
	v_cvt_f32_f16_e32 v9, v9
	;; [unrolled: 1-line block ×4, first 2 shown]
	v_perm_b32 v53, v57, v53, s91
	v_accvgpr_write_b32 a0, v1
	v_accvgpr_write_b32 a1, v9
	;; [unrolled: 1-line block ×4, first 2 shown]
	s_nop 1
	v_mfma_f32_16x16x16_f16 a[0:3], v[52:53], v[132:133], a[0:3]
	v_cvt_pk_f16_f32 v132, v177, v172
	v_cvt_pk_f16_f32 v133, v180, v179
	s_nop 5
	v_accvgpr_read_b32 v58, a0
	v_accvgpr_read_b32 v60, a1
	;; [unrolled: 1-line block ×4, first 2 shown]
	v_cvt_pk_f16_f32 v58, v58, v60
	v_cvt_pk_f16_f32 v60, v130, v131
	;; [unrolled: 1-line block ×3, first 2 shown]
	s_cbranch_vccnz .LBB29_51
	s_branch .LBB29_54
.LBB29_52:                              ;   in Loop: Header=BB29_12 Depth=1
	s_cbranch_execz .LBB29_11
	s_branch .LBB29_145
.LBB29_53:                              ;   in Loop: Header=BB29_12 Depth=1
	v_mov_b32_e32 v141, 0xfeffffff
	v_mov_b32_e32 v142, 0
	;; [unrolled: 1-line block ×35, first 2 shown]
.LBB29_54:                              ;   in Loop: Header=BB29_12 Depth=1
	s_lshl_b32 s8, s70, 6
	s_ashr_i32 s9, s8, 31
	s_lshl_b64 s[12:13], s[8:9], 1
	v_lshl_add_u64 v[4:5], v[116:117], 0, s[12:13]
	v_lshl_add_u64 v[2:3], v[2:3], 1, v[4:5]
	v_lshlrev_b32_e32 v12, 1, v46
	s_mul_hi_i32 s13, s14, s8
	s_mul_i32 s12, s14, s8
	v_lshl_add_u64 v[2:3], v[2:3], 0, v[12:13]
	s_lshl_b64 s[12:13], s[12:13], 2
	global_load_dword v1, v[2:3], off
	v_lshl_add_u64 v[2:3], v[114:115], 0, s[12:13]
	v_lshl_add_u64 v[4:5], v[14:15], 2, v[2:3]
	v_lshlrev_b32_e32 v12, 2, v10
	v_lshl_add_u64 v[4:5], v[4:5], 0, v[12:13]
	v_lshl_add_u64 v[52:53], v[16:17], 2, v[2:3]
	;; [unrolled: 1-line block ×9, first 2 shown]
	global_load_dwordx4 v[2:5], v[4:5], off
	v_lshl_add_u64 v[52:53], v[52:53], 0, v[12:13]
	v_lshl_add_u64 v[54:55], v[54:55], 0, v[12:13]
	;; [unrolled: 1-line block ×6, first 2 shown]
	v_cmp_lt_i32_e32 vcc, v140, v137
	s_mul_hi_i32 s9, s34, s8
	s_mul_i32 s8, s34, s8
	s_lshl_b64 s[8:9], s[8:9], 2
	s_waitcnt vmcnt(1)
	ds_write_b32 v161, v1 offset:33792
	v_add_u32_e32 v1, 0x4000, v154
	s_waitcnt vmcnt(0)
	ds_write_b128 v152, v[2:5]
	global_load_dwordx4 v[2:5], v[52:53], off
	s_waitcnt vmcnt(0)
	ds_write_b128 v208, v[2:5]
	global_load_dwordx4 v[2:5], v[54:55], off
	;; [unrolled: 3-line block ×7, first 2 shown]
	s_waitcnt vmcnt(0)
	ds_write_b128 v214, v[2:5]
	s_waitcnt lgkmcnt(0)
	s_barrier
	ds_read2_b64 v[2:5], v154 offset1:4
	s_waitcnt lgkmcnt(0)
	v_mfma_f32_16x16x16_f16 a[0:3], v[2:3], a[32:33], 0
	v_mfma_f32_16x16x16_f16 a[0:3], v[4:5], a[34:35], a[0:3]
	ds_read2_b64 v[2:5], v154 offset0:8 offset1:12
	s_waitcnt lgkmcnt(0)
	v_mfma_f32_16x16x16_f16 a[0:3], v[2:3], a[28:29], a[0:3]
	v_mfma_f32_16x16x16_f16 a[0:3], v[4:5], a[30:31], a[0:3]
	ds_read2_b64 v[2:5], v154 offset0:16 offset1:20
	;; [unrolled: 4-line block ×15, first 2 shown]
	v_add_u32_e32 v1, 0x8400, v155
	s_waitcnt lgkmcnt(0)
	v_mfma_f32_16x16x16_f16 a[8:11], v[2:3], a[4:5], a[8:11]
	s_barrier
	ds_read2_b32 v[2:3], v1 offset1:1
	v_mfma_f32_16x16x16_f16 a[4:7], v[4:5], a[6:7], a[8:11]
	v_accvgpr_read_b32 v4, a0
	s_waitcnt lgkmcnt(0)
	v_cvt_f32_f16_e32 v1, v2
	v_cvt_f32_f16_sdwa v2, v2 dst_sel:DWORD dst_unused:UNUSED_PAD src0_sel:WORD_1
	v_add_f32_e32 v47, v4, v1
	v_accvgpr_read_b32 v1, a1
	v_add_f32_e32 v51, v1, v2
	v_cvt_f32_f16_e32 v1, v3
	v_cvt_f32_f16_sdwa v2, v3 dst_sel:DWORD dst_unused:UNUSED_PAD src0_sel:WORD_1
	v_accvgpr_read_b32 v3, a2
	v_accvgpr_read_b32 v52, a6
	v_add_f32_e32 v9, v3, v1
	v_accvgpr_read_b32 v1, a3
	v_add_f32_e32 v5, v1, v2
	ds_read_b32 v1, v162 offset:33792
	v_accvgpr_read_b32 v3, a4
	v_add_f32_e32 v53, 0x40051340, v51
	v_add_f32_e32 v54, 0x40051340, v5
	s_waitcnt lgkmcnt(0)
	v_cvt_f32_f16_e32 v2, v1
	v_cvt_f32_f16_sdwa v1, v1 dst_sel:DWORD dst_unused:UNUSED_PAD src0_sel:WORD_1
	v_add_f32_e32 v4, v3, v2
	v_accvgpr_read_b32 v2, a5
	v_add_f32_e32 v3, v2, v1
	ds_read_b32 v1, v163 offset:33792
	s_waitcnt lgkmcnt(0)
	v_cvt_f32_f16_e32 v2, v1
	v_cvt_f32_f16_sdwa v1, v1 dst_sel:DWORD dst_unused:UNUSED_PAD src0_sel:WORD_1
	v_add_f32_e32 v2, v52, v2
	v_accvgpr_read_b32 v52, a7
	v_add_f32_e32 v1, v52, v1
	v_add_f32_e32 v52, 0x40051340, v47
	v_max3_f32 v52, v141, v52, v53
	v_add_f32_e32 v53, 0x40051340, v9
	v_max3_f32 v52, v52, v53, v54
	v_add_f32_e32 v53, 0x40051340, v4
	v_add_f32_e32 v54, 0x40051340, v3
	v_max3_f32 v52, v52, v53, v54
	v_add_f32_e32 v53, 0x40051340, v2
	v_add_f32_e32 v54, 0x40051340, v1
	v_max3_f32 v52, v52, v53, v54
	v_cndmask_b32_e32 v53, v139, v140, vcc
	v_lshlrev_b32_e32 v140, 2, v53
	ds_bpermute_b32 v53, v140, v52
	v_cmp_lt_i32_e32 vcc, v138, v137
	s_waitcnt lgkmcnt(0)
	v_max_f32_e32 v53, v53, v53
	v_max_f32_e32 v52, v52, v53
	v_cndmask_b32_e32 v53, v139, v138, vcc
	v_lshlrev_b32_e32 v56, 2, v53
	ds_bpermute_b32 v53, v56, v52
	s_waitcnt lgkmcnt(0)
	v_max_f32_e32 v53, v53, v53
	v_max_f32_e32 v130, v52, v53
	v_sub_f32_e32 v47, v47, v130
	v_mul_f32_e32 v52, 0x3fb8aa3b, v47
	v_fma_f32 v53, v47, s39, -v52
	v_rndne_f32_e32 v54, v52
	v_fmac_f32_e32 v53, 0x32a5705f, v47
	v_sub_f32_e32 v52, v52, v54
	v_add_f32_e32 v52, v52, v53
	v_exp_f32_e32 v52, v52
	v_cvt_i32_f32_e32 v53, v54
	v_cmp_ngt_f32_e32 vcc, s63, v47
	v_sub_f32_e32 v9, v9, v130
	v_sub_f32_e32 v5, v5, v130
	v_ldexp_f32 v52, v52, v53
	v_cndmask_b32_e32 v52, 0, v52, vcc
	v_cmp_nlt_f32_e32 vcc, s89, v47
	v_sub_f32_e32 v47, v51, v130
	v_mul_f32_e32 v51, 0x3fb8aa3b, v47
	v_cndmask_b32_e32 v61, v242, v52, vcc
	v_fma_f32 v52, v47, s39, -v51
	v_rndne_f32_e32 v53, v51
	v_fmac_f32_e32 v52, 0x32a5705f, v47
	v_sub_f32_e32 v51, v51, v53
	v_add_f32_e32 v51, v51, v52
	v_exp_f32_e32 v51, v51
	v_cvt_i32_f32_e32 v52, v53
	v_cmp_ngt_f32_e32 vcc, s63, v47
	v_sub_f32_e32 v4, v4, v130
	v_sub_f32_e32 v3, v3, v130
	v_ldexp_f32 v51, v51, v52
	v_cndmask_b32_e32 v51, 0, v51, vcc
	v_cmp_nlt_f32_e32 vcc, s89, v47
	v_sub_f32_e32 v2, v2, v130
	v_sub_f32_e32 v1, v1, v130
	v_cndmask_b32_e32 v138, v242, v51, vcc
	v_mul_f32_e32 v51, 0x3fb8aa3b, v9
	v_fma_f32 v52, v9, s39, -v51
	v_rndne_f32_e32 v53, v51
	v_fmac_f32_e32 v52, 0x32a5705f, v9
	v_sub_f32_e32 v51, v51, v53
	v_add_f32_e32 v51, v51, v52
	v_exp_f32_e32 v51, v51
	v_cvt_i32_f32_e32 v52, v53
	v_cmp_ngt_f32_e32 vcc, s63, v9
	v_add_f32_e32 v47, v61, v138
	v_ldexp_f32 v51, v51, v52
	v_cndmask_b32_e32 v51, 0, v51, vcc
	v_cmp_nlt_f32_e32 vcc, s89, v9
	s_nop 1
	v_cndmask_b32_e32 v53, v242, v51, vcc
	v_add_f32_e32 v9, v53, v47
	v_mul_f32_e32 v47, 0x3fb8aa3b, v5
	v_fma_f32 v51, v5, s39, -v47
	v_rndne_f32_e32 v52, v47
	v_fmac_f32_e32 v51, 0x32a5705f, v5
	v_sub_f32_e32 v47, v47, v52
	v_add_f32_e32 v47, v47, v51
	v_exp_f32_e32 v47, v47
	v_cvt_i32_f32_e32 v51, v52
	v_cmp_ngt_f32_e32 vcc, s63, v5
	v_ldexp_f32 v47, v47, v51
	s_nop 0
	v_cndmask_b32_e32 v47, 0, v47, vcc
	v_cmp_nlt_f32_e32 vcc, s89, v5
	s_nop 1
	v_cndmask_b32_e32 v55, v242, v47, vcc
	v_add_f32_e32 v5, v55, v9
	v_mul_f32_e32 v9, 0x3fb8aa3b, v4
	v_fma_f32 v47, v4, s39, -v9
	v_rndne_f32_e32 v51, v9
	v_fmac_f32_e32 v47, 0x32a5705f, v4
	v_sub_f32_e32 v9, v9, v51
	v_add_f32_e32 v9, v9, v47
	v_exp_f32_e32 v9, v9
	v_cvt_i32_f32_e32 v47, v51
	v_cmp_ngt_f32_e32 vcc, s63, v4
	v_ldexp_f32 v9, v9, v47
	s_nop 0
	;; [unrolled: 16-line block ×5, first 2 shown]
	v_cndmask_b32_e32 v3, 0, v3, vcc
	v_cmp_nlt_f32_e32 vcc, s89, v1
	v_sub_f32_e32 v1, v141, v130
	s_nop 0
	v_cndmask_b32_e32 v143, v242, v3, vcc
	v_add_f32_e32 v137, v143, v2
	v_mul_f32_e32 v2, 0x3fb8aa3b, v1
	v_fma_f32 v3, v1, s39, -v2
	v_rndne_f32_e32 v4, v2
	v_fmac_f32_e32 v3, 0x32a5705f, v1
	v_sub_f32_e32 v2, v2, v4
	v_add_f32_e32 v2, v2, v3
	v_exp_f32_e32 v2, v2
	v_cvt_i32_f32_e32 v3, v4
	v_cmp_ngt_f32_e32 vcc, s63, v1
	v_ldexp_f32 v2, v2, v3
	s_nop 0
	v_cndmask_b32_e32 v2, 0, v2, vcc
	v_cmp_nlt_f32_e32 vcc, s89, v1
	s_nop 1
	v_cndmask_b32_e32 v2, v242, v2, vcc
	v_cmp_le_f32_e32 vcc, s90, v1
	s_nop 1
	v_cndmask_b32_e32 v1, 0, v2, vcc
	v_fmac_f32_e32 v137, v142, v1
	v_cvt_f16_f32_e32 v1, v1
	v_cmp_ne_u64_e32 vcc, 0, v[110:111]
	s_and_b64 s[12:13], s[0:1], vcc
	v_mul_u32_u24_e32 v2, 0x10001, v1
	v_pk_mul_f16 v144, v238, v2
	v_pk_mul_f16 v142, v237, v2
	;; [unrolled: 1-line block ×32, first 2 shown]
	v_lshl_add_u64 v[2:3], v[112:113], 0, s[8:9]
	v_lshl_add_u64 v[4:5], v[30:31], 2, v[2:3]
	;; [unrolled: 1-line block ×11, first 2 shown]
	global_load_dwordx4 v[2:5], v[4:5], off
	v_lshl_add_u64 v[68:69], v[68:69], 0, v[12:13]
	v_lshl_add_u64 v[74:75], v[74:75], 0, v[12:13]
	;; [unrolled: 1-line block ×6, first 2 shown]
	v_cvt_f32_f16_e32 v12, v144
	v_cvt_f32_f16_sdwa v47, v144 dst_sel:DWORD dst_unused:UNUSED_PAD src0_sel:WORD_1
	v_cvt_f32_f16_e32 v58, v142
	v_cvt_f32_f16_sdwa v60, v142 dst_sel:DWORD dst_unused:UNUSED_PAD src0_sel:WORD_1
	v_accvgpr_write_b32 a0, v12
	v_accvgpr_write_b32 a1, v47
	;; [unrolled: 1-line block ×4, first 2 shown]
	s_waitcnt vmcnt(0)
	ds_write_b128 v152, v[2:5]
	global_load_dwordx4 v[2:5], v[68:69], off
	s_waitcnt vmcnt(0)
	ds_write_b128 v208, v[2:5]
	global_load_dwordx4 v[2:5], v[74:75], off
	v_cvt_f32_f16_sdwa v74, v131 dst_sel:DWORD dst_unused:UNUSED_PAD src0_sel:WORD_1
	s_waitcnt vmcnt(0)
	ds_write_b128 v209, v[2:5]
	global_load_dwordx4 v[2:5], v[132:133], off
	s_waitcnt vmcnt(0)
	ds_write_b128 v210, v[2:5]
	global_load_dwordx4 v[2:5], v[146:147], off
	;; [unrolled: 3-line block ×5, first 2 shown]
	s_waitcnt vmcnt(0)
	ds_write_b128 v214, v[2:5]
	s_waitcnt lgkmcnt(0)
	s_barrier
	ds_read_u16 v2, v156 offset:528
	ds_read_u16 v3, v156 offset:1056
	ds_read_u16 v4, v157
	ds_read_u16 v62, v157 offset:32
	v_cvt_pk_f16_f32 v5, v53, v55
	s_waitcnt lgkmcnt(1)
	v_perm_b32 v3, v4, v3, s91
	ds_read_u16 v4, v156
	ds_read_u16 v64, v156 offset:32
	ds_read_u16 v53, v156 offset:16896
	;; [unrolled: 1-line block ×5, first 2 shown]
	s_waitcnt lgkmcnt(5)
	v_perm_b32 v2, v2, v4, s91
	v_cvt_pk_f16_f32 v4, v61, v138
	s_waitcnt lgkmcnt(0)
	v_perm_b32 v61, v60, v58, s91
	v_perm_b32 v60, v55, v53, s91
	v_mfma_f32_16x16x16_f16 a[0:3], v[2:3], v[4:5], a[0:3]
	v_cvt_f32_f16_e32 v55, v51
	v_cvt_f32_f16_sdwa v51, v51 dst_sel:DWORD dst_unused:UNUSED_PAD src0_sel:WORD_1
	s_nop 5
	v_accvgpr_read_b32 v2, a0
	v_accvgpr_read_b32 v3, a1
	;; [unrolled: 1-line block ×4, first 2 shown]
	v_cvt_f16_f32_e32 v2, v2
	v_cvt_f16_f32_e32 v3, v3
	;; [unrolled: 1-line block ×4, first 2 shown]
	v_cvt_f32_f16_e32 v68, v2
	v_cvt_f32_f16_e32 v69, v3
	;; [unrolled: 1-line block ×4, first 2 shown]
	v_cvt_pk_f16_f32 v3, v139, v143
	v_cvt_pk_f16_f32 v2, v57, v59
	v_accvgpr_write_b32 a0, v68
	v_accvgpr_write_b32 a1, v69
	;; [unrolled: 1-line block ×4, first 2 shown]
	v_cvt_f32_f16_e32 v57, v9
	v_cvt_f32_f16_sdwa v9, v9 dst_sel:DWORD dst_unused:UNUSED_PAD src0_sel:WORD_1
	v_mfma_f32_16x16x16_f16 a[0:3], v[60:61], v[2:3], a[0:3]
	s_nop 7
	v_accvgpr_read_b32 v12, a2
	v_accvgpr_read_b32 v47, a3
	v_cvt_f16_f32_e32 v12, v12
	v_cvt_f16_f32_e32 v47, v47
	v_accvgpr_read_b32 v132, a0
	v_accvgpr_read_b32 v133, a1
	v_accvgpr_write_b32 a0, v55
	v_perm_b32 v12, v47, v12, s91
	ds_read_u16 v47, v156 offset:560
	ds_read_u16 v53, v156 offset:1088
	v_accvgpr_write_b32 a1, v51
	v_accvgpr_write_b32 a2, v57
	;; [unrolled: 1-line block ×3, first 2 shown]
	s_waitcnt lgkmcnt(1)
	v_perm_b32 v58, v47, v64, s91
	s_waitcnt lgkmcnt(0)
	v_perm_b32 v59, v62, v53, s91
	v_cvt_f32_f16_sdwa v62, v179 dst_sel:DWORD dst_unused:UNUSED_PAD src0_sel:WORD_1
	v_cvt_f16_f32_e32 v138, v132
	v_mfma_f32_16x16x16_f16 a[0:3], v[58:59], v[4:5], a[0:3]
	ds_read_u16 v55, v156 offset:16928
	ds_read_u16 v57, v156 offset:17456
	;; [unrolled: 1-line block ×4, first 2 shown]
	v_cvt_f16_f32_e32 v139, v133
	s_waitcnt lgkmcnt(0)
	v_perm_b32 v59, v59, v58, s91
	s_nop 0
	v_accvgpr_read_b32 v9, a0
	v_accvgpr_read_b32 v47, a1
	;; [unrolled: 1-line block ×4, first 2 shown]
	v_cvt_f16_f32_e32 v9, v9
	v_cvt_f16_f32_e32 v47, v47
	;; [unrolled: 1-line block ×4, first 2 shown]
	v_cvt_f32_f16_e32 v9, v9
	v_cvt_f32_f16_e32 v47, v47
	;; [unrolled: 1-line block ×4, first 2 shown]
	v_perm_b32 v58, v57, v55, s91
	v_accvgpr_write_b32 a0, v9
	v_accvgpr_write_b32 a1, v47
	;; [unrolled: 1-line block ×4, first 2 shown]
	v_cvt_f32_f16_e32 v55, v180
	v_cvt_f32_f16_sdwa v57, v180 dst_sel:DWORD dst_unused:UNUSED_PAD src0_sel:WORD_1
	v_mfma_f32_16x16x16_f16 a[0:3], v[58:59], v[2:3], a[0:3]
	v_cvt_f32_f16_e32 v59, v179
	v_perm_b32 v138, v139, v138, s91
	s_nop 5
	v_accvgpr_read_b32 v9, a2
	v_accvgpr_read_b32 v47, a3
	v_cvt_f16_f32_e32 v9, v9
	v_cvt_f16_f32_e32 v47, v47
	v_accvgpr_read_b32 v142, a0
	v_accvgpr_read_b32 v143, a1
	v_accvgpr_write_b32 a0, v55
	v_perm_b32 v58, v47, v9, s91
	ds_read_u16 v9, v156 offset:64
	ds_read_u16 v47, v156 offset:592
	;; [unrolled: 1-line block ×4, first 2 shown]
	v_accvgpr_write_b32 a1, v57
	v_accvgpr_write_b32 a2, v59
	s_waitcnt lgkmcnt(2)
	v_perm_b32 v60, v47, v9, s91
	v_accvgpr_write_b32 a3, v62
	s_waitcnt lgkmcnt(0)
	v_perm_b32 v61, v53, v51, s91
	v_cvt_f16_f32_e32 v144, v142
	v_cvt_f16_f32_e32 v145, v143
	v_mfma_f32_16x16x16_f16 a[0:3], v[60:61], v[4:5], a[0:3]
	ds_read_u16 v55, v156 offset:16960
	ds_read_u16 v57, v156 offset:17488
	;; [unrolled: 1-line block ×4, first 2 shown]
	v_perm_b32 v144, v145, v144, s91
	s_waitcnt lgkmcnt(0)
	v_perm_b32 v61, v60, v59, s91
	s_nop 0
	v_accvgpr_read_b32 v9, a0
	v_accvgpr_read_b32 v47, a1
	;; [unrolled: 1-line block ×4, first 2 shown]
	v_cvt_f16_f32_e32 v9, v9
	v_cvt_f16_f32_e32 v47, v47
	;; [unrolled: 1-line block ×4, first 2 shown]
	v_cvt_f32_f16_e32 v9, v9
	v_cvt_f32_f16_e32 v47, v47
	;; [unrolled: 1-line block ×4, first 2 shown]
	v_perm_b32 v60, v57, v55, s91
	v_accvgpr_write_b32 a0, v9
	v_accvgpr_write_b32 a1, v47
	;; [unrolled: 1-line block ×4, first 2 shown]
	v_cvt_f32_f16_e32 v55, v52
	v_cvt_f32_f16_sdwa v57, v52 dst_sel:DWORD dst_unused:UNUSED_PAD src0_sel:WORD_1
	v_mfma_f32_16x16x16_f16 a[0:3], v[60:61], v[2:3], a[0:3]
	v_cvt_f32_f16_e32 v59, v1
	v_cvt_f32_f16_sdwa v1, v1 dst_sel:DWORD dst_unused:UNUSED_PAD src0_sel:WORD_1
	v_cvt_f32_f16_sdwa v61, v171 dst_sel:DWORD dst_unused:UNUSED_PAD src0_sel:WORD_1
	s_nop 4
	v_accvgpr_read_b32 v9, a2
	v_accvgpr_read_b32 v47, a3
	v_cvt_f16_f32_e32 v9, v9
	v_cvt_f16_f32_e32 v47, v47
	v_accvgpr_read_b32 v147, a0
	v_accvgpr_read_b32 v148, a1
	v_accvgpr_write_b32 a0, v55
	v_perm_b32 v60, v47, v9, s91
	ds_read_u16 v9, v156 offset:96
	ds_read_u16 v47, v156 offset:624
	;; [unrolled: 1-line block ×4, first 2 shown]
	v_accvgpr_write_b32 a1, v57
	v_accvgpr_write_b32 a2, v59
	s_waitcnt lgkmcnt(2)
	v_perm_b32 v52, v47, v9, s91
	v_accvgpr_write_b32 a3, v1
	s_waitcnt lgkmcnt(0)
	v_perm_b32 v53, v53, v51, s91
	v_cvt_f32_f16_e32 v59, v171
	v_cvt_f16_f32_e32 v149, v147
	v_mfma_f32_16x16x16_f16 a[0:3], v[52:53], v[4:5], a[0:3]
	ds_read_u16 v52, v156 offset:16992
	ds_read_u16 v55, v156 offset:17520
	ds_read_u16 v53, v156 offset:18048
	ds_read_u16 v57, v157 offset:16992
	v_cvt_f16_f32_e32 v150, v148
	s_waitcnt lgkmcnt(2)
	v_perm_b32 v52, v55, v52, s91
	s_nop 0
	v_accvgpr_read_b32 v1, a0
	v_accvgpr_read_b32 v9, a1
	;; [unrolled: 1-line block ×4, first 2 shown]
	v_cvt_f16_f32_e32 v1, v1
	v_cvt_f16_f32_e32 v9, v9
	;; [unrolled: 1-line block ×4, first 2 shown]
	v_cvt_f32_f16_e32 v1, v1
	v_cvt_f32_f16_e32 v9, v9
	;; [unrolled: 1-line block ×4, first 2 shown]
	s_waitcnt lgkmcnt(0)
	v_perm_b32 v53, v57, v53, s91
	v_accvgpr_write_b32 a0, v1
	v_accvgpr_write_b32 a1, v9
	;; [unrolled: 1-line block ×4, first 2 shown]
	v_cvt_f32_f16_e32 v55, v177
	v_cvt_f32_f16_sdwa v57, v177 dst_sel:DWORD dst_unused:UNUSED_PAD src0_sel:WORD_1
	v_mfma_f32_16x16x16_f16 a[0:3], v[52:53], v[2:3], a[0:3]
	v_perm_b32 v149, v150, v149, s91
	s_nop 6
	v_accvgpr_read_b32 v1, a2
	v_accvgpr_read_b32 v9, a3
	v_cvt_f16_f32_e32 v1, v1
	v_cvt_f16_f32_e32 v9, v9
	v_accvgpr_read_b32 v175, a0
	v_accvgpr_read_b32 v178, a1
	v_accvgpr_write_b32 a0, v55
	v_perm_b32 v62, v9, v1, s91
	ds_read_u16 v1, v156 offset:128
	ds_read_u16 v9, v156 offset:656
	ds_read_u16 v47, v156 offset:1184
	ds_read_u16 v51, v157 offset:128
	v_accvgpr_write_b32 a1, v57
	v_accvgpr_write_b32 a2, v59
	s_waitcnt lgkmcnt(2)
	v_perm_b32 v52, v9, v1, s91
	v_accvgpr_write_b32 a3, v61
	s_waitcnt lgkmcnt(0)
	v_perm_b32 v53, v51, v47, s91
	v_cvt_f32_f16_e32 v59, v141
	v_cvt_f32_f16_sdwa v61, v141 dst_sel:DWORD dst_unused:UNUSED_PAD src0_sel:WORD_1
	v_mfma_f32_16x16x16_f16 a[0:3], v[52:53], v[4:5], a[0:3]
	ds_read_u16 v52, v156 offset:17024
	ds_read_u16 v55, v156 offset:17552
	ds_read_u16 v53, v156 offset:18080
	ds_read_u16 v57, v157 offset:17024
	v_cvt_f16_f32_e32 v181, v175
	v_cvt_f16_f32_e32 v184, v178
	s_nop 1
	v_accvgpr_read_b32 v1, a0
	v_accvgpr_read_b32 v9, a1
	v_accvgpr_read_b32 v47, a2
	v_accvgpr_read_b32 v51, a3
	v_cvt_f16_f32_e32 v1, v1
	v_cvt_f16_f32_e32 v9, v9
	v_cvt_f16_f32_e32 v47, v47
	v_cvt_f16_f32_e32 v51, v51
	v_cvt_f32_f16_e32 v1, v1
	v_cvt_f32_f16_e32 v9, v9
	v_cvt_f32_f16_e32 v47, v47
	v_cvt_f32_f16_e32 v51, v51
	s_waitcnt lgkmcnt(0)
	v_perm_b32 v53, v57, v53, s91
	v_perm_b32 v52, v55, v52, s91
	v_accvgpr_write_b32 a0, v1
	v_accvgpr_write_b32 a1, v9
	v_accvgpr_write_b32 a2, v47
	v_accvgpr_write_b32 a3, v51
	v_cvt_f32_f16_e32 v55, v176
	v_cvt_f32_f16_sdwa v57, v176 dst_sel:DWORD dst_unused:UNUSED_PAD src0_sel:WORD_1
	v_mfma_f32_16x16x16_f16 a[0:3], v[52:53], v[2:3], a[0:3]
	s_nop 7
	v_accvgpr_read_b32 v1, a2
	v_accvgpr_read_b32 v9, a3
	v_cvt_f16_f32_e32 v1, v1
	v_cvt_f16_f32_e32 v9, v9
	v_accvgpr_read_b32 v198, a0
	v_accvgpr_read_b32 v199, a1
	v_accvgpr_write_b32 a0, v55
	v_perm_b32 v64, v9, v1, s91
	ds_read_u16 v1, v156 offset:160
	ds_read_u16 v9, v156 offset:688
	ds_read_u16 v47, v156 offset:1216
	ds_read_u16 v51, v157 offset:160
	v_accvgpr_write_b32 a1, v57
	v_accvgpr_write_b32 a2, v59
	s_waitcnt lgkmcnt(2)
	v_perm_b32 v52, v9, v1, s91
	v_accvgpr_write_b32 a3, v61
	s_waitcnt lgkmcnt(0)
	v_perm_b32 v53, v51, v47, s91
	v_cvt_f32_f16_e32 v59, v173
	v_cvt_f32_f16_sdwa v61, v173 dst_sel:DWORD dst_unused:UNUSED_PAD src0_sel:WORD_1
	v_mfma_f32_16x16x16_f16 a[0:3], v[52:53], v[4:5], a[0:3]
	ds_read_u16 v52, v156 offset:17056
	ds_read_u16 v55, v156 offset:17584
	ds_read_u16 v53, v156 offset:18112
	ds_read_u16 v57, v157 offset:17056
	v_cvt_f16_f32_e32 v200, v198
	v_cvt_f16_f32_e32 v201, v199
	s_nop 1
	v_accvgpr_read_b32 v1, a0
	v_accvgpr_read_b32 v9, a1
	v_accvgpr_read_b32 v47, a2
	v_accvgpr_read_b32 v51, a3
	v_cvt_f16_f32_e32 v1, v1
	v_cvt_f16_f32_e32 v9, v9
	v_cvt_f16_f32_e32 v47, v47
	v_cvt_f16_f32_e32 v51, v51
	v_cvt_f32_f16_e32 v1, v1
	v_cvt_f32_f16_e32 v9, v9
	v_cvt_f32_f16_e32 v47, v47
	v_cvt_f32_f16_e32 v51, v51
	s_waitcnt lgkmcnt(0)
	v_perm_b32 v53, v57, v53, s91
	v_perm_b32 v52, v55, v52, s91
	v_accvgpr_write_b32 a0, v1
	v_accvgpr_write_b32 a1, v9
	v_accvgpr_write_b32 a2, v47
	v_accvgpr_write_b32 a3, v51
	v_cvt_f32_f16_e32 v55, v174
	v_cvt_f32_f16_sdwa v57, v174 dst_sel:DWORD dst_unused:UNUSED_PAD src0_sel:WORD_1
	v_mfma_f32_16x16x16_f16 a[0:3], v[52:53], v[2:3], a[0:3]
	;; [unrolled: 52-line block ×3, first 2 shown]
	s_nop 7
	v_accvgpr_read_b32 v1, a2
	v_accvgpr_read_b32 v9, a3
	v_cvt_f16_f32_e32 v1, v1
	v_cvt_f16_f32_e32 v9, v9
	v_accvgpr_read_b32 v238, a0
	v_accvgpr_read_b32 v239, a1
	v_accvgpr_write_b32 a0, v55
	v_perm_b32 v146, v9, v1, s91
	ds_read_u16 v1, v156 offset:224
	ds_read_u16 v9, v156 offset:752
	;; [unrolled: 1-line block ×4, first 2 shown]
	v_accvgpr_write_b32 a1, v57
	v_accvgpr_write_b32 a2, v59
	s_waitcnt lgkmcnt(2)
	v_perm_b32 v52, v9, v1, s91
	v_accvgpr_write_b32 a3, v54
	s_waitcnt lgkmcnt(0)
	v_perm_b32 v53, v51, v47, s91
	v_cvt_f32_f16_e32 v57, v252
	v_cvt_f32_f16_sdwa v59, v252 dst_sel:DWORD dst_unused:UNUSED_PAD src0_sel:WORD_1
	v_mfma_f32_16x16x16_f16 a[0:3], v[52:53], v[4:5], a[0:3]
	v_cvt_f16_f32_e32 v243, v238
	v_cvt_f16_f32_e32 v244, v239
	s_nop 5
	v_accvgpr_read_b32 v9, a1
	v_cvt_f16_f32_e32 v52, v9
	v_accvgpr_read_b32 v9, a2
	v_cvt_f16_f32_e32 v54, v9
	v_accvgpr_read_b32 v9, a3
	v_accvgpr_read_b32 v1, a0
	v_cvt_f16_f32_e32 v171, v9
	ds_read_u16 v61, v156 offset:17120
	ds_read_u16 v172, v156 offset:17648
	;; [unrolled: 1-line block ×4, first 2 shown]
	v_cvt_f16_f32_e32 v1, v1
	v_cvt_f32_f16_e32 v47, v52
	v_cvt_f32_f16_e32 v54, v54
	;; [unrolled: 1-line block ×4, first 2 shown]
	s_waitcnt lgkmcnt(0)
	v_perm_b32 v53, v51, v9, s91
	v_perm_b32 v52, v172, v61, s91
	v_accvgpr_write_b32 a1, v47
	v_accvgpr_write_b32 a0, v1
	;; [unrolled: 1-line block ×4, first 2 shown]
	v_cvt_f32_f16_e32 v54, v253
	v_cvt_f32_f16_sdwa v55, v253 dst_sel:DWORD dst_unused:UNUSED_PAD src0_sel:WORD_1
	v_mfma_f32_16x16x16_f16 a[0:3], v[52:53], v[2:3], a[0:3]
	v_cvt_f32_f16_sdwa v61, v245 dst_sel:DWORD dst_unused:UNUSED_PAD src0_sel:WORD_1
	s_nop 6
	v_accvgpr_read_b32 v1, a2
	v_accvgpr_read_b32 v9, a3
	v_cvt_f16_f32_e32 v1, v1
	v_cvt_f16_f32_e32 v9, v9
	v_accvgpr_read_b32 v173, a0
	v_accvgpr_read_b32 v174, a1
	v_accvgpr_write_b32 a0, v54
	v_perm_b32 v249, v9, v1, s91
	ds_read_u16 v1, v156 offset:256
	ds_read_u16 v9, v156 offset:784
	;; [unrolled: 1-line block ×4, first 2 shown]
	v_accvgpr_write_b32 a1, v55
	v_accvgpr_write_b32 a2, v57
	s_waitcnt lgkmcnt(2)
	v_perm_b32 v52, v9, v1, s91
	v_accvgpr_write_b32 a3, v59
	s_waitcnt lgkmcnt(0)
	v_perm_b32 v53, v51, v47, s91
	v_cvt_f32_f16_e32 v57, v250
	v_cvt_f32_f16_sdwa v59, v250 dst_sel:DWORD dst_unused:UNUSED_PAD src0_sel:WORD_1
	v_mfma_f32_16x16x16_f16 a[0:3], v[52:53], v[4:5], a[0:3]
	ds_read_u16 v52, v156 offset:17152
	ds_read_u16 v54, v156 offset:17680
	;; [unrolled: 1-line block ×4, first 2 shown]
	v_cvt_f16_f32_e32 v177, v173
	v_cvt_f16_f32_e32 v179, v174
	s_nop 1
	v_accvgpr_read_b32 v1, a0
	v_accvgpr_read_b32 v9, a1
	;; [unrolled: 1-line block ×4, first 2 shown]
	v_cvt_f16_f32_e32 v1, v1
	v_cvt_f16_f32_e32 v9, v9
	;; [unrolled: 1-line block ×4, first 2 shown]
	v_cvt_f32_f16_e32 v1, v1
	v_cvt_f32_f16_e32 v9, v9
	v_cvt_f32_f16_e32 v47, v47
	v_cvt_f32_f16_e32 v51, v51
	s_waitcnt lgkmcnt(0)
	v_perm_b32 v53, v55, v53, s91
	v_perm_b32 v52, v54, v52, s91
	v_accvgpr_write_b32 a0, v1
	v_accvgpr_write_b32 a1, v9
	;; [unrolled: 1-line block ×4, first 2 shown]
	v_cvt_f32_f16_e32 v54, v251
	v_cvt_f32_f16_sdwa v55, v251 dst_sel:DWORD dst_unused:UNUSED_PAD src0_sel:WORD_1
	v_mfma_f32_16x16x16_f16 a[0:3], v[52:53], v[2:3], a[0:3]
	s_nop 7
	v_accvgpr_read_b32 v1, a2
	v_accvgpr_read_b32 v9, a3
	v_cvt_f16_f32_e32 v1, v1
	v_cvt_f16_f32_e32 v9, v9
	v_accvgpr_read_b32 v180, a0
	v_accvgpr_read_b32 v182, a1
	v_accvgpr_write_b32 a0, v54
	v_perm_b32 v252, v9, v1, s91
	ds_read_u16 v1, v156 offset:288
	ds_read_u16 v9, v156 offset:816
	ds_read_u16 v47, v156 offset:1344
	ds_read_u16 v51, v157 offset:288
	v_accvgpr_write_b32 a1, v55
	v_accvgpr_write_b32 a2, v57
	s_waitcnt lgkmcnt(2)
	v_perm_b32 v52, v9, v1, s91
	v_accvgpr_write_b32 a3, v59
	s_waitcnt lgkmcnt(0)
	v_perm_b32 v53, v51, v47, s91
	v_cvt_f32_f16_e32 v57, v247
	v_cvt_f32_f16_sdwa v59, v247 dst_sel:DWORD dst_unused:UNUSED_PAD src0_sel:WORD_1
	v_mfma_f32_16x16x16_f16 a[0:3], v[52:53], v[4:5], a[0:3]
	ds_read_u16 v52, v156 offset:17184
	ds_read_u16 v54, v156 offset:17712
	;; [unrolled: 1-line block ×4, first 2 shown]
	v_cvt_f16_f32_e32 v183, v180
	v_cvt_f16_f32_e32 v185, v182
	s_nop 1
	v_accvgpr_read_b32 v1, a0
	v_accvgpr_read_b32 v9, a1
	;; [unrolled: 1-line block ×4, first 2 shown]
	v_cvt_f16_f32_e32 v1, v1
	v_cvt_f16_f32_e32 v9, v9
	;; [unrolled: 1-line block ×4, first 2 shown]
	v_cvt_f32_f16_e32 v1, v1
	v_cvt_f32_f16_e32 v9, v9
	;; [unrolled: 1-line block ×4, first 2 shown]
	s_waitcnt lgkmcnt(0)
	v_perm_b32 v53, v55, v53, s91
	v_perm_b32 v52, v54, v52, s91
	v_accvgpr_write_b32 a0, v1
	v_accvgpr_write_b32 a1, v9
	;; [unrolled: 1-line block ×4, first 2 shown]
	v_cvt_f32_f16_e32 v54, v248
	v_cvt_f32_f16_sdwa v55, v248 dst_sel:DWORD dst_unused:UNUSED_PAD src0_sel:WORD_1
	v_mfma_f32_16x16x16_f16 a[0:3], v[52:53], v[2:3], a[0:3]
	s_nop 7
	v_accvgpr_read_b32 v1, a2
	v_accvgpr_read_b32 v9, a3
	v_cvt_f16_f32_e32 v1, v1
	v_cvt_f16_f32_e32 v9, v9
	v_accvgpr_read_b32 v188, a0
	v_accvgpr_read_b32 v189, a1
	v_accvgpr_write_b32 a0, v54
	v_perm_b32 v196, v9, v1, s91
	ds_read_u16 v1, v156 offset:320
	ds_read_u16 v9, v156 offset:848
	;; [unrolled: 1-line block ×4, first 2 shown]
	v_accvgpr_write_b32 a1, v55
	v_accvgpr_write_b32 a2, v57
	s_waitcnt lgkmcnt(2)
	v_perm_b32 v52, v9, v1, s91
	v_accvgpr_write_b32 a3, v59
	s_waitcnt lgkmcnt(0)
	v_perm_b32 v53, v51, v47, s91
	v_cvt_f32_f16_sdwa v57, v246 dst_sel:DWORD dst_unused:UNUSED_PAD src0_sel:WORD_1
	v_cvt_f32_f16_e32 v59, v245
	v_mfma_f32_16x16x16_f16 a[0:3], v[52:53], v[4:5], a[0:3]
	ds_read_u16 v52, v156 offset:17216
	ds_read_u16 v54, v156 offset:17744
	ds_read_u16 v53, v156 offset:18272
	ds_read_u16 v55, v157 offset:17216
	v_cvt_f16_f32_e32 v195, v188
	v_cvt_f16_f32_e32 v234, v189
	s_nop 1
	v_accvgpr_read_b32 v1, a0
	v_accvgpr_read_b32 v9, a1
	v_accvgpr_read_b32 v47, a2
	v_accvgpr_read_b32 v51, a3
	v_cvt_f16_f32_e32 v1, v1
	v_cvt_f16_f32_e32 v9, v9
	v_cvt_f16_f32_e32 v47, v47
	v_cvt_f16_f32_e32 v51, v51
	v_cvt_f32_f16_e32 v1, v1
	v_cvt_f32_f16_e32 v9, v9
	;; [unrolled: 1-line block ×4, first 2 shown]
	s_waitcnt lgkmcnt(0)
	v_perm_b32 v53, v55, v53, s91
	v_perm_b32 v52, v54, v52, s91
	v_accvgpr_write_b32 a0, v1
	v_accvgpr_write_b32 a1, v9
	;; [unrolled: 1-line block ×4, first 2 shown]
	v_cvt_f32_f16_e32 v55, v246
	s_nop 0
	v_mfma_f32_16x16x16_f16 a[0:3], v[52:53], v[2:3], a[0:3]
	s_nop 7
	v_accvgpr_read_b32 v1, a2
	v_accvgpr_read_b32 v9, a3
	v_cvt_f16_f32_e32 v1, v1
	v_cvt_f16_f32_e32 v9, v9
	v_accvgpr_read_b32 v247, a0
	v_accvgpr_read_b32 v248, a1
	v_accvgpr_write_b32 a0, v55
	v_perm_b32 v54, v9, v1, s91
	ds_read_u16 v1, v156 offset:352
	ds_read_u16 v9, v156 offset:880
	ds_read_u16 v47, v156 offset:1408
	ds_read_u16 v51, v157 offset:352
	v_accvgpr_write_b32 a1, v57
	v_accvgpr_write_b32 a2, v59
	s_waitcnt lgkmcnt(2)
	v_perm_b32 v52, v9, v1, s91
	v_accvgpr_write_b32 a3, v61
	s_waitcnt lgkmcnt(0)
	v_perm_b32 v53, v51, v47, s91
	v_cvt_f32_f16_e32 v59, v236
	v_cvt_f32_f16_sdwa v61, v236 dst_sel:DWORD dst_unused:UNUSED_PAD src0_sel:WORD_1
	v_mfma_f32_16x16x16_f16 a[0:3], v[52:53], v[4:5], a[0:3]
	ds_read_u16 v52, v156 offset:17248
	ds_read_u16 v55, v156 offset:17776
	ds_read_u16 v53, v156 offset:18304
	ds_read_u16 v57, v157 offset:17248
	v_cvt_f16_f32_e32 v250, v247
	v_cvt_f16_f32_e32 v251, v248
	s_nop 1
	v_accvgpr_read_b32 v1, a0
	v_accvgpr_read_b32 v9, a1
	v_accvgpr_read_b32 v47, a2
	v_accvgpr_read_b32 v51, a3
	v_cvt_f16_f32_e32 v1, v1
	v_cvt_f16_f32_e32 v9, v9
	v_cvt_f16_f32_e32 v47, v47
	v_cvt_f16_f32_e32 v51, v51
	v_cvt_f32_f16_e32 v1, v1
	v_cvt_f32_f16_e32 v9, v9
	v_cvt_f32_f16_e32 v47, v47
	v_cvt_f32_f16_e32 v51, v51
	s_waitcnt lgkmcnt(0)
	v_perm_b32 v53, v57, v53, s91
	v_perm_b32 v52, v55, v52, s91
	v_accvgpr_write_b32 a0, v1
	v_accvgpr_write_b32 a1, v9
	v_accvgpr_write_b32 a2, v47
	v_accvgpr_write_b32 a3, v51
	v_cvt_f32_f16_e32 v55, v237
	v_cvt_f32_f16_sdwa v57, v237 dst_sel:DWORD dst_unused:UNUSED_PAD src0_sel:WORD_1
	v_mfma_f32_16x16x16_f16 a[0:3], v[52:53], v[2:3], a[0:3]
	s_nop 7
	v_accvgpr_read_b32 v1, a2
	v_accvgpr_read_b32 v9, a3
	v_cvt_f16_f32_e32 v1, v1
	v_cvt_f16_f32_e32 v9, v9
	v_accvgpr_read_b32 v245, a0
	v_accvgpr_read_b32 v246, a1
	v_accvgpr_write_b32 a0, v55
	v_perm_b32 v172, v9, v1, s91
	ds_read_u16 v1, v156 offset:384
	ds_read_u16 v9, v156 offset:912
	ds_read_u16 v47, v156 offset:1440
	ds_read_u16 v51, v157 offset:384
	v_accvgpr_write_b32 a1, v57
	v_accvgpr_write_b32 a2, v59
	s_waitcnt lgkmcnt(2)
	v_perm_b32 v52, v9, v1, s91
	v_accvgpr_write_b32 a3, v61
	s_waitcnt lgkmcnt(0)
	v_perm_b32 v53, v51, v47, s91
	v_cvt_f32_f16_e32 v59, v202
	v_cvt_f32_f16_sdwa v61, v202 dst_sel:DWORD dst_unused:UNUSED_PAD src0_sel:WORD_1
	v_mfma_f32_16x16x16_f16 a[0:3], v[52:53], v[4:5], a[0:3]
	ds_read_u16 v52, v156 offset:17280
	ds_read_u16 v55, v156 offset:17808
	ds_read_u16 v53, v156 offset:18336
	ds_read_u16 v57, v157 offset:17280
	v_cvt_f16_f32_e32 v253, v245
	v_cvt_f16_f32_e32 v254, v246
	s_nop 1
	v_accvgpr_read_b32 v1, a0
	v_accvgpr_read_b32 v9, a1
	v_accvgpr_read_b32 v47, a2
	v_accvgpr_read_b32 v51, a3
	v_cvt_f16_f32_e32 v1, v1
	v_cvt_f16_f32_e32 v9, v9
	v_cvt_f16_f32_e32 v47, v47
	v_cvt_f16_f32_e32 v51, v51
	v_cvt_f32_f16_e32 v1, v1
	v_cvt_f32_f16_e32 v9, v9
	v_cvt_f32_f16_e32 v47, v47
	v_cvt_f32_f16_e32 v51, v51
	s_waitcnt lgkmcnt(0)
	v_perm_b32 v53, v57, v53, s91
	v_perm_b32 v52, v55, v52, s91
	v_accvgpr_write_b32 a0, v1
	v_accvgpr_write_b32 a1, v9
	v_accvgpr_write_b32 a2, v47
	v_accvgpr_write_b32 a3, v51
	v_cvt_f32_f16_e32 v55, v203
	v_cvt_f32_f16_sdwa v57, v203 dst_sel:DWORD dst_unused:UNUSED_PAD src0_sel:WORD_1
	;; [unrolled: 52-line block ×3, first 2 shown]
	v_mfma_f32_16x16x16_f16 a[0:3], v[52:53], v[2:3], a[0:3]
	s_nop 7
	v_accvgpr_read_b32 v1, a2
	v_accvgpr_read_b32 v9, a3
	v_cvt_f16_f32_e32 v1, v1
	v_cvt_f16_f32_e32 v9, v9
	v_accvgpr_read_b32 v202, a0
	v_accvgpr_read_b32 v203, a1
	v_accvgpr_write_b32 a0, v55
	v_perm_b32 v186, v9, v1, s91
	ds_read_u16 v1, v156 offset:448
	ds_read_u16 v9, v156 offset:976
	;; [unrolled: 1-line block ×4, first 2 shown]
	v_accvgpr_write_b32 a1, v57
	v_accvgpr_write_b32 a2, v59
	s_waitcnt lgkmcnt(2)
	v_perm_b32 v52, v9, v1, s91
	v_accvgpr_write_b32 a3, v61
	s_waitcnt lgkmcnt(0)
	v_perm_b32 v53, v51, v47, s91
	v_cvt_f32_f16_e32 v59, v131
	v_cvt_f16_f32_e32 v233, v202
	v_mfma_f32_16x16x16_f16 a[0:3], v[52:53], v[4:5], a[0:3]
	ds_read_u16 v52, v156 offset:17344
	ds_read_u16 v55, v156 offset:17872
	;; [unrolled: 1-line block ×4, first 2 shown]
	v_cvt_f16_f32_e32 v171, v203
	s_waitcnt lgkmcnt(2)
	v_perm_b32 v52, v55, v52, s91
	s_nop 0
	v_accvgpr_read_b32 v1, a0
	v_accvgpr_read_b32 v9, a1
	;; [unrolled: 1-line block ×4, first 2 shown]
	v_cvt_f16_f32_e32 v1, v1
	v_cvt_f16_f32_e32 v9, v9
	;; [unrolled: 1-line block ×4, first 2 shown]
	v_cvt_f32_f16_e32 v1, v1
	v_cvt_f32_f16_e32 v9, v9
	;; [unrolled: 1-line block ×4, first 2 shown]
	s_waitcnt lgkmcnt(0)
	v_perm_b32 v53, v57, v53, s91
	v_accvgpr_write_b32 a0, v1
	v_accvgpr_write_b32 a1, v9
	v_accvgpr_write_b32 a2, v47
	v_accvgpr_write_b32 a3, v51
	v_cvt_f32_f16_e32 v55, v151
	v_cvt_f32_f16_sdwa v57, v151 dst_sel:DWORD dst_unused:UNUSED_PAD src0_sel:WORD_1
	v_mfma_f32_16x16x16_f16 a[0:3], v[52:53], v[2:3], a[0:3]
	s_nop 7
	v_accvgpr_read_b32 v9, a2
	v_accvgpr_read_b32 v47, a3
	v_cvt_f16_f32_e32 v9, v9
	v_cvt_f16_f32_e32 v47, v47
	v_accvgpr_read_b32 v197, a0
	v_accvgpr_read_b32 v61, a1
	v_accvgpr_write_b32 a0, v55
	v_perm_b32 v187, v47, v9, s91
	ds_read_u16 v9, v156 offset:480
	ds_read_u16 v47, v156 offset:1008
	;; [unrolled: 1-line block ×4, first 2 shown]
	v_accvgpr_write_b32 a1, v57
	v_accvgpr_write_b32 a2, v59
	s_waitcnt lgkmcnt(2)
	v_perm_b32 v68, v47, v9, s91
	v_accvgpr_write_b32 a3, v74
	s_waitcnt lgkmcnt(0)
	v_perm_b32 v69, v53, v51, s91
	ds_read_u16 v151, v156 offset:17376
	ds_read_u16 v51, v156 offset:17904
	;; [unrolled: 1-line block ×4, first 2 shown]
	v_mfma_f32_16x16x16_f16 a[0:3], v[68:69], v[4:5], a[0:3]
	v_cvt_f16_f32_e32 v52, v197
	v_cvt_f16_f32_e32 v1, v61
	s_waitcnt lgkmcnt(0)
	s_barrier
	s_nop 3
	v_accvgpr_read_b32 v9, a2
	v_accvgpr_read_b32 v4, a0
	;; [unrolled: 1-line block ×3, first 2 shown]
	v_cvt_f16_f32_e32 v131, v9
	v_accvgpr_read_b32 v9, a3
	v_cvt_f16_f32_e32 v4, v4
	v_cvt_f16_f32_e32 v5, v5
	;; [unrolled: 1-line block ×3, first 2 shown]
	v_cvt_f32_f16_e32 v59, v131
	v_cvt_f32_f16_e32 v47, v4
	;; [unrolled: 1-line block ×4, first 2 shown]
	v_perm_b32 v5, v55, v53, s91
	v_perm_b32 v4, v51, v151, s91
	v_accvgpr_write_b32 a0, v47
	v_accvgpr_write_b32 a1, v57
	;; [unrolled: 1-line block ×4, first 2 shown]
	v_perm_b32 v1, v1, v52, s91
	v_perm_b32 v52, v171, v233, s91
	v_mfma_f32_16x16x16_f16 a[0:3], v[4:5], v[2:3], a[0:3]
	v_perm_b32 v53, v194, v255, s91
	v_perm_b32 v55, v254, v253, s91
	;; [unrolled: 1-line block ×6, first 2 shown]
	s_nop 1
	v_accvgpr_read_b32 v9, a2
	v_accvgpr_read_b32 v47, a3
	v_cvt_f16_f32_e32 v9, v9
	v_cvt_f16_f32_e32 v47, v47
	v_accvgpr_read_b32 v2, a0
	v_accvgpr_read_b32 v3, a1
	v_cvt_f16_f32_e32 v4, v2
	v_perm_b32 v9, v47, v9, s91
	ds_bpermute_b32 v47, v140, v137
	v_cvt_f16_f32_e32 v5, v3
	v_perm_b32 v140, v179, v177, s91
	v_perm_b32 v177, v201, v200, s91
	;; [unrolled: 1-line block ×3, first 2 shown]
	s_waitcnt lgkmcnt(0)
	v_add_f32_e32 v47, v137, v47
	ds_bpermute_b32 v51, v56, v47
	v_perm_b32 v137, v185, v183, s91
	s_waitcnt lgkmcnt(0)
	v_add_f32_e32 v131, v47, v51
	v_perm_b32 v51, v5, v4, s91
	s_and_saveexec_b64 s[8:9], s[12:13]
	s_cbranch_execz .LBB29_56
; %bb.55:                               ;   in Loop: Header=BB29_12 Depth=1
	v_cvt_pk_f16_f32 v3, v2, v3
	v_lshlrev_b32_e32 v2, 2, v66
	v_readfirstlane_b32 s12, v110
	v_readfirstlane_b32 s13, v111
	v_max_f32_e32 v77, v130, v130
	v_cvt_pk_f16_f32 v1, v132, v133
	v_cvt_pk_f16_f32 v51, v198, v199
	;; [unrolled: 1-line block ×4, first 2 shown]
	global_load_dword v76, v2, s[12:13]
	v_cvt_pk_f16_f32 v47, v175, v178
	v_cvt_pk_f16_f32 v52, v204, v205
	v_cvt_pk_f16_f32 v53, v238, v239
	v_cvt_pk_f16_f32 v55, v173, v174
	v_cvt_pk_f16_f32 v57, v180, v182
	v_cvt_pk_f16_f32 v59, v188, v189
	v_cvt_pk_f16_f32 v68, v247, v248
	v_cvt_pk_f16_f32 v69, v245, v246
	v_cvt_pk_f16_f32 v74, v236, v237
	v_cvt_pk_f16_f32 v75, v202, v203
	v_cvt_pk_f16_f32 v61, v197, v61
	s_waitcnt vmcnt(0)
	v_max_f32_e32 v2, v76, v76
	v_max_f32_e32 v2, v77, v2
	v_sub_f32_e32 v77, v130, v2
	v_mul_f32_e32 v130, 0x3fb8aa3b, v77
	v_fma_f32 v132, v77, s39, -v130
	v_rndne_f32_e32 v133, v130
	v_fmac_f32_e32 v132, 0x32a5705f, v77
	v_sub_f32_e32 v130, v130, v133
	v_add_f32_e32 v130, v130, v132
	v_exp_f32_e32 v130, v130
	v_cvt_i32_f32_e32 v132, v133
	v_cmp_ngt_f32_e32 vcc, s63, v77
	v_sub_f32_e32 v76, v76, v2
	v_ldexp_f32 v130, v130, v132
	v_cndmask_b32_e32 v130, 0, v130, vcc
	v_cmp_nlt_f32_e32 vcc, s89, v77
	s_nop 1
	v_cndmask_b32_e32 v130, v242, v130, vcc
	v_cmp_le_f32_e32 vcc, s90, v77
	s_nop 1
	v_cndmask_b32_e32 v77, 0, v130, vcc
	v_cvt_f16_f32_e32 v130, v77
	v_cmp_ngt_f32_e32 vcc, s63, v76
	v_mul_u32_u24_e32 v130, 0x10001, v130
	v_pk_mul_f16 v177, v51, v130
	v_pk_mul_f16 v51, v3, v130
	v_mul_f32_e32 v3, 0x3fb8aa3b, v76
	v_pk_mul_f16 v144, v4, v130
	v_pk_mul_f16 v149, v5, v130
	v_fma_f32 v4, v76, s39, -v3
	v_rndne_f32_e32 v5, v3
	v_fmac_f32_e32 v4, 0x32a5705f, v76
	v_sub_f32_e32 v3, v3, v5
	v_add_f32_e32 v3, v3, v4
	v_exp_f32_e32 v3, v3
	v_cvt_i32_f32_e32 v4, v5
	v_pk_mul_f16 v138, v1, v130
	v_pk_mul_f16 v12, v12, v130
	;; [unrolled: 1-line block ×3, first 2 shown]
	v_ldexp_f32 v3, v3, v4
	v_cndmask_b32_e32 v3, 0, v3, vcc
	v_cmp_nlt_f32_e32 vcc, s89, v76
	v_pk_mul_f16 v60, v60, v130
	v_pk_mul_f16 v179, v47, v130
	v_cndmask_b32_e32 v3, v242, v3, vcc
	v_fmac_f32_e32 v3, v131, v77
	v_pk_mul_f16 v62, v62, v130
	v_pk_mul_f16 v64, v64, v130
	;; [unrolled: 1-line block ×23, first 2 shown]
	v_mov_b64_e32 v[130:131], v[2:3]
.LBB29_56:                              ;   in Loop: Header=BB29_12 Depth=1
	s_or_b64 exec, exec, s[8:9]
	s_and_saveexec_b64 s[8:9], s[4:5]
; %bb.57:                               ;   in Loop: Header=BB29_12 Depth=1
	v_add_u32_e32 v2, 0, v164
	ds_write2_b32 v2, v130, v131 offset0:128 offset1:129
; %bb.58:                               ;   in Loop: Header=BB29_12 Depth=1
	s_or_b64 exec, exec, s[8:9]
	s_waitcnt lgkmcnt(0)
	s_barrier
	s_and_saveexec_b64 s[8:9], s[10:11]
	s_xor_b64 s[8:9], exec, s[8:9]
	s_cbranch_execz .LBB29_60
; %bb.59:                               ;   in Loop: Header=BB29_12 Depth=1
	s_barrier
                                        ; implicit-def: $vgpr56
.LBB29_60:                              ;   in Loop: Header=BB29_12 Depth=1
	s_andn2_saveexec_b64 s[8:9], s[8:9]
	s_cbranch_execz .LBB29_66
; %bb.61:                               ;   in Loop: Header=BB29_12 Depth=1
	v_add_u32_e32 v3, 0, v165
	ds_read_b64 v[68:69], v3 offset:512
	s_waitcnt lgkmcnt(0)
	s_barrier
	ds_bpermute_b32 v2, v56, v68
	v_max_f32_e32 v4, v68, v68
	s_waitcnt lgkmcnt(0)
	v_max_f32_e32 v2, v2, v2
	v_max_f32_e32 v2, v4, v2
	v_sub_f32_e32 v4, v68, v2
	v_mul_f32_e32 v5, 0x3fb8aa3b, v4
	v_fma_f32 v47, v4, s39, -v5
	v_rndne_f32_e32 v61, v5
	v_fmac_f32_e32 v47, 0x32a5705f, v4
	v_sub_f32_e32 v5, v5, v61
	v_add_f32_e32 v5, v5, v47
	v_cvt_i32_f32_e32 v61, v61
	v_exp_f32_e32 v5, v5
	v_cmp_ngt_f32_e32 vcc, s63, v4
	v_ldexp_f32 v5, v5, v61
	s_nop 0
	v_cndmask_b32_e32 v5, 0, v5, vcc
	v_cmp_nlt_f32_e32 vcc, s89, v4
	s_nop 1
	v_cndmask_b32_e32 v4, v242, v5, vcc
	v_mul_f32_e32 v5, v69, v4
	ds_bpermute_b32 v5, v56, v5
	s_waitcnt lgkmcnt(0)
	v_fmac_f32_e32 v5, v69, v4
	s_and_saveexec_b64 s[12:13], s[6:7]
; %bb.62:                               ;   in Loop: Header=BB29_12 Depth=1
	ds_write_b64 v3, v[4:5] offset:512
; %bb.63:                               ;   in Loop: Header=BB29_12 Depth=1
	s_or_b64 exec, exec, s[12:13]
	s_and_saveexec_b64 s[12:13], s[4:5]
	s_cbranch_execz .LBB29_65
; %bb.64:                               ;   in Loop: Header=BB29_12 Depth=1
	v_mov_b32_e32 v3, v5
	v_accvgpr_read_b32 v4, a100
	v_accvgpr_read_b32 v5, a101
	global_store_dwordx2 v[4:5], v[2:3], off
.LBB29_65:                              ;   in Loop: Header=BB29_12 Depth=1
	s_or_b64 exec, exec, s[12:13]
.LBB29_66:                              ;   in Loop: Header=BB29_12 Depth=1
	s_or_b64 exec, exec, s[8:9]
	v_add_u32_e32 v2, v153, v166
	ds_write2_b32 v2, v138, v12 offset1:1
	ds_write2_b32 v2, v144, v58 offset0:8 offset1:9
	ds_write2_b32 v2, v149, v60 offset0:16 offset1:17
	;; [unrolled: 1-line block ×15, first 2 shown]
	s_waitcnt lgkmcnt(0)
	s_barrier
	s_and_saveexec_b64 s[70:71], s[0:1]
	s_cbranch_execz .LBB29_144
; %bb.67:                               ;   in Loop: Header=BB29_12 Depth=1
	v_add_u32_e32 v2, v231, v73
	v_or_b32_e32 v1, v70, v11
	v_cmp_gt_i32_e64 s[8:9], s36, v2
	v_cmp_gt_i32_e32 vcc, s3, v1
	s_and_b64 s[12:13], s[8:9], vcc
	v_mov_b32_e32 v1, 0x47
	s_and_saveexec_b64 s[8:9], s[12:13]
	s_cbranch_execz .LBB29_69
; %bb.68:                               ;   in Loop: Header=BB29_12 Depth=1
	ds_read2st64_b32 v[4:5], v191 offset1:1
	ds_read2st64_b32 v[52:53], v167 offset0:2 offset1:35
	ds_read2st64_b32 v[54:55], v191 offset0:33 offset1:34
	v_mad_u64_u32 v[2:3], s[12:13], v2, s37, v[70:71]
	v_lshl_add_u32 v2, v2, 7, v8
	s_waitcnt lgkmcnt(2)
	v_cvt_f32_f16_sdwa v57, v4 dst_sel:DWORD dst_unused:UNUSED_PAD src0_sel:WORD_1
	v_cvt_f32_f16_e32 v56, v4
	v_cvt_f32_f16_sdwa v61, v5 dst_sel:DWORD dst_unused:UNUSED_PAD src0_sel:WORD_1
	v_cvt_f32_f16_e32 v60, v5
	s_waitcnt lgkmcnt(0)
	v_cvt_f32_f16_sdwa v59, v54 dst_sel:DWORD dst_unused:UNUSED_PAD src0_sel:WORD_1
	v_cvt_f32_f16_e32 v58, v54
	v_cvt_f32_f16_sdwa v69, v55 dst_sel:DWORD dst_unused:UNUSED_PAD src0_sel:WORD_1
	v_cvt_f32_f16_e32 v68, v55
	v_ashrrev_i32_e32 v3, 31, v2
	v_pk_fma_f32 v[56:57], v[52:53], v[56:57], 0 op_sel_hi:[0,1,0]
	v_mov_b32_e32 v4, v53
	v_pk_fma_f32 v[52:53], v[52:53], v[60:61], 0 op_sel_hi:[0,1,0]
	v_lshl_add_u64 v[2:3], v[2:3], 3, v[108:109]
	v_pk_fma_f32 v[54:55], v[4:5], v[58:59], v[56:57] op_sel_hi:[0,1,1]
	v_pk_fma_f32 v[4:5], v[4:5], v[68:69], v[52:53] op_sel_hi:[0,1,1]
	v_mov_b32_e32 v1, 0
	global_store_dwordx2 v[2:3], v[54:55], off
	global_store_dwordx2 v[2:3], v[4:5], off offset:512
.LBB29_69:                              ;   in Loop: Header=BB29_12 Depth=1
	s_or_b64 exec, exec, s[8:9]
	v_cmp_gt_i32_e64 s[8:9], s92, v1
	s_mov_b64 s[12:13], -1
	s_and_saveexec_b64 s[72:73], s[8:9]
; %bb.70:                               ;   in Loop: Header=BB29_12 Depth=1
	v_cmp_eq_u32_e64 s[8:9], 0, v1
	s_orn2_b64 s[12:13], s[8:9], exec
; %bb.71:                               ;   in Loop: Header=BB29_12 Depth=1
	s_or_b64 exec, exec, s[72:73]
	s_and_b64 exec, exec, s[12:13]
	s_cbranch_execz .LBB29_144
; %bb.72:                               ;   in Loop: Header=BB29_12 Depth=1
	v_add_u32_e32 v2, v232, v73
	v_or_b32_e32 v1, v50, v11
	v_cmp_gt_i32_e64 s[8:9], s36, v2
	v_cmp_gt_i32_e64 s[12:13], s3, v1
	s_and_b64 s[12:13], s[8:9], s[12:13]
	v_mov_b32_e32 v1, 0x47
	s_and_saveexec_b64 s[8:9], s[12:13]
	s_cbranch_execz .LBB29_74
; %bb.73:                               ;   in Loop: Header=BB29_12 Depth=1
	ds_read2st64_b32 v[4:5], v192 offset1:1
	v_accvgpr_read_b32 v1, a49
	ds_read2st64_b32 v[52:53], v1 offset0:2 offset1:35
	ds_read2st64_b32 v[54:55], v192 offset0:33 offset1:34
	v_mad_u64_u32 v[2:3], s[12:13], v2, s37, v[50:51]
	s_waitcnt lgkmcnt(2)
	v_cvt_f32_f16_sdwa v57, v4 dst_sel:DWORD dst_unused:UNUSED_PAD src0_sel:WORD_1
	v_cvt_f32_f16_e32 v56, v4
	v_cvt_f32_f16_sdwa v61, v5 dst_sel:DWORD dst_unused:UNUSED_PAD src0_sel:WORD_1
	v_cvt_f32_f16_e32 v60, v5
	s_waitcnt lgkmcnt(0)
	v_cvt_f32_f16_sdwa v59, v54 dst_sel:DWORD dst_unused:UNUSED_PAD src0_sel:WORD_1
	v_cvt_f32_f16_e32 v58, v54
	v_cvt_f32_f16_sdwa v69, v55 dst_sel:DWORD dst_unused:UNUSED_PAD src0_sel:WORD_1
	v_cvt_f32_f16_e32 v68, v55
	v_lshl_add_u32 v2, v2, 7, v8
	v_ashrrev_i32_e32 v3, 31, v2
	v_pk_fma_f32 v[56:57], v[52:53], v[56:57], 0 op_sel_hi:[0,1,0]
	v_mov_b32_e32 v4, v53
	v_pk_fma_f32 v[52:53], v[52:53], v[60:61], 0 op_sel_hi:[0,1,0]
	v_lshl_add_u64 v[2:3], v[2:3], 3, v[108:109]
	v_pk_fma_f32 v[54:55], v[4:5], v[58:59], v[56:57] op_sel_hi:[0,1,1]
	v_pk_fma_f32 v[4:5], v[4:5], v[68:69], v[52:53] op_sel_hi:[0,1,1]
	v_mov_b32_e32 v1, 0
	global_store_dwordx2 v[2:3], v[54:55], off
	global_store_dwordx2 v[2:3], v[4:5], off offset:512
.LBB29_74:                              ;   in Loop: Header=BB29_12 Depth=1
	s_or_b64 exec, exec, s[8:9]
	v_cmp_gt_i32_e64 s[8:9], s92, v1
	s_mov_b64 s[12:13], -1
	s_and_saveexec_b64 s[72:73], s[8:9]
; %bb.75:                               ;   in Loop: Header=BB29_12 Depth=1
	v_cmp_eq_u32_e64 s[8:9], 0, v1
	s_orn2_b64 s[12:13], s[8:9], exec
; %bb.76:                               ;   in Loop: Header=BB29_12 Depth=1
	s_or_b64 exec, exec, s[72:73]
	s_and_b64 exec, exec, s[12:13]
	s_cbranch_execz .LBB29_144
; %bb.77:                               ;   in Loop: Header=BB29_12 Depth=1
	v_accvgpr_read_b32 v1, a50
	v_add_u32_e32 v2, v1, v73
	v_cmp_gt_i32_e64 s[8:9], s36, v2
	s_and_b64 s[12:13], s[8:9], vcc
	v_mov_b32_e32 v1, 0x47
	s_and_saveexec_b64 s[8:9], s[12:13]
	s_cbranch_execz .LBB29_79
; %bb.78:                               ;   in Loop: Header=BB29_12 Depth=1
	v_accvgpr_read_b32 v9, a71
	ds_read2st64_b32 v[4:5], v9 offset1:1
	v_accvgpr_read_b32 v1, a51
	ds_read2st64_b32 v[52:53], v1 offset0:2 offset1:35
	ds_read2st64_b32 v[54:55], v9 offset0:33 offset1:34
	v_mad_u64_u32 v[2:3], s[12:13], v2, s37, v[70:71]
	s_waitcnt lgkmcnt(2)
	v_cvt_f32_f16_sdwa v57, v4 dst_sel:DWORD dst_unused:UNUSED_PAD src0_sel:WORD_1
	v_cvt_f32_f16_e32 v56, v4
	v_cvt_f32_f16_sdwa v61, v5 dst_sel:DWORD dst_unused:UNUSED_PAD src0_sel:WORD_1
	v_cvt_f32_f16_e32 v60, v5
	s_waitcnt lgkmcnt(0)
	v_cvt_f32_f16_sdwa v59, v54 dst_sel:DWORD dst_unused:UNUSED_PAD src0_sel:WORD_1
	v_cvt_f32_f16_e32 v58, v54
	v_cvt_f32_f16_sdwa v69, v55 dst_sel:DWORD dst_unused:UNUSED_PAD src0_sel:WORD_1
	v_cvt_f32_f16_e32 v68, v55
	v_lshl_add_u32 v2, v2, 7, v8
	v_ashrrev_i32_e32 v3, 31, v2
	v_pk_fma_f32 v[56:57], v[52:53], v[56:57], 0 op_sel_hi:[0,1,0]
	v_mov_b32_e32 v4, v53
	v_pk_fma_f32 v[52:53], v[52:53], v[60:61], 0 op_sel_hi:[0,1,0]
	v_lshl_add_u64 v[2:3], v[2:3], 3, v[108:109]
	v_pk_fma_f32 v[54:55], v[4:5], v[58:59], v[56:57] op_sel_hi:[0,1,1]
	v_pk_fma_f32 v[4:5], v[4:5], v[68:69], v[52:53] op_sel_hi:[0,1,1]
	v_mov_b32_e32 v1, 0
	global_store_dwordx2 v[2:3], v[54:55], off
	global_store_dwordx2 v[2:3], v[4:5], off offset:512
.LBB29_79:                              ;   in Loop: Header=BB29_12 Depth=1
	s_or_b64 exec, exec, s[8:9]
	v_cmp_gt_i32_e64 s[8:9], s92, v1
	s_mov_b64 s[12:13], -1
	s_and_saveexec_b64 s[72:73], s[8:9]
; %bb.80:                               ;   in Loop: Header=BB29_12 Depth=1
	v_cmp_eq_u32_e64 s[8:9], 0, v1
	s_orn2_b64 s[12:13], s[8:9], exec
; %bb.81:                               ;   in Loop: Header=BB29_12 Depth=1
	s_or_b64 exec, exec, s[72:73]
	s_and_b64 exec, exec, s[12:13]
	s_cbranch_execz .LBB29_144
; %bb.82:                               ;   in Loop: Header=BB29_12 Depth=1
	v_accvgpr_read_b32 v1, a85
	v_accvgpr_read_b32 v4, a86
	v_add_u32_e32 v2, v1, v73
	v_or_b32_e32 v1, v4, v11
	v_cmp_gt_i32_e64 s[8:9], s36, v2
	v_cmp_gt_i32_e64 s[12:13], s3, v1
	s_and_b64 s[12:13], s[8:9], s[12:13]
	v_mov_b32_e32 v1, 0x47
	s_and_saveexec_b64 s[8:9], s[12:13]
	s_cbranch_execz .LBB29_84
; %bb.83:                               ;   in Loop: Header=BB29_12 Depth=1
	v_accvgpr_read_b32 v9, a72
	ds_read2st64_b32 v[4:5], v9 offset1:1
	v_accvgpr_read_b32 v1, a52
	ds_read2st64_b32 v[52:53], v1 offset0:2 offset1:35
	ds_read2st64_b32 v[54:55], v9 offset0:33 offset1:34
	v_accvgpr_read_b32 v12, a86
	v_mad_u64_u32 v[2:3], s[12:13], v2, s37, v[12:13]
	s_waitcnt lgkmcnt(2)
	v_cvt_f32_f16_sdwa v57, v4 dst_sel:DWORD dst_unused:UNUSED_PAD src0_sel:WORD_1
	v_cvt_f32_f16_e32 v56, v4
	v_cvt_f32_f16_sdwa v61, v5 dst_sel:DWORD dst_unused:UNUSED_PAD src0_sel:WORD_1
	v_cvt_f32_f16_e32 v60, v5
	s_waitcnt lgkmcnt(0)
	v_cvt_f32_f16_sdwa v59, v54 dst_sel:DWORD dst_unused:UNUSED_PAD src0_sel:WORD_1
	v_cvt_f32_f16_e32 v58, v54
	v_cvt_f32_f16_sdwa v69, v55 dst_sel:DWORD dst_unused:UNUSED_PAD src0_sel:WORD_1
	v_cvt_f32_f16_e32 v68, v55
	v_lshl_add_u32 v2, v2, 7, v8
	v_ashrrev_i32_e32 v3, 31, v2
	v_pk_fma_f32 v[56:57], v[52:53], v[56:57], 0 op_sel_hi:[0,1,0]
	v_mov_b32_e32 v4, v53
	v_pk_fma_f32 v[52:53], v[52:53], v[60:61], 0 op_sel_hi:[0,1,0]
	v_lshl_add_u64 v[2:3], v[2:3], 3, v[108:109]
	v_pk_fma_f32 v[54:55], v[4:5], v[58:59], v[56:57] op_sel_hi:[0,1,1]
	v_pk_fma_f32 v[4:5], v[4:5], v[68:69], v[52:53] op_sel_hi:[0,1,1]
	v_mov_b32_e32 v1, 0
	global_store_dwordx2 v[2:3], v[54:55], off
	global_store_dwordx2 v[2:3], v[4:5], off offset:512
.LBB29_84:                              ;   in Loop: Header=BB29_12 Depth=1
	s_or_b64 exec, exec, s[8:9]
	v_cmp_gt_i32_e64 s[8:9], s92, v1
	s_mov_b64 s[12:13], -1
	s_and_saveexec_b64 s[72:73], s[8:9]
; %bb.85:                               ;   in Loop: Header=BB29_12 Depth=1
	v_cmp_eq_u32_e64 s[8:9], 0, v1
	s_orn2_b64 s[12:13], s[8:9], exec
; %bb.86:                               ;   in Loop: Header=BB29_12 Depth=1
	s_or_b64 exec, exec, s[72:73]
	s_and_b64 exec, exec, s[12:13]
	s_cbranch_execz .LBB29_144
; %bb.87:                               ;   in Loop: Header=BB29_12 Depth=1
	v_accvgpr_read_b32 v1, a53
	v_add_u32_e32 v2, v1, v73
	v_cmp_gt_i32_e64 s[8:9], s36, v2
	s_and_b64 s[12:13], s[8:9], vcc
	v_mov_b32_e32 v1, 0x47
	s_and_saveexec_b64 s[8:9], s[12:13]
	s_cbranch_execz .LBB29_89
; %bb.88:                               ;   in Loop: Header=BB29_12 Depth=1
	v_accvgpr_read_b32 v9, a73
	ds_read2st64_b32 v[4:5], v9 offset1:1
	v_accvgpr_read_b32 v1, a54
	ds_read2st64_b32 v[52:53], v1 offset0:2 offset1:35
	ds_read2st64_b32 v[54:55], v9 offset0:33 offset1:34
	v_mad_u64_u32 v[2:3], s[12:13], v2, s37, v[70:71]
	s_waitcnt lgkmcnt(2)
	v_cvt_f32_f16_sdwa v57, v4 dst_sel:DWORD dst_unused:UNUSED_PAD src0_sel:WORD_1
	v_cvt_f32_f16_e32 v56, v4
	v_cvt_f32_f16_sdwa v61, v5 dst_sel:DWORD dst_unused:UNUSED_PAD src0_sel:WORD_1
	v_cvt_f32_f16_e32 v60, v5
	s_waitcnt lgkmcnt(0)
	v_cvt_f32_f16_sdwa v59, v54 dst_sel:DWORD dst_unused:UNUSED_PAD src0_sel:WORD_1
	v_cvt_f32_f16_e32 v58, v54
	v_cvt_f32_f16_sdwa v69, v55 dst_sel:DWORD dst_unused:UNUSED_PAD src0_sel:WORD_1
	v_cvt_f32_f16_e32 v68, v55
	v_lshl_add_u32 v2, v2, 7, v8
	v_ashrrev_i32_e32 v3, 31, v2
	v_pk_fma_f32 v[56:57], v[52:53], v[56:57], 0 op_sel_hi:[0,1,0]
	v_mov_b32_e32 v4, v53
	v_pk_fma_f32 v[52:53], v[52:53], v[60:61], 0 op_sel_hi:[0,1,0]
	v_lshl_add_u64 v[2:3], v[2:3], 3, v[108:109]
	v_pk_fma_f32 v[54:55], v[4:5], v[58:59], v[56:57] op_sel_hi:[0,1,1]
	v_pk_fma_f32 v[4:5], v[4:5], v[68:69], v[52:53] op_sel_hi:[0,1,1]
	v_mov_b32_e32 v1, 0
	global_store_dwordx2 v[2:3], v[54:55], off
	global_store_dwordx2 v[2:3], v[4:5], off offset:512
.LBB29_89:                              ;   in Loop: Header=BB29_12 Depth=1
	s_or_b64 exec, exec, s[8:9]
	v_cmp_gt_i32_e64 s[8:9], s92, v1
	s_mov_b64 s[12:13], -1
	s_and_saveexec_b64 s[72:73], s[8:9]
; %bb.90:                               ;   in Loop: Header=BB29_12 Depth=1
	v_cmp_eq_u32_e64 s[8:9], 0, v1
	s_orn2_b64 s[12:13], s[8:9], exec
; %bb.91:                               ;   in Loop: Header=BB29_12 Depth=1
	s_or_b64 exec, exec, s[72:73]
	s_and_b64 exec, exec, s[12:13]
	s_cbranch_execz .LBB29_144
; %bb.92:                               ;   in Loop: Header=BB29_12 Depth=1
	v_accvgpr_read_b32 v1, a87
	v_accvgpr_read_b32 v4, a88
	v_add_u32_e32 v2, v1, v73
	v_or_b32_e32 v1, v4, v11
	v_cmp_gt_i32_e64 s[8:9], s36, v2
	v_cmp_gt_i32_e64 s[12:13], s3, v1
	s_and_b64 s[12:13], s[8:9], s[12:13]
	v_mov_b32_e32 v1, 0x47
	s_and_saveexec_b64 s[8:9], s[12:13]
	s_cbranch_execz .LBB29_94
; %bb.93:                               ;   in Loop: Header=BB29_12 Depth=1
	v_accvgpr_read_b32 v9, a74
	ds_read2st64_b32 v[4:5], v9 offset1:1
	v_accvgpr_read_b32 v1, a55
	ds_read2st64_b32 v[52:53], v1 offset0:2 offset1:35
	ds_read2st64_b32 v[54:55], v9 offset0:33 offset1:34
	v_accvgpr_read_b32 v12, a88
	v_mad_u64_u32 v[2:3], s[12:13], v2, s37, v[12:13]
	s_waitcnt lgkmcnt(2)
	v_cvt_f32_f16_sdwa v57, v4 dst_sel:DWORD dst_unused:UNUSED_PAD src0_sel:WORD_1
	v_cvt_f32_f16_e32 v56, v4
	v_cvt_f32_f16_sdwa v61, v5 dst_sel:DWORD dst_unused:UNUSED_PAD src0_sel:WORD_1
	v_cvt_f32_f16_e32 v60, v5
	s_waitcnt lgkmcnt(0)
	v_cvt_f32_f16_sdwa v59, v54 dst_sel:DWORD dst_unused:UNUSED_PAD src0_sel:WORD_1
	v_cvt_f32_f16_e32 v58, v54
	v_cvt_f32_f16_sdwa v69, v55 dst_sel:DWORD dst_unused:UNUSED_PAD src0_sel:WORD_1
	v_cvt_f32_f16_e32 v68, v55
	v_lshl_add_u32 v2, v2, 7, v8
	v_ashrrev_i32_e32 v3, 31, v2
	v_pk_fma_f32 v[56:57], v[52:53], v[56:57], 0 op_sel_hi:[0,1,0]
	v_mov_b32_e32 v4, v53
	v_pk_fma_f32 v[52:53], v[52:53], v[60:61], 0 op_sel_hi:[0,1,0]
	v_lshl_add_u64 v[2:3], v[2:3], 3, v[108:109]
	v_pk_fma_f32 v[54:55], v[4:5], v[58:59], v[56:57] op_sel_hi:[0,1,1]
	v_pk_fma_f32 v[4:5], v[4:5], v[68:69], v[52:53] op_sel_hi:[0,1,1]
	v_mov_b32_e32 v1, 0
	global_store_dwordx2 v[2:3], v[54:55], off
	global_store_dwordx2 v[2:3], v[4:5], off offset:512
.LBB29_94:                              ;   in Loop: Header=BB29_12 Depth=1
	s_or_b64 exec, exec, s[8:9]
	v_cmp_gt_i32_e64 s[8:9], s92, v1
	s_mov_b64 s[12:13], -1
	s_and_saveexec_b64 s[72:73], s[8:9]
; %bb.95:                               ;   in Loop: Header=BB29_12 Depth=1
	v_cmp_eq_u32_e64 s[8:9], 0, v1
	s_orn2_b64 s[12:13], s[8:9], exec
; %bb.96:                               ;   in Loop: Header=BB29_12 Depth=1
	s_or_b64 exec, exec, s[72:73]
	s_and_b64 exec, exec, s[12:13]
	s_cbranch_execz .LBB29_144
; %bb.97:                               ;   in Loop: Header=BB29_12 Depth=1
	v_accvgpr_read_b32 v1, a56
	v_add_u32_e32 v2, v1, v73
	v_cmp_gt_i32_e64 s[8:9], s36, v2
	s_and_b64 s[12:13], s[8:9], vcc
	v_mov_b32_e32 v1, 0x47
	s_and_saveexec_b64 s[8:9], s[12:13]
	s_cbranch_execz .LBB29_99
; %bb.98:                               ;   in Loop: Header=BB29_12 Depth=1
	v_accvgpr_read_b32 v9, a75
	ds_read2st64_b32 v[4:5], v9 offset1:1
	v_accvgpr_read_b32 v1, a57
	ds_read2st64_b32 v[52:53], v1 offset0:2 offset1:35
	ds_read2st64_b32 v[54:55], v9 offset0:33 offset1:34
	v_mad_u64_u32 v[2:3], s[12:13], v2, s37, v[70:71]
	s_waitcnt lgkmcnt(2)
	v_cvt_f32_f16_sdwa v57, v4 dst_sel:DWORD dst_unused:UNUSED_PAD src0_sel:WORD_1
	v_cvt_f32_f16_e32 v56, v4
	v_cvt_f32_f16_sdwa v61, v5 dst_sel:DWORD dst_unused:UNUSED_PAD src0_sel:WORD_1
	v_cvt_f32_f16_e32 v60, v5
	s_waitcnt lgkmcnt(0)
	v_cvt_f32_f16_sdwa v59, v54 dst_sel:DWORD dst_unused:UNUSED_PAD src0_sel:WORD_1
	v_cvt_f32_f16_e32 v58, v54
	v_cvt_f32_f16_sdwa v69, v55 dst_sel:DWORD dst_unused:UNUSED_PAD src0_sel:WORD_1
	v_cvt_f32_f16_e32 v68, v55
	v_lshl_add_u32 v2, v2, 7, v8
	v_ashrrev_i32_e32 v3, 31, v2
	v_pk_fma_f32 v[56:57], v[52:53], v[56:57], 0 op_sel_hi:[0,1,0]
	v_mov_b32_e32 v4, v53
	v_pk_fma_f32 v[52:53], v[52:53], v[60:61], 0 op_sel_hi:[0,1,0]
	v_lshl_add_u64 v[2:3], v[2:3], 3, v[108:109]
	v_pk_fma_f32 v[54:55], v[4:5], v[58:59], v[56:57] op_sel_hi:[0,1,1]
	v_pk_fma_f32 v[4:5], v[4:5], v[68:69], v[52:53] op_sel_hi:[0,1,1]
	v_mov_b32_e32 v1, 0
	global_store_dwordx2 v[2:3], v[54:55], off
	global_store_dwordx2 v[2:3], v[4:5], off offset:512
.LBB29_99:                              ;   in Loop: Header=BB29_12 Depth=1
	s_or_b64 exec, exec, s[8:9]
	v_cmp_gt_i32_e64 s[8:9], s92, v1
	s_mov_b64 s[12:13], -1
	s_and_saveexec_b64 s[72:73], s[8:9]
; %bb.100:                              ;   in Loop: Header=BB29_12 Depth=1
	v_cmp_eq_u32_e64 s[8:9], 0, v1
	s_orn2_b64 s[12:13], s[8:9], exec
; %bb.101:                              ;   in Loop: Header=BB29_12 Depth=1
	s_or_b64 exec, exec, s[72:73]
	s_and_b64 exec, exec, s[12:13]
	s_cbranch_execz .LBB29_144
; %bb.102:                              ;   in Loop: Header=BB29_12 Depth=1
	v_accvgpr_read_b32 v1, a89
	v_accvgpr_read_b32 v4, a90
	v_add_u32_e32 v2, v1, v73
	v_or_b32_e32 v1, v4, v11
	v_cmp_gt_i32_e64 s[8:9], s36, v2
	v_cmp_gt_i32_e64 s[12:13], s3, v1
	s_and_b64 s[12:13], s[8:9], s[12:13]
	v_mov_b32_e32 v1, 0x47
	s_and_saveexec_b64 s[8:9], s[12:13]
	s_cbranch_execz .LBB29_104
; %bb.103:                              ;   in Loop: Header=BB29_12 Depth=1
	v_accvgpr_read_b32 v9, a76
	ds_read2st64_b32 v[4:5], v9 offset1:1
	v_accvgpr_read_b32 v1, a58
	ds_read2st64_b32 v[52:53], v1 offset0:2 offset1:35
	ds_read2st64_b32 v[54:55], v9 offset0:33 offset1:34
	v_accvgpr_read_b32 v12, a90
	v_mad_u64_u32 v[2:3], s[12:13], v2, s37, v[12:13]
	s_waitcnt lgkmcnt(2)
	v_cvt_f32_f16_sdwa v57, v4 dst_sel:DWORD dst_unused:UNUSED_PAD src0_sel:WORD_1
	v_cvt_f32_f16_e32 v56, v4
	v_cvt_f32_f16_sdwa v61, v5 dst_sel:DWORD dst_unused:UNUSED_PAD src0_sel:WORD_1
	v_cvt_f32_f16_e32 v60, v5
	s_waitcnt lgkmcnt(0)
	v_cvt_f32_f16_sdwa v59, v54 dst_sel:DWORD dst_unused:UNUSED_PAD src0_sel:WORD_1
	v_cvt_f32_f16_e32 v58, v54
	v_cvt_f32_f16_sdwa v69, v55 dst_sel:DWORD dst_unused:UNUSED_PAD src0_sel:WORD_1
	v_cvt_f32_f16_e32 v68, v55
	v_lshl_add_u32 v2, v2, 7, v8
	v_ashrrev_i32_e32 v3, 31, v2
	v_pk_fma_f32 v[56:57], v[52:53], v[56:57], 0 op_sel_hi:[0,1,0]
	v_mov_b32_e32 v4, v53
	v_pk_fma_f32 v[52:53], v[52:53], v[60:61], 0 op_sel_hi:[0,1,0]
	v_lshl_add_u64 v[2:3], v[2:3], 3, v[108:109]
	v_pk_fma_f32 v[54:55], v[4:5], v[58:59], v[56:57] op_sel_hi:[0,1,1]
	v_pk_fma_f32 v[4:5], v[4:5], v[68:69], v[52:53] op_sel_hi:[0,1,1]
	v_mov_b32_e32 v1, 0
	global_store_dwordx2 v[2:3], v[54:55], off
	global_store_dwordx2 v[2:3], v[4:5], off offset:512
.LBB29_104:                             ;   in Loop: Header=BB29_12 Depth=1
	s_or_b64 exec, exec, s[8:9]
	v_cmp_gt_i32_e64 s[8:9], s92, v1
	s_mov_b64 s[12:13], -1
	s_and_saveexec_b64 s[72:73], s[8:9]
; %bb.105:                              ;   in Loop: Header=BB29_12 Depth=1
	v_cmp_eq_u32_e64 s[8:9], 0, v1
	s_orn2_b64 s[12:13], s[8:9], exec
; %bb.106:                              ;   in Loop: Header=BB29_12 Depth=1
	s_or_b64 exec, exec, s[72:73]
	s_and_b64 exec, exec, s[12:13]
	s_cbranch_execz .LBB29_144
; %bb.107:                              ;   in Loop: Header=BB29_12 Depth=1
	v_accvgpr_read_b32 v1, a59
	v_add_u32_e32 v2, v1, v73
	v_cmp_gt_i32_e64 s[8:9], s36, v2
	s_and_b64 s[12:13], s[8:9], vcc
	v_mov_b32_e32 v1, 0x47
	s_and_saveexec_b64 s[8:9], s[12:13]
	s_cbranch_execz .LBB29_109
; %bb.108:                              ;   in Loop: Header=BB29_12 Depth=1
	v_accvgpr_read_b32 v9, a77
	ds_read2st64_b32 v[4:5], v9 offset1:1
	v_accvgpr_read_b32 v1, a60
	ds_read2st64_b32 v[52:53], v1 offset0:2 offset1:35
	ds_read2st64_b32 v[54:55], v9 offset0:33 offset1:34
	v_mad_u64_u32 v[2:3], s[12:13], v2, s37, v[70:71]
	s_waitcnt lgkmcnt(2)
	v_cvt_f32_f16_sdwa v57, v4 dst_sel:DWORD dst_unused:UNUSED_PAD src0_sel:WORD_1
	v_cvt_f32_f16_e32 v56, v4
	v_cvt_f32_f16_sdwa v61, v5 dst_sel:DWORD dst_unused:UNUSED_PAD src0_sel:WORD_1
	v_cvt_f32_f16_e32 v60, v5
	s_waitcnt lgkmcnt(0)
	v_cvt_f32_f16_sdwa v59, v54 dst_sel:DWORD dst_unused:UNUSED_PAD src0_sel:WORD_1
	v_cvt_f32_f16_e32 v58, v54
	v_cvt_f32_f16_sdwa v69, v55 dst_sel:DWORD dst_unused:UNUSED_PAD src0_sel:WORD_1
	v_cvt_f32_f16_e32 v68, v55
	v_lshl_add_u32 v2, v2, 7, v8
	v_ashrrev_i32_e32 v3, 31, v2
	v_pk_fma_f32 v[56:57], v[52:53], v[56:57], 0 op_sel_hi:[0,1,0]
	v_mov_b32_e32 v4, v53
	v_pk_fma_f32 v[52:53], v[52:53], v[60:61], 0 op_sel_hi:[0,1,0]
	v_lshl_add_u64 v[2:3], v[2:3], 3, v[108:109]
	v_pk_fma_f32 v[54:55], v[4:5], v[58:59], v[56:57] op_sel_hi:[0,1,1]
	v_pk_fma_f32 v[4:5], v[4:5], v[68:69], v[52:53] op_sel_hi:[0,1,1]
	v_mov_b32_e32 v1, 0
	global_store_dwordx2 v[2:3], v[54:55], off
	global_store_dwordx2 v[2:3], v[4:5], off offset:512
.LBB29_109:                             ;   in Loop: Header=BB29_12 Depth=1
	s_or_b64 exec, exec, s[8:9]
	v_cmp_gt_i32_e64 s[8:9], s92, v1
	s_mov_b64 s[12:13], -1
	s_and_saveexec_b64 s[72:73], s[8:9]
; %bb.110:                              ;   in Loop: Header=BB29_12 Depth=1
	v_cmp_eq_u32_e64 s[8:9], 0, v1
	s_orn2_b64 s[12:13], s[8:9], exec
; %bb.111:                              ;   in Loop: Header=BB29_12 Depth=1
	s_or_b64 exec, exec, s[72:73]
	s_and_b64 exec, exec, s[12:13]
	s_cbranch_execz .LBB29_144
; %bb.112:                              ;   in Loop: Header=BB29_12 Depth=1
	v_accvgpr_read_b32 v1, a91
	v_accvgpr_read_b32 v4, a92
	v_add_u32_e32 v2, v1, v73
	v_or_b32_e32 v1, v4, v11
	v_cmp_gt_i32_e64 s[8:9], s36, v2
	v_cmp_gt_i32_e64 s[12:13], s3, v1
	s_and_b64 s[12:13], s[8:9], s[12:13]
	v_mov_b32_e32 v1, 0x47
	s_and_saveexec_b64 s[8:9], s[12:13]
	s_cbranch_execz .LBB29_114
; %bb.113:                              ;   in Loop: Header=BB29_12 Depth=1
	v_accvgpr_read_b32 v9, a78
	ds_read2st64_b32 v[4:5], v9 offset1:1
	v_accvgpr_read_b32 v1, a61
	ds_read2st64_b32 v[52:53], v1 offset0:2 offset1:35
	ds_read2st64_b32 v[54:55], v9 offset0:33 offset1:34
	v_accvgpr_read_b32 v12, a92
	v_mad_u64_u32 v[2:3], s[12:13], v2, s37, v[12:13]
	s_waitcnt lgkmcnt(2)
	v_cvt_f32_f16_sdwa v57, v4 dst_sel:DWORD dst_unused:UNUSED_PAD src0_sel:WORD_1
	v_cvt_f32_f16_e32 v56, v4
	v_cvt_f32_f16_sdwa v61, v5 dst_sel:DWORD dst_unused:UNUSED_PAD src0_sel:WORD_1
	v_cvt_f32_f16_e32 v60, v5
	s_waitcnt lgkmcnt(0)
	v_cvt_f32_f16_sdwa v59, v54 dst_sel:DWORD dst_unused:UNUSED_PAD src0_sel:WORD_1
	v_cvt_f32_f16_e32 v58, v54
	v_cvt_f32_f16_sdwa v69, v55 dst_sel:DWORD dst_unused:UNUSED_PAD src0_sel:WORD_1
	v_cvt_f32_f16_e32 v68, v55
	v_lshl_add_u32 v2, v2, 7, v8
	v_ashrrev_i32_e32 v3, 31, v2
	v_pk_fma_f32 v[56:57], v[52:53], v[56:57], 0 op_sel_hi:[0,1,0]
	v_mov_b32_e32 v4, v53
	v_pk_fma_f32 v[52:53], v[52:53], v[60:61], 0 op_sel_hi:[0,1,0]
	v_lshl_add_u64 v[2:3], v[2:3], 3, v[108:109]
	v_pk_fma_f32 v[54:55], v[4:5], v[58:59], v[56:57] op_sel_hi:[0,1,1]
	v_pk_fma_f32 v[4:5], v[4:5], v[68:69], v[52:53] op_sel_hi:[0,1,1]
	v_mov_b32_e32 v1, 0
	global_store_dwordx2 v[2:3], v[54:55], off
	global_store_dwordx2 v[2:3], v[4:5], off offset:512
.LBB29_114:                             ;   in Loop: Header=BB29_12 Depth=1
	s_or_b64 exec, exec, s[8:9]
	v_cmp_gt_i32_e64 s[8:9], s92, v1
	s_mov_b64 s[12:13], -1
	s_and_saveexec_b64 s[72:73], s[8:9]
; %bb.115:                              ;   in Loop: Header=BB29_12 Depth=1
	v_cmp_eq_u32_e64 s[8:9], 0, v1
	s_orn2_b64 s[12:13], s[8:9], exec
; %bb.116:                              ;   in Loop: Header=BB29_12 Depth=1
	s_or_b64 exec, exec, s[72:73]
	s_and_b64 exec, exec, s[12:13]
	s_cbranch_execz .LBB29_144
; %bb.117:                              ;   in Loop: Header=BB29_12 Depth=1
	v_accvgpr_read_b32 v1, a62
	v_add_u32_e32 v2, v1, v73
	v_cmp_gt_i32_e64 s[8:9], s36, v2
	s_and_b64 s[12:13], s[8:9], vcc
	v_mov_b32_e32 v1, 0x47
	s_and_saveexec_b64 s[8:9], s[12:13]
	s_cbranch_execz .LBB29_119
; %bb.118:                              ;   in Loop: Header=BB29_12 Depth=1
	v_accvgpr_read_b32 v9, a79
	ds_read2st64_b32 v[4:5], v9 offset1:1
	v_accvgpr_read_b32 v1, a63
	ds_read2st64_b32 v[52:53], v1 offset0:2 offset1:35
	ds_read2st64_b32 v[54:55], v9 offset0:33 offset1:34
	v_mad_u64_u32 v[2:3], s[12:13], v2, s37, v[70:71]
	s_waitcnt lgkmcnt(2)
	v_cvt_f32_f16_sdwa v57, v4 dst_sel:DWORD dst_unused:UNUSED_PAD src0_sel:WORD_1
	v_cvt_f32_f16_e32 v56, v4
	v_cvt_f32_f16_sdwa v61, v5 dst_sel:DWORD dst_unused:UNUSED_PAD src0_sel:WORD_1
	v_cvt_f32_f16_e32 v60, v5
	s_waitcnt lgkmcnt(0)
	v_cvt_f32_f16_sdwa v59, v54 dst_sel:DWORD dst_unused:UNUSED_PAD src0_sel:WORD_1
	v_cvt_f32_f16_e32 v58, v54
	v_cvt_f32_f16_sdwa v69, v55 dst_sel:DWORD dst_unused:UNUSED_PAD src0_sel:WORD_1
	v_cvt_f32_f16_e32 v68, v55
	v_lshl_add_u32 v2, v2, 7, v8
	v_ashrrev_i32_e32 v3, 31, v2
	v_pk_fma_f32 v[56:57], v[52:53], v[56:57], 0 op_sel_hi:[0,1,0]
	v_mov_b32_e32 v4, v53
	v_pk_fma_f32 v[52:53], v[52:53], v[60:61], 0 op_sel_hi:[0,1,0]
	v_lshl_add_u64 v[2:3], v[2:3], 3, v[108:109]
	v_pk_fma_f32 v[54:55], v[4:5], v[58:59], v[56:57] op_sel_hi:[0,1,1]
	v_pk_fma_f32 v[4:5], v[4:5], v[68:69], v[52:53] op_sel_hi:[0,1,1]
	v_mov_b32_e32 v1, 0
	global_store_dwordx2 v[2:3], v[54:55], off
	global_store_dwordx2 v[2:3], v[4:5], off offset:512
.LBB29_119:                             ;   in Loop: Header=BB29_12 Depth=1
	s_or_b64 exec, exec, s[8:9]
	v_cmp_gt_i32_e64 s[8:9], s92, v1
	s_mov_b64 s[12:13], -1
	s_and_saveexec_b64 s[72:73], s[8:9]
; %bb.120:                              ;   in Loop: Header=BB29_12 Depth=1
	v_cmp_eq_u32_e64 s[8:9], 0, v1
	s_orn2_b64 s[12:13], s[8:9], exec
; %bb.121:                              ;   in Loop: Header=BB29_12 Depth=1
	s_or_b64 exec, exec, s[72:73]
	s_and_b64 exec, exec, s[12:13]
	s_cbranch_execz .LBB29_144
; %bb.122:                              ;   in Loop: Header=BB29_12 Depth=1
	v_accvgpr_read_b32 v1, a93
	v_accvgpr_read_b32 v4, a94
	v_add_u32_e32 v2, v1, v73
	v_or_b32_e32 v1, v4, v11
	v_cmp_gt_i32_e64 s[8:9], s36, v2
	v_cmp_gt_i32_e64 s[12:13], s3, v1
	s_and_b64 s[12:13], s[8:9], s[12:13]
	v_mov_b32_e32 v1, 0x47
	s_and_saveexec_b64 s[8:9], s[12:13]
	s_cbranch_execz .LBB29_124
; %bb.123:                              ;   in Loop: Header=BB29_12 Depth=1
	v_accvgpr_read_b32 v9, a80
	ds_read2st64_b32 v[4:5], v9 offset1:1
	v_accvgpr_read_b32 v1, a64
	ds_read2st64_b32 v[52:53], v1 offset0:2 offset1:35
	ds_read2st64_b32 v[54:55], v9 offset0:33 offset1:34
	v_accvgpr_read_b32 v12, a94
	v_mad_u64_u32 v[2:3], s[12:13], v2, s37, v[12:13]
	s_waitcnt lgkmcnt(2)
	v_cvt_f32_f16_sdwa v57, v4 dst_sel:DWORD dst_unused:UNUSED_PAD src0_sel:WORD_1
	v_cvt_f32_f16_e32 v56, v4
	v_cvt_f32_f16_sdwa v61, v5 dst_sel:DWORD dst_unused:UNUSED_PAD src0_sel:WORD_1
	v_cvt_f32_f16_e32 v60, v5
	s_waitcnt lgkmcnt(0)
	v_cvt_f32_f16_sdwa v59, v54 dst_sel:DWORD dst_unused:UNUSED_PAD src0_sel:WORD_1
	v_cvt_f32_f16_e32 v58, v54
	v_cvt_f32_f16_sdwa v69, v55 dst_sel:DWORD dst_unused:UNUSED_PAD src0_sel:WORD_1
	v_cvt_f32_f16_e32 v68, v55
	v_lshl_add_u32 v2, v2, 7, v8
	v_ashrrev_i32_e32 v3, 31, v2
	v_pk_fma_f32 v[56:57], v[52:53], v[56:57], 0 op_sel_hi:[0,1,0]
	v_mov_b32_e32 v4, v53
	v_pk_fma_f32 v[52:53], v[52:53], v[60:61], 0 op_sel_hi:[0,1,0]
	v_lshl_add_u64 v[2:3], v[2:3], 3, v[108:109]
	v_pk_fma_f32 v[54:55], v[4:5], v[58:59], v[56:57] op_sel_hi:[0,1,1]
	v_pk_fma_f32 v[4:5], v[4:5], v[68:69], v[52:53] op_sel_hi:[0,1,1]
	v_mov_b32_e32 v1, 0
	global_store_dwordx2 v[2:3], v[54:55], off
	global_store_dwordx2 v[2:3], v[4:5], off offset:512
.LBB29_124:                             ;   in Loop: Header=BB29_12 Depth=1
	s_or_b64 exec, exec, s[8:9]
	v_cmp_gt_i32_e64 s[8:9], s92, v1
	s_mov_b64 s[12:13], -1
	s_and_saveexec_b64 s[72:73], s[8:9]
; %bb.125:                              ;   in Loop: Header=BB29_12 Depth=1
	v_cmp_eq_u32_e64 s[8:9], 0, v1
	s_orn2_b64 s[12:13], s[8:9], exec
; %bb.126:                              ;   in Loop: Header=BB29_12 Depth=1
	s_or_b64 exec, exec, s[72:73]
	s_and_b64 exec, exec, s[12:13]
	s_cbranch_execz .LBB29_144
; %bb.127:                              ;   in Loop: Header=BB29_12 Depth=1
	v_accvgpr_read_b32 v1, a65
	v_add_u32_e32 v2, v1, v73
	v_cmp_gt_i32_e64 s[8:9], s36, v2
	s_and_b64 s[12:13], s[8:9], vcc
	v_mov_b32_e32 v1, 0x47
	s_and_saveexec_b64 s[8:9], s[12:13]
	s_cbranch_execz .LBB29_129
; %bb.128:                              ;   in Loop: Header=BB29_12 Depth=1
	v_accvgpr_read_b32 v9, a81
	ds_read2st64_b32 v[4:5], v9 offset1:1
	v_accvgpr_read_b32 v1, a66
	ds_read2st64_b32 v[52:53], v1 offset0:2 offset1:35
	ds_read2st64_b32 v[54:55], v9 offset0:33 offset1:34
	v_mad_u64_u32 v[2:3], s[12:13], v2, s37, v[70:71]
	s_waitcnt lgkmcnt(2)
	v_cvt_f32_f16_sdwa v57, v4 dst_sel:DWORD dst_unused:UNUSED_PAD src0_sel:WORD_1
	v_cvt_f32_f16_e32 v56, v4
	v_cvt_f32_f16_sdwa v61, v5 dst_sel:DWORD dst_unused:UNUSED_PAD src0_sel:WORD_1
	v_cvt_f32_f16_e32 v60, v5
	s_waitcnt lgkmcnt(0)
	v_cvt_f32_f16_sdwa v59, v54 dst_sel:DWORD dst_unused:UNUSED_PAD src0_sel:WORD_1
	v_cvt_f32_f16_e32 v58, v54
	v_cvt_f32_f16_sdwa v69, v55 dst_sel:DWORD dst_unused:UNUSED_PAD src0_sel:WORD_1
	v_cvt_f32_f16_e32 v68, v55
	v_lshl_add_u32 v2, v2, 7, v8
	v_ashrrev_i32_e32 v3, 31, v2
	v_pk_fma_f32 v[56:57], v[52:53], v[56:57], 0 op_sel_hi:[0,1,0]
	v_mov_b32_e32 v4, v53
	v_pk_fma_f32 v[52:53], v[52:53], v[60:61], 0 op_sel_hi:[0,1,0]
	v_lshl_add_u64 v[2:3], v[2:3], 3, v[108:109]
	v_pk_fma_f32 v[54:55], v[4:5], v[58:59], v[56:57] op_sel_hi:[0,1,1]
	v_pk_fma_f32 v[4:5], v[4:5], v[68:69], v[52:53] op_sel_hi:[0,1,1]
	v_mov_b32_e32 v1, 0
	global_store_dwordx2 v[2:3], v[54:55], off
	global_store_dwordx2 v[2:3], v[4:5], off offset:512
.LBB29_129:                             ;   in Loop: Header=BB29_12 Depth=1
	s_or_b64 exec, exec, s[8:9]
	v_cmp_gt_i32_e64 s[8:9], s92, v1
	s_mov_b64 s[12:13], -1
	s_and_saveexec_b64 s[72:73], s[8:9]
; %bb.130:                              ;   in Loop: Header=BB29_12 Depth=1
	v_cmp_eq_u32_e64 s[8:9], 0, v1
	s_orn2_b64 s[12:13], s[8:9], exec
; %bb.131:                              ;   in Loop: Header=BB29_12 Depth=1
	s_or_b64 exec, exec, s[72:73]
	s_and_b64 exec, exec, s[12:13]
	s_cbranch_execz .LBB29_144
; %bb.132:                              ;   in Loop: Header=BB29_12 Depth=1
	v_accvgpr_read_b32 v1, a95
	v_accvgpr_read_b32 v4, a96
	v_add_u32_e32 v2, v1, v73
	v_or_b32_e32 v1, v4, v11
	v_cmp_gt_i32_e64 s[8:9], s36, v2
	v_cmp_gt_i32_e64 s[12:13], s3, v1
	s_and_b64 s[12:13], s[8:9], s[12:13]
	v_mov_b32_e32 v1, 0x47
	s_and_saveexec_b64 s[8:9], s[12:13]
	s_cbranch_execz .LBB29_134
; %bb.133:                              ;   in Loop: Header=BB29_12 Depth=1
	v_accvgpr_read_b32 v9, a82
	ds_read2st64_b32 v[4:5], v9 offset1:1
	v_accvgpr_read_b32 v1, a67
	ds_read2st64_b32 v[52:53], v1 offset0:2 offset1:35
	ds_read2st64_b32 v[54:55], v9 offset0:33 offset1:34
	v_accvgpr_read_b32 v12, a96
	v_mad_u64_u32 v[2:3], s[12:13], v2, s37, v[12:13]
	s_waitcnt lgkmcnt(2)
	v_cvt_f32_f16_sdwa v57, v4 dst_sel:DWORD dst_unused:UNUSED_PAD src0_sel:WORD_1
	v_cvt_f32_f16_e32 v56, v4
	v_cvt_f32_f16_sdwa v61, v5 dst_sel:DWORD dst_unused:UNUSED_PAD src0_sel:WORD_1
	v_cvt_f32_f16_e32 v60, v5
	s_waitcnt lgkmcnt(0)
	v_cvt_f32_f16_sdwa v59, v54 dst_sel:DWORD dst_unused:UNUSED_PAD src0_sel:WORD_1
	v_cvt_f32_f16_e32 v58, v54
	v_cvt_f32_f16_sdwa v69, v55 dst_sel:DWORD dst_unused:UNUSED_PAD src0_sel:WORD_1
	v_cvt_f32_f16_e32 v68, v55
	v_lshl_add_u32 v2, v2, 7, v8
	v_ashrrev_i32_e32 v3, 31, v2
	v_pk_fma_f32 v[56:57], v[52:53], v[56:57], 0 op_sel_hi:[0,1,0]
	v_mov_b32_e32 v4, v53
	v_pk_fma_f32 v[52:53], v[52:53], v[60:61], 0 op_sel_hi:[0,1,0]
	v_lshl_add_u64 v[2:3], v[2:3], 3, v[108:109]
	v_pk_fma_f32 v[54:55], v[4:5], v[58:59], v[56:57] op_sel_hi:[0,1,1]
	v_pk_fma_f32 v[4:5], v[4:5], v[68:69], v[52:53] op_sel_hi:[0,1,1]
	v_mov_b32_e32 v1, 0
	global_store_dwordx2 v[2:3], v[54:55], off
	global_store_dwordx2 v[2:3], v[4:5], off offset:512
.LBB29_134:                             ;   in Loop: Header=BB29_12 Depth=1
	s_or_b64 exec, exec, s[8:9]
	v_cmp_gt_i32_e64 s[8:9], s92, v1
	s_mov_b64 s[12:13], -1
	s_and_saveexec_b64 s[72:73], s[8:9]
; %bb.135:                              ;   in Loop: Header=BB29_12 Depth=1
	v_cmp_eq_u32_e64 s[8:9], 0, v1
	s_orn2_b64 s[12:13], s[8:9], exec
; %bb.136:                              ;   in Loop: Header=BB29_12 Depth=1
	s_or_b64 exec, exec, s[72:73]
	s_and_b64 exec, exec, s[12:13]
	s_cbranch_execz .LBB29_144
; %bb.137:                              ;   in Loop: Header=BB29_12 Depth=1
	v_accvgpr_read_b32 v1, a68
	v_add_u32_e32 v2, v1, v73
	v_cmp_gt_i32_e64 s[8:9], s36, v2
	s_and_b64 s[12:13], s[8:9], vcc
	v_mov_b32_e32 v1, 0x47
	s_and_saveexec_b64 s[8:9], s[12:13]
	s_cbranch_execz .LBB29_139
; %bb.138:                              ;   in Loop: Header=BB29_12 Depth=1
	v_accvgpr_read_b32 v9, a83
	ds_read2st64_b32 v[4:5], v9 offset1:1
	v_accvgpr_read_b32 v1, a69
	ds_read2st64_b32 v[52:53], v1 offset0:2 offset1:35
	ds_read2st64_b32 v[54:55], v9 offset0:33 offset1:34
	v_mad_u64_u32 v[2:3], s[12:13], v2, s37, v[70:71]
	s_waitcnt lgkmcnt(2)
	v_cvt_f32_f16_sdwa v57, v4 dst_sel:DWORD dst_unused:UNUSED_PAD src0_sel:WORD_1
	v_cvt_f32_f16_e32 v56, v4
	v_cvt_f32_f16_sdwa v61, v5 dst_sel:DWORD dst_unused:UNUSED_PAD src0_sel:WORD_1
	v_cvt_f32_f16_e32 v60, v5
	s_waitcnt lgkmcnt(0)
	v_cvt_f32_f16_sdwa v59, v54 dst_sel:DWORD dst_unused:UNUSED_PAD src0_sel:WORD_1
	v_cvt_f32_f16_e32 v58, v54
	v_cvt_f32_f16_sdwa v69, v55 dst_sel:DWORD dst_unused:UNUSED_PAD src0_sel:WORD_1
	v_cvt_f32_f16_e32 v68, v55
	v_lshl_add_u32 v2, v2, 7, v8
	v_ashrrev_i32_e32 v3, 31, v2
	v_pk_fma_f32 v[56:57], v[52:53], v[56:57], 0 op_sel_hi:[0,1,0]
	v_mov_b32_e32 v4, v53
	v_pk_fma_f32 v[52:53], v[52:53], v[60:61], 0 op_sel_hi:[0,1,0]
	v_lshl_add_u64 v[2:3], v[2:3], 3, v[108:109]
	v_pk_fma_f32 v[54:55], v[4:5], v[58:59], v[56:57] op_sel_hi:[0,1,1]
	v_pk_fma_f32 v[4:5], v[4:5], v[68:69], v[52:53] op_sel_hi:[0,1,1]
	v_mov_b32_e32 v1, 0
	global_store_dwordx2 v[2:3], v[54:55], off
	global_store_dwordx2 v[2:3], v[4:5], off offset:512
.LBB29_139:                             ;   in Loop: Header=BB29_12 Depth=1
	s_or_b64 exec, exec, s[8:9]
	v_cmp_gt_i32_e32 vcc, s92, v1
	s_mov_b64 s[8:9], -1
	s_and_saveexec_b64 s[12:13], vcc
; %bb.140:                              ;   in Loop: Header=BB29_12 Depth=1
	v_cmp_eq_u32_e32 vcc, 0, v1
	s_orn2_b64 s[8:9], vcc, exec
; %bb.141:                              ;   in Loop: Header=BB29_12 Depth=1
	s_or_b64 exec, exec, s[12:13]
	s_and_b64 exec, exec, s[8:9]
	s_cbranch_execz .LBB29_144
; %bb.142:                              ;   in Loop: Header=BB29_12 Depth=1
	v_accvgpr_read_b32 v1, a97
	v_accvgpr_read_b32 v2, a98
	v_add_u32_e32 v1, v1, v73
	v_or_b32_e32 v2, v2, v11
	v_cmp_gt_i32_e32 vcc, s36, v1
	v_cmp_gt_i32_e64 s[8:9], s3, v2
	s_and_b64 s[8:9], vcc, s[8:9]
	s_and_b64 exec, exec, s[8:9]
	s_cbranch_execz .LBB29_144
; %bb.143:                              ;   in Loop: Header=BB29_12 Depth=1
	v_accvgpr_read_b32 v9, a84
	v_accvgpr_read_b32 v4, a98
	ds_read2st64_b32 v[2:3], v9 offset1:1
	v_mad_u64_u32 v[4:5], s[8:9], v1, s37, v[4:5]
	v_accvgpr_read_b32 v1, a70
	ds_read2st64_b32 v[52:53], v1 offset0:2 offset1:35
	ds_read2st64_b32 v[54:55], v9 offset0:33 offset1:34
	s_waitcnt lgkmcnt(2)
	v_cvt_f32_f16_sdwa v57, v2 dst_sel:DWORD dst_unused:UNUSED_PAD src0_sel:WORD_1
	v_cvt_f32_f16_e32 v56, v2
	v_cvt_f32_f16_sdwa v61, v3 dst_sel:DWORD dst_unused:UNUSED_PAD src0_sel:WORD_1
	v_cvt_f32_f16_e32 v60, v3
	s_waitcnt lgkmcnt(0)
	v_cvt_f32_f16_sdwa v59, v54 dst_sel:DWORD dst_unused:UNUSED_PAD src0_sel:WORD_1
	v_cvt_f32_f16_e32 v58, v54
	v_cvt_f32_f16_sdwa v69, v55 dst_sel:DWORD dst_unused:UNUSED_PAD src0_sel:WORD_1
	v_cvt_f32_f16_e32 v68, v55
	v_lshl_add_u32 v4, v4, 7, v8
	v_ashrrev_i32_e32 v5, 31, v4
	v_pk_fma_f32 v[56:57], v[52:53], v[56:57], 0 op_sel_hi:[0,1,0]
	v_mov_b32_e32 v2, v53
	v_pk_fma_f32 v[52:53], v[52:53], v[60:61], 0 op_sel_hi:[0,1,0]
	v_lshl_add_u64 v[4:5], v[4:5], 3, v[108:109]
	v_pk_fma_f32 v[54:55], v[2:3], v[58:59], v[56:57] op_sel_hi:[0,1,1]
	v_pk_fma_f32 v[2:3], v[2:3], v[68:69], v[52:53] op_sel_hi:[0,1,1]
	global_store_dwordx2 v[4:5], v[54:55], off
	global_store_dwordx2 v[4:5], v[2:3], off offset:512
.LBB29_144:                             ;   in Loop: Header=BB29_12 Depth=1
	s_or_b64 exec, exec, s[70:71]
	s_barrier
	s_branch .LBB29_11
.LBB29_145:                             ;   in Loop: Header=BB29_12 Depth=1
	v_cmp_le_i32_e64 s[8:9], s36, v135
	v_cmp_le_i32_e64 s[12:13], s3, v136
	v_cmp_gt_i32_e32 vcc, s3, v136
	s_or_b64 s[8:9], s[8:9], s[12:13]
	s_and_saveexec_b64 s[12:13], s[8:9]
	s_xor_b64 s[8:9], exec, s[12:13]
; %bb.146:                              ;   in Loop: Header=BB29_12 Depth=1
	v_add_u32_e32 v1, v190, v215
	ds_write2st64_b32 v1, v13, v13 offset1:1
                                        ; implicit-def: $vgpr135
; %bb.147:                              ;   in Loop: Header=BB29_12 Depth=1
	s_andn2_saveexec_b64 s[8:9], s[8:9]
	s_cbranch_execz .LBB29_149
; %bb.148:                              ;   in Loop: Header=BB29_12 Depth=1
	v_mad_u64_u32 v[2:3], s[12:13], v135, s55, v[72:73]
	v_ashrrev_i32_e32 v3, 31, v2
	v_lshl_add_u64 v[2:3], v[2:3], 3, v[128:129]
	global_load_dwordx2 v[4:5], v[2:3], off
	s_nop 0
	global_load_dwordx2 v[2:3], v[2:3], off offset:512
	s_waitcnt vmcnt(1)
	v_cvt_pk_f16_f32 v1, v4, v5
	s_waitcnt vmcnt(0)
	v_cvt_pk_f16_f32 v2, v2, v3
	v_pk_mul_f16 v1, v1, v207
	v_pk_mul_f16 v2, v2, v207
	ds_write2st64_b32 v216, v1, v2 offset1:1
.LBB29_149:                             ;   in Loop: Header=BB29_12 Depth=1
	s_or_b64 exec, exec, s[8:9]
	v_add_u32_e32 v1, v217, v73
	v_cmp_le_i32_e64 s[8:9], s36, v1
	s_xor_b64 s[12:13], vcc, -1
	s_or_b64 s[8:9], s[8:9], s[12:13]
	s_and_saveexec_b64 s[70:71], s[8:9]
	s_xor_b64 s[8:9], exec, s[70:71]
; %bb.150:                              ;   in Loop: Header=BB29_12 Depth=1
	v_add_u32_e32 v1, v190, v215
	v_add_u32_e32 v1, 64, v1
	ds_write2st64_b32 v1, v13, v13 offset0:8 offset1:9
                                        ; implicit-def: $vgpr1
; %bb.151:                              ;   in Loop: Header=BB29_12 Depth=1
	s_andn2_saveexec_b64 s[8:9], s[8:9]
	s_cbranch_execz .LBB29_153
; %bb.152:                              ;   in Loop: Header=BB29_12 Depth=1
	v_mad_u64_u32 v[2:3], s[70:71], v1, s55, v[72:73]
	v_ashrrev_i32_e32 v3, 31, v2
	v_lshl_add_u64 v[2:3], v[2:3], 3, v[128:129]
	global_load_dwordx2 v[4:5], v[2:3], off
	s_nop 0
	global_load_dwordx2 v[2:3], v[2:3], off offset:512
	s_waitcnt vmcnt(1)
	v_cvt_pk_f16_f32 v1, v4, v5
	s_waitcnt vmcnt(0)
	v_cvt_pk_f16_f32 v2, v2, v3
	v_pk_mul_f16 v1, v1, v207
	v_pk_mul_f16 v2, v2, v207
	ds_write2st64_b32 v218, v1, v2 offset1:1
.LBB29_153:                             ;   in Loop: Header=BB29_12 Depth=1
	s_or_b64 exec, exec, s[8:9]
	v_add_u32_e32 v1, v219, v73
	v_cmp_le_i32_e32 vcc, s36, v1
	s_or_b64 s[8:9], vcc, s[12:13]
	s_and_saveexec_b64 s[70:71], s[8:9]
	s_xor_b64 s[8:9], exec, s[70:71]
; %bb.154:                              ;   in Loop: Header=BB29_12 Depth=1
	v_add_u32_e32 v1, v190, v215
	v_add_u32_e32 v1, 0x80, v1
	ds_write2st64_b32 v1, v13, v13 offset0:16 offset1:17
                                        ; implicit-def: $vgpr1
; %bb.155:                              ;   in Loop: Header=BB29_12 Depth=1
	s_andn2_saveexec_b64 s[8:9], s[8:9]
	s_cbranch_execz .LBB29_157
; %bb.156:                              ;   in Loop: Header=BB29_12 Depth=1
	v_mad_u64_u32 v[2:3], s[70:71], v1, s55, v[72:73]
	v_ashrrev_i32_e32 v3, 31, v2
	v_lshl_add_u64 v[2:3], v[2:3], 3, v[128:129]
	global_load_dwordx2 v[4:5], v[2:3], off
	s_nop 0
	global_load_dwordx2 v[2:3], v[2:3], off offset:512
	s_waitcnt vmcnt(1)
	v_cvt_pk_f16_f32 v1, v4, v5
	s_waitcnt vmcnt(0)
	v_cvt_pk_f16_f32 v2, v2, v3
	v_pk_mul_f16 v1, v1, v207
	v_pk_mul_f16 v2, v2, v207
	ds_write2st64_b32 v220, v1, v2 offset1:1
.LBB29_157:                             ;   in Loop: Header=BB29_12 Depth=1
	s_or_b64 exec, exec, s[8:9]
	v_add_u32_e32 v1, v221, v73
	v_cmp_le_i32_e32 vcc, s36, v1
	s_or_b64 s[8:9], vcc, s[12:13]
	;; [unrolled: 29-line block ×3, first 2 shown]
	s_and_saveexec_b64 s[70:71], s[8:9]
	s_xor_b64 s[8:9], exec, s[70:71]
; %bb.162:                              ;   in Loop: Header=BB29_12 Depth=1
	v_add_u32_e32 v1, v190, v215
	ds_write2st64_b32 v1, v13, v13 offset0:33 offset1:34
                                        ; implicit-def: $vgpr1
; %bb.163:                              ;   in Loop: Header=BB29_12 Depth=1
	s_andn2_saveexec_b64 s[8:9], s[8:9]
	s_cbranch_execz .LBB29_165
; %bb.164:                              ;   in Loop: Header=BB29_12 Depth=1
	v_mad_u64_u32 v[2:3], s[70:71], v1, s55, v[72:73]
	v_ashrrev_i32_e32 v3, 31, v2
	v_lshl_add_u64 v[2:3], v[2:3], 3, v[128:129]
	global_load_dwordx2 v[4:5], v[2:3], off
	s_nop 0
	global_load_dwordx2 v[2:3], v[2:3], off offset:512
	s_waitcnt vmcnt(1)
	v_cvt_pk_f16_f32 v1, v4, v5
	s_waitcnt vmcnt(0)
	v_cvt_pk_f16_f32 v2, v2, v3
	v_pk_mul_f16 v1, v1, v207
	v_pk_mul_f16 v2, v2, v207
	ds_write2st64_b32 v224, v1, v2 offset1:1
.LBB29_165:                             ;   in Loop: Header=BB29_12 Depth=1
	s_or_b64 exec, exec, s[8:9]
	v_add_u32_e32 v1, v225, v73
	v_cmp_le_i32_e32 vcc, s36, v1
	s_or_b64 s[8:9], vcc, s[12:13]
	s_and_saveexec_b64 s[70:71], s[8:9]
	s_xor_b64 s[8:9], exec, s[70:71]
; %bb.166:                              ;   in Loop: Header=BB29_12 Depth=1
	v_add_u32_e32 v1, v190, v215
	v_add_u32_e32 v1, 64, v1
	ds_write2st64_b32 v1, v13, v13 offset0:41 offset1:42
                                        ; implicit-def: $vgpr1
; %bb.167:                              ;   in Loop: Header=BB29_12 Depth=1
	s_andn2_saveexec_b64 s[8:9], s[8:9]
	s_cbranch_execz .LBB29_169
; %bb.168:                              ;   in Loop: Header=BB29_12 Depth=1
	v_mad_u64_u32 v[2:3], s[70:71], v1, s55, v[72:73]
	v_ashrrev_i32_e32 v3, 31, v2
	v_lshl_add_u64 v[2:3], v[2:3], 3, v[128:129]
	global_load_dwordx2 v[4:5], v[2:3], off
	s_nop 0
	global_load_dwordx2 v[2:3], v[2:3], off offset:512
	s_waitcnt vmcnt(1)
	v_cvt_pk_f16_f32 v1, v4, v5
	s_waitcnt vmcnt(0)
	v_cvt_pk_f16_f32 v2, v2, v3
	v_pk_mul_f16 v1, v1, v207
	v_pk_mul_f16 v2, v2, v207
	ds_write2st64_b32 v226, v1, v2 offset1:1
.LBB29_169:                             ;   in Loop: Header=BB29_12 Depth=1
	s_or_b64 exec, exec, s[8:9]
	v_add_u32_e32 v1, v227, v73
	v_cmp_le_i32_e32 vcc, s36, v1
	s_or_b64 s[8:9], vcc, s[12:13]
	s_and_saveexec_b64 s[70:71], s[8:9]
	s_xor_b64 s[8:9], exec, s[70:71]
; %bb.170:                              ;   in Loop: Header=BB29_12 Depth=1
	v_add_u32_e32 v1, v190, v215
	v_add_u32_e32 v1, 0x80, v1
	ds_write2st64_b32 v1, v13, v13 offset0:49 offset1:50
                                        ; implicit-def: $vgpr1
; %bb.171:                              ;   in Loop: Header=BB29_12 Depth=1
	s_andn2_saveexec_b64 s[8:9], s[8:9]
	s_cbranch_execz .LBB29_173
; %bb.172:                              ;   in Loop: Header=BB29_12 Depth=1
	v_mad_u64_u32 v[2:3], s[70:71], v1, s55, v[72:73]
	v_ashrrev_i32_e32 v3, 31, v2
	v_lshl_add_u64 v[2:3], v[2:3], 3, v[128:129]
	global_load_dwordx2 v[4:5], v[2:3], off
	s_nop 0
	global_load_dwordx2 v[2:3], v[2:3], off offset:512
	s_waitcnt vmcnt(1)
	v_cvt_pk_f16_f32 v1, v4, v5
	s_waitcnt vmcnt(0)
	v_cvt_pk_f16_f32 v2, v2, v3
	v_pk_mul_f16 v1, v1, v207
	v_pk_mul_f16 v2, v2, v207
	ds_write2st64_b32 v228, v1, v2 offset1:1
.LBB29_173:                             ;   in Loop: Header=BB29_12 Depth=1
	s_or_b64 exec, exec, s[8:9]
	v_add_u32_e32 v1, v229, v73
	v_cmp_le_i32_e32 vcc, s36, v1
	s_or_b64 s[8:9], vcc, s[12:13]
	s_and_saveexec_b64 s[12:13], s[8:9]
	s_xor_b64 s[8:9], exec, s[12:13]
; %bb.174:                              ;   in Loop: Header=BB29_12 Depth=1
	v_add_u32_e32 v1, v190, v215
	v_add_u32_e32 v1, 0xc0, v1
	ds_write2st64_b32 v1, v13, v13 offset0:57 offset1:58
                                        ; implicit-def: $vgpr1
                                        ; implicit-def: $vgpr128_vgpr129
; %bb.175:                              ;   in Loop: Header=BB29_12 Depth=1
	s_andn2_saveexec_b64 s[8:9], s[8:9]
	s_cbranch_execz .LBB29_177
; %bb.176:                              ;   in Loop: Header=BB29_12 Depth=1
	v_mad_u64_u32 v[2:3], s[12:13], v1, s55, v[72:73]
	v_ashrrev_i32_e32 v3, 31, v2
	v_lshl_add_u64 v[2:3], v[2:3], 3, v[128:129]
	global_load_dwordx2 v[4:5], v[2:3], off
	s_nop 0
	global_load_dwordx2 v[2:3], v[2:3], off offset:512
	s_waitcnt vmcnt(1)
	v_cvt_pk_f16_f32 v1, v4, v5
	s_waitcnt vmcnt(0)
	v_cvt_pk_f16_f32 v2, v2, v3
	v_pk_mul_f16 v1, v1, v207
	v_pk_mul_f16 v2, v2, v207
	ds_write2st64_b32 v230, v1, v2 offset1:1
.LBB29_177:                             ;   in Loop: Header=BB29_12 Depth=1
	s_or_b64 exec, exec, s[8:9]
	s_waitcnt lgkmcnt(0)
	s_barrier
	ds_read2_b64 a[32:35], v67 offset1:4
	ds_read2_b64 a[28:31], v67 offset0:8 offset1:12
	ds_read2_b64 a[24:27], v67 offset0:16 offset1:20
	;; [unrolled: 1-line block ×7, first 2 shown]
	v_cmp_lt_i32_e32 vcc, 1, v134
	s_and_b64 vcc, exec, vcc
	s_mov_b64 s[8:9], -1
	s_waitcnt lgkmcnt(0)
	s_barrier
                                        ; implicit-def: $vgpr243
                                        ; implicit-def: $vgpr244
                                        ; implicit-def: $vgpr247
                                        ; implicit-def: $vgpr245
	s_cbranch_vccnz .LBB29_179
; %bb.178:                              ;   in Loop: Header=BB29_12 Depth=1
	v_mbcnt_hi_u32_b32 v243, -1, v240
	v_and_b32_e32 v1, 64, v243
	v_add_u32_e32 v244, 64, v1
	v_xor_b32_e32 v247, 32, v243
	v_xor_b32_e32 v245, 16, v243
	s_mov_b64 s[8:9], 0
.LBB29_179:                             ;   in Loop: Header=BB29_12 Depth=1
	v_add_u32_e32 v1, v73, v71
	v_mul_hi_u32 v2, s44, v1
	v_add_u32_e32 v2, v1, v2
	v_lshrrev_b32_e32 v2, s45, v2
	v_mul_lo_u32 v2, v2, s36
	s_andn2_b64 vcc, exec, s[8:9]
	v_sub_u32_e32 v249, v1, v2
	s_cbranch_vccnz .LBB29_183
; %bb.180:                              ;   in Loop: Header=BB29_12 Depth=1
	v_mbcnt_hi_u32_b32 v243, -1, v240
	v_and_b32_e32 v1, 64, v243
	v_accvgpr_read_b32 v4, a102
	v_add_u32_e32 v244, 64, v1
	v_xor_b32_e32 v247, 32, v243
	v_mad_i64_i32 v[2:3], s[8:9], s62, v249, v[122:123]
	v_accvgpr_read_b32 v5, a103
	v_cmp_lt_i32_e32 vcc, v247, v244
	v_xor_b32_e32 v245, 16, v243
	v_lshl_add_u64 v[2:3], v[4:5], 0, v[2:3]
	v_accvgpr_read_b32 v4, a104
	v_cndmask_b32_e32 v1, v243, v247, vcc
	v_cmp_lt_i32_e32 vcc, v245, v244
	v_lshl_add_u64 v[52:53], v[124:125], 0, v[126:127]
	v_accvgpr_read_b32 v5, a105
	v_add_u32_e32 v12, -1, v134
	v_lshlrev_b32_e32 v250, 2, v1
	v_cndmask_b32_e32 v1, v243, v245, vcc
	v_lshl_add_u64 v[4:5], v[4:5], 0, v[52:53]
	v_lshl_add_u64 v[122:123], v[78:79], 0, v[52:53]
	;; [unrolled: 1-line block ×9, first 2 shown]
	v_lshlrev_b32_e32 v251, 2, v1
	v_lshl_add_u64 v[118:119], v[92:93], 0, v[52:53]
	v_lshl_add_u64 v[120:121], v[94:95], 0, v[52:53]
	;; [unrolled: 1-line block ×8, first 2 shown]
	v_mov_b32_e32 v148, 0
	v_mov_b32_e32 v246, 0xfeffffff
	;; [unrolled: 1-line block ×35, first 2 shown]
.LBB29_181:                             ;   Parent Loop BB29_12 Depth=1
                                        ; =>  This Inner Loop Header: Depth=2
	v_lshl_add_u64 v[54:55], v[118:119], 0, v[48:49]
	global_load_dword v9, v[2:3], off
	global_load_dwordx4 v[170:173], v[54:55], off
	v_lshl_add_u64 v[176:177], v[120:121], 0, v[48:49]
	v_lshl_add_u64 v[182:183], v[136:137], 0, v[48:49]
	;; [unrolled: 1-line block ×7, first 2 shown]
	v_mov_b32_e32 v52, v246
	v_mov_b32_e32 v1, v248
	v_add_u32_e32 v252, -1, v252
	v_lshl_add_u64 v[2:3], v[2:3], 0, s[68:69]
	v_lshl_add_u64 v[118:119], v[118:119], 0, s[66:67]
	;; [unrolled: 1-line block ×9, first 2 shown]
	s_waitcnt vmcnt(1)
	ds_write_b32 v161, v9 offset:33792
	s_waitcnt vmcnt(0)
	ds_write_b128 v152, v[170:173]
	global_load_dwordx4 v[170:173], v[176:177], off
	v_add_u32_e32 v9, 0x4000, v154
	s_waitcnt vmcnt(0)
	ds_write_b128 v208, v[170:173]
	global_load_dwordx4 v[170:173], v[182:183], off
	s_waitcnt vmcnt(0)
	ds_write_b128 v209, v[170:173]
	global_load_dwordx4 v[170:173], v[188:189], off
	;; [unrolled: 3-line block ×5, first 2 shown]
	v_lshl_add_u64 v[168:169], v[124:125], 0, v[48:49]
	v_lshl_add_u64 v[124:125], v[124:125], 0, s[64:65]
	s_waitcnt vmcnt(0)
	ds_write_b128 v213, v[170:173]
	global_load_dwordx4 v[170:173], v[74:75], off
	s_waitcnt vmcnt(0)
	ds_write_b128 v214, v[170:173]
	s_waitcnt lgkmcnt(0)
	s_barrier
	ds_read2_b64 v[170:173], v154 offset1:4
	s_waitcnt lgkmcnt(0)
	v_mfma_f32_16x16x16_f16 a[0:3], v[170:171], a[32:33], 0
	v_mfma_f32_16x16x16_f16 a[0:3], v[172:173], a[34:35], a[0:3]
	ds_read2_b64 v[170:173], v154 offset0:8 offset1:12
	s_waitcnt lgkmcnt(0)
	v_mfma_f32_16x16x16_f16 a[0:3], v[170:171], a[28:29], a[0:3]
	v_mfma_f32_16x16x16_f16 a[0:3], v[172:173], a[30:31], a[0:3]
	ds_read2_b64 v[170:173], v154 offset0:16 offset1:20
	;; [unrolled: 4-line block ×8, first 2 shown]
	s_waitcnt lgkmcnt(0)
	v_mfma_f32_16x16x16_f16 a[36:39], v[170:171], a[32:33], 0
	s_nop 4
	v_accvgpr_read_b32 v53, a0
	v_mfma_f32_16x16x16_f16 a[36:39], v[172:173], a[34:35], a[36:39]
	ds_read2_b64 v[170:173], v9 offset0:72 offset1:76
	s_waitcnt lgkmcnt(0)
	v_mfma_f32_16x16x16_f16 a[36:39], v[170:171], a[28:29], a[36:39]
	v_mfma_f32_16x16x16_f16 a[36:39], v[172:173], a[30:31], a[36:39]
	ds_read2_b64 v[170:173], v9 offset0:80 offset1:84
	s_waitcnt lgkmcnt(0)
	v_mfma_f32_16x16x16_f16 a[36:39], v[170:171], a[24:25], a[36:39]
	;; [unrolled: 4-line block ×6, first 2 shown]
	v_mfma_f32_16x16x16_f16 a[36:39], v[172:173], a[10:11], a[36:39]
	ds_read2_b64 v[170:173], v9 offset0:120 offset1:124
	v_add_u32_e32 v9, 0x8400, v155
	s_waitcnt lgkmcnt(0)
	s_barrier
	ds_read2_b32 v[54:55], v9 offset1:1
	v_mfma_f32_16x16x16_f16 a[36:39], v[170:171], a[4:5], a[36:39]
	s_waitcnt lgkmcnt(0)
	v_cvt_f32_f16_e32 v9, v54
	v_cvt_f32_f16_sdwa v51, v54 dst_sel:DWORD dst_unused:UNUSED_PAD src0_sel:WORD_1
	v_cvt_f32_f16_sdwa v54, v55 dst_sel:DWORD dst_unused:UNUSED_PAD src0_sel:WORD_1
	v_mfma_f32_16x16x16_f16 a[36:39], v[172:173], a[6:7], a[36:39]
	v_add_f32_e32 v9, v53, v9
	v_accvgpr_read_b32 v53, a1
	v_add_f32_e32 v51, v53, v51
	v_cvt_f32_f16_e32 v53, v55
	v_accvgpr_read_b32 v55, a2
	v_add_f32_e32 v69, 0x40051340, v51
	v_add_f32_e32 v53, v55, v53
	v_accvgpr_read_b32 v55, a3
	v_add_f32_e32 v54, v55, v54
	ds_read_b32 v55, v162 offset:33792
	v_accvgpr_read_b32 v59, a36
	v_accvgpr_read_b32 v68, a38
	v_add_f32_e32 v74, 0x40051340, v54
	s_waitcnt lgkmcnt(0)
	v_cvt_f32_f16_e32 v57, v55
	v_cvt_f32_f16_sdwa v55, v55 dst_sel:DWORD dst_unused:UNUSED_PAD src0_sel:WORD_1
	v_add_f32_e32 v57, v59, v57
	v_accvgpr_read_b32 v59, a37
	v_add_f32_e32 v55, v59, v55
	ds_read_b32 v59, v163 offset:33792
	s_waitcnt lgkmcnt(0)
	v_cvt_f32_f16_e32 v61, v59
	v_cvt_f32_f16_sdwa v59, v59 dst_sel:DWORD dst_unused:UNUSED_PAD src0_sel:WORD_1
	v_add_f32_e32 v61, v68, v61
	v_accvgpr_read_b32 v68, a39
	v_add_f32_e32 v59, v68, v59
	v_add_f32_e32 v68, 0x40051340, v9
	v_max3_f32 v68, v52, v68, v69
	v_add_f32_e32 v69, 0x40051340, v53
	v_max3_f32 v68, v68, v69, v74
	v_add_f32_e32 v69, 0x40051340, v57
	v_add_f32_e32 v74, 0x40051340, v55
	v_max3_f32 v68, v68, v69, v74
	v_add_f32_e32 v69, 0x40051340, v61
	v_add_f32_e32 v74, 0x40051340, v59
	v_max3_f32 v68, v68, v69, v74
	ds_bpermute_b32 v69, v250, v68
	s_waitcnt lgkmcnt(0)
	v_max_f32_e32 v69, v69, v69
	v_max_f32_e32 v68, v68, v69
	ds_bpermute_b32 v69, v251, v68
	s_waitcnt lgkmcnt(0)
	v_max_f32_e32 v69, v69, v69
	v_max_f32_e32 v246, v68, v69
	v_sub_f32_e32 v9, v9, v246
	v_mul_f32_e32 v68, 0x3fb8aa3b, v9
	v_fma_f32 v69, v9, s39, -v68
	v_rndne_f32_e32 v74, v68
	v_fmac_f32_e32 v69, 0x32a5705f, v9
	v_sub_f32_e32 v68, v68, v74
	v_add_f32_e32 v68, v68, v69
	v_exp_f32_e32 v68, v68
	v_cvt_i32_f32_e32 v69, v74
	v_cmp_ngt_f32_e32 vcc, s63, v9
	v_sub_f32_e32 v52, v52, v246
	v_lshl_add_u64 v[74:75], v[122:123], 0, v[48:49]
	v_ldexp_f32 v68, v68, v69
	v_cndmask_b32_e32 v68, 0, v68, vcc
	v_cmp_nlt_f32_e32 vcc, s89, v9
	v_sub_f32_e32 v9, v51, v246
	v_mul_f32_e32 v51, 0x3fb8aa3b, v9
	v_cndmask_b32_e32 v188, v242, v68, vcc
	v_fma_f32 v68, v9, s39, -v51
	v_rndne_f32_e32 v69, v51
	v_fmac_f32_e32 v68, 0x32a5705f, v9
	v_sub_f32_e32 v51, v51, v69
	v_add_f32_e32 v51, v51, v68
	v_exp_f32_e32 v51, v51
	v_cvt_i32_f32_e32 v68, v69
	v_cmp_ngt_f32_e32 vcc, s63, v9
	v_lshl_add_u64 v[122:123], v[122:123], 0, s[64:65]
	v_ldexp_f32 v51, v51, v68
	v_cndmask_b32_e32 v51, 0, v51, vcc
	v_cmp_nlt_f32_e32 vcc, s89, v9
	v_sub_f32_e32 v9, v53, v246
	v_mul_f32_e32 v53, 0x3fb8aa3b, v9
	v_fma_f32 v68, v9, s39, -v53
	v_rndne_f32_e32 v69, v53
	v_fmac_f32_e32 v68, 0x32a5705f, v9
	v_sub_f32_e32 v53, v53, v69
	v_add_f32_e32 v53, v53, v68
	v_exp_f32_e32 v53, v53
	v_cvt_i32_f32_e32 v68, v69
	v_cndmask_b32_e32 v195, v242, v51, vcc
	v_cmp_ngt_f32_e32 vcc, s63, v9
	v_add_f32_e32 v51, v188, v195
	v_ldexp_f32 v53, v53, v68
	v_cndmask_b32_e32 v53, 0, v53, vcc
	v_cmp_nlt_f32_e32 vcc, s89, v9
	s_nop 1
	v_cndmask_b32_e32 v9, v242, v53, vcc
	v_sub_f32_e32 v53, v54, v246
	v_mul_f32_e32 v54, 0x3fb8aa3b, v53
	v_fma_f32 v68, v53, s39, -v54
	v_rndne_f32_e32 v69, v54
	v_fmac_f32_e32 v68, 0x32a5705f, v53
	v_sub_f32_e32 v54, v54, v69
	v_add_f32_e32 v54, v54, v68
	v_exp_f32_e32 v54, v54
	v_cvt_i32_f32_e32 v68, v69
	v_cmp_ngt_f32_e32 vcc, s63, v53
	v_add_f32_e32 v51, v9, v51
	v_ldexp_f32 v54, v54, v68
	v_cndmask_b32_e32 v54, 0, v54, vcc
	v_cmp_nlt_f32_e32 vcc, s89, v53
	s_nop 1
	v_cndmask_b32_e32 v196, v242, v54, vcc
	v_add_f32_e32 v53, v196, v51
	v_sub_f32_e32 v51, v57, v246
	v_mul_f32_e32 v54, 0x3fb8aa3b, v51
	v_fma_f32 v57, v51, s39, -v54
	v_rndne_f32_e32 v68, v54
	v_fmac_f32_e32 v57, 0x32a5705f, v51
	v_sub_f32_e32 v54, v54, v68
	v_add_f32_e32 v54, v54, v57
	v_exp_f32_e32 v54, v54
	v_cvt_i32_f32_e32 v57, v68
	v_cmp_ngt_f32_e32 vcc, s63, v51
	v_ldexp_f32 v54, v54, v57
	s_nop 0
	v_cndmask_b32_e32 v54, 0, v54, vcc
	v_cmp_nlt_f32_e32 vcc, s89, v51
	s_nop 1
	v_cndmask_b32_e32 v51, v242, v54, vcc
	v_sub_f32_e32 v54, v55, v246
	v_mul_f32_e32 v55, 0x3fb8aa3b, v54
	v_fma_f32 v57, v54, s39, -v55
	v_rndne_f32_e32 v68, v55
	v_fmac_f32_e32 v57, 0x32a5705f, v54
	v_sub_f32_e32 v55, v55, v68
	v_add_f32_e32 v55, v55, v57
	v_exp_f32_e32 v55, v55
	v_cvt_i32_f32_e32 v57, v68
	v_cmp_ngt_f32_e32 vcc, s63, v54
	v_add_f32_e32 v53, v51, v53
	v_lshl_add_u64 v[68:69], v[4:5], 0, v[48:49]
	v_ldexp_f32 v55, v55, v57
	v_cndmask_b32_e32 v55, 0, v55, vcc
	v_cmp_nlt_f32_e32 vcc, s89, v54
	v_sub_f32_e32 v54, v61, v246
	v_lshl_add_u64 v[4:5], v[4:5], 0, s[64:65]
	v_cndmask_b32_e32 v233, v242, v55, vcc
	v_mul_f32_e32 v55, 0x3fb8aa3b, v54
	v_fma_f32 v57, v54, s39, -v55
	v_rndne_f32_e32 v61, v55
	v_fmac_f32_e32 v57, 0x32a5705f, v54
	v_sub_f32_e32 v55, v55, v61
	v_add_f32_e32 v55, v55, v57
	v_exp_f32_e32 v55, v55
	v_cvt_i32_f32_e32 v57, v61
	v_cmp_ngt_f32_e32 vcc, s63, v54
	v_add_f32_e32 v53, v233, v53
	v_ldexp_f32 v55, v55, v57
	v_cndmask_b32_e32 v55, 0, v55, vcc
	v_cmp_nlt_f32_e32 vcc, s89, v54
	s_nop 1
	v_cndmask_b32_e32 v234, v242, v55, vcc
	v_add_f32_e32 v54, v234, v53
	v_sub_f32_e32 v53, v59, v246
	v_mul_f32_e32 v55, 0x3fb8aa3b, v53
	v_fma_f32 v57, v53, s39, -v55
	v_rndne_f32_e32 v59, v55
	v_fmac_f32_e32 v57, 0x32a5705f, v53
	v_sub_f32_e32 v55, v55, v59
	v_add_f32_e32 v55, v55, v57
	v_exp_f32_e32 v55, v55
	v_cvt_i32_f32_e32 v57, v59
	v_cmp_ngt_f32_e32 vcc, s63, v53
	v_ldexp_f32 v55, v55, v57
	s_nop 0
	v_cndmask_b32_e32 v55, 0, v55, vcc
	v_cmp_nlt_f32_e32 vcc, s89, v53
	s_nop 1
	v_cndmask_b32_e32 v53, v242, v55, vcc
	v_add_f32_e32 v248, v53, v54
	v_mul_f32_e32 v54, 0x3fb8aa3b, v52
	v_fma_f32 v55, v52, s39, -v54
	v_rndne_f32_e32 v57, v54
	v_fmac_f32_e32 v55, 0x32a5705f, v52
	v_sub_f32_e32 v54, v54, v57
	v_add_f32_e32 v54, v54, v55
	v_exp_f32_e32 v54, v54
	v_cvt_i32_f32_e32 v55, v57
	v_cmp_ngt_f32_e32 vcc, s63, v52
	v_ldexp_f32 v54, v54, v55
	s_nop 0
	v_cndmask_b32_e32 v54, 0, v54, vcc
	v_cmp_nlt_f32_e32 vcc, s89, v52
	s_nop 1
	v_cndmask_b32_e32 v54, v242, v54, vcc
	v_cmp_le_f32_e32 vcc, s90, v52
	s_nop 1
	v_cndmask_b32_e32 v52, 0, v54, vcc
	v_fmac_f32_e32 v248, v1, v52
	v_cvt_f16_f32_e32 v1, v52
	v_cmp_ne_u32_e32 vcc, 0, v252
	s_and_b64 vcc, exec, vcc
	v_mul_u32_u24_e32 v54, 0x10001, v1
	v_pk_mul_f16 v59, v197, v54
	v_pk_mul_f16 v57, v175, v54
	;; [unrolled: 1-line block ×32, first 2 shown]
	global_load_dwordx4 v[148:151], v[68:69], off
	v_lshl_add_u64 v[200:201], v[126:127], 0, v[48:49]
	v_lshl_add_u64 v[202:203], v[128:129], 0, v[48:49]
	;; [unrolled: 1-line block ×5, first 2 shown]
	v_cvt_f32_f16_sdwa v193, v60 dst_sel:DWORD dst_unused:UNUSED_PAD src0_sel:WORD_1
	v_cvt_f32_f16_e32 v76, v58
	v_cvt_f32_f16_sdwa v58, v58 dst_sel:DWORD dst_unused:UNUSED_PAD src0_sel:WORD_1
	v_lshl_add_u64 v[126:127], v[126:127], 0, s[64:65]
	v_lshl_add_u64 v[128:129], v[128:129], 0, s[64:65]
	;; [unrolled: 1-line block ×5, first 2 shown]
	s_waitcnt vmcnt(0)
	ds_write_b128 v152, v[148:151]
	global_load_dwordx4 v[148:151], v[74:75], off
	v_cvt_f32_f16_e32 v74, v59
	v_cvt_f32_f16_sdwa v59, v59 dst_sel:DWORD dst_unused:UNUSED_PAD src0_sel:WORD_1
	v_cvt_f32_f16_e32 v75, v57
	v_cvt_f32_f16_sdwa v57, v57 dst_sel:DWORD dst_unused:UNUSED_PAD src0_sel:WORD_1
	v_accvgpr_write_b32 a0, v74
	v_accvgpr_write_b32 a1, v59
	;; [unrolled: 1-line block ×4, first 2 shown]
	s_waitcnt vmcnt(0)
	ds_write_b128 v208, v[148:151]
	global_load_dwordx4 v[148:151], v[168:169], off
	s_waitcnt vmcnt(0)
	ds_write_b128 v209, v[148:151]
	global_load_dwordx4 v[148:151], v[200:201], off
	;; [unrolled: 3-line block ×6, first 2 shown]
	s_waitcnt vmcnt(0)
	ds_write_b128 v214, v[148:151]
	s_waitcnt lgkmcnt(0)
	s_barrier
	ds_read_u16 v68, v156 offset:528
	ds_read_u16 v69, v156 offset:1056
	ds_read_u16 v148, v157
	ds_read_u16 v168, v157 offset:32
	v_cvt_pk_f16_f32 v149, v9, v196
	v_cvt_pk_f16_f32 v151, v234, v53
	s_waitcnt lgkmcnt(1)
	v_perm_b32 v69, v148, v69, s91
	ds_read_u16 v148, v156
	ds_read_u16 v169, v156 offset:32
	s_waitcnt lgkmcnt(1)
	v_perm_b32 v68, v68, v148, s91
	v_cvt_pk_f16_f32 v148, v188, v195
	s_nop 1
	v_mfma_f32_16x16x16_f16 a[0:3], v[68:69], v[148:149], a[0:3]
	ds_read_u16 v74, v156 offset:16896
	ds_read_u16 v75, v156 offset:17424
	;; [unrolled: 1-line block ×4, first 2 shown]
	s_waitcnt lgkmcnt(0)
	v_perm_b32 v69, v150, v69, s91
	s_nop 1
	v_accvgpr_read_b32 v9, a0
	v_accvgpr_read_b32 v57, a1
	v_accvgpr_read_b32 v59, a2
	v_accvgpr_read_b32 v68, a3
	v_cvt_f16_f32_e32 v9, v9
	v_cvt_f16_f32_e32 v57, v57
	;; [unrolled: 1-line block ×4, first 2 shown]
	v_cvt_f32_f16_e32 v9, v9
	v_cvt_f32_f16_e32 v57, v57
	;; [unrolled: 1-line block ×4, first 2 shown]
	v_perm_b32 v68, v75, v74, s91
	v_cvt_pk_f16_f32 v150, v51, v233
	v_accvgpr_write_b32 a0, v9
	v_accvgpr_write_b32 a1, v57
	v_accvgpr_write_b32 a2, v59
	v_accvgpr_write_b32 a3, v170
	v_cvt_f32_f16_e32 v74, v55
	v_cvt_f32_f16_sdwa v55, v55 dst_sel:DWORD dst_unused:UNUSED_PAD src0_sel:WORD_1
	v_mfma_f32_16x16x16_f16 a[0:3], v[68:69], v[150:151], a[0:3]
	ds_read_u16 v59, v156 offset:560
	ds_read_u16 v68, v156 offset:1088
	v_cvt_f32_f16_e32 v75, v235
	v_cvt_f32_f16_sdwa v170, v235 dst_sel:DWORD dst_unused:UNUSED_PAD src0_sel:WORD_1
	s_waitcnt lgkmcnt(0)
	v_perm_b32 v69, v168, v68, s91
	v_perm_b32 v68, v59, v169, s91
	s_nop 0
	v_accvgpr_read_b32 v9, a0
	v_accvgpr_read_b32 v51, a1
	;; [unrolled: 1-line block ×4, first 2 shown]
	v_accvgpr_write_b32 a0, v74
	v_accvgpr_write_b32 a1, v55
	v_accvgpr_write_b32 a2, v75
	v_accvgpr_write_b32 a3, v170
	ds_read_u16 v74, v156 offset:16928
	ds_read_u16 v75, v156 offset:17456
	;; [unrolled: 1-line block ×4, first 2 shown]
	v_mfma_f32_16x16x16_f16 a[0:3], v[68:69], v[148:149], a[0:3]
	s_nop 7
	v_accvgpr_read_b32 v55, a0
	v_accvgpr_read_b32 v59, a1
	;; [unrolled: 1-line block ×4, first 2 shown]
	v_cvt_f16_f32_e32 v55, v55
	v_cvt_f16_f32_e32 v59, v59
	;; [unrolled: 1-line block ×4, first 2 shown]
	v_cvt_f32_f16_e32 v55, v55
	v_cvt_f32_f16_e32 v59, v59
	;; [unrolled: 1-line block ×4, first 2 shown]
	s_waitcnt lgkmcnt(0)
	v_perm_b32 v69, v169, v168, s91
	v_perm_b32 v68, v75, v74, s91
	v_accvgpr_write_b32 a0, v55
	v_accvgpr_write_b32 a1, v59
	;; [unrolled: 1-line block ×4, first 2 shown]
	v_cvt_f32_f16_e32 v168, v198
	v_cvt_f32_f16_sdwa v169, v198 dst_sel:DWORD dst_unused:UNUSED_PAD src0_sel:WORD_1
	v_mfma_f32_16x16x16_f16 a[0:3], v[68:69], v[150:151], a[0:3]
	ds_read_u16 v68, v156 offset:64
	ds_read_u16 v74, v156 offset:592
	;; [unrolled: 1-line block ×4, first 2 shown]
	v_cvt_f32_f16_e32 v170, v197
	v_cvt_f32_f16_sdwa v184, v197 dst_sel:DWORD dst_unused:UNUSED_PAD src0_sel:WORD_1
	s_waitcnt lgkmcnt(2)
	v_perm_b32 v68, v74, v68, s91
	s_waitcnt lgkmcnt(0)
	v_perm_b32 v69, v75, v69, s91
	v_accvgpr_read_b32 v55, a0
	v_accvgpr_read_b32 v59, a1
	;; [unrolled: 1-line block ×4, first 2 shown]
	v_accvgpr_write_b32 a0, v168
	v_accvgpr_write_b32 a1, v169
	;; [unrolled: 1-line block ×4, first 2 shown]
	ds_read_u16 v168, v156 offset:16960
	ds_read_u16 v169, v156 offset:17488
	ds_read_u16 v170, v156 offset:18016
	ds_read_u16 v184, v157 offset:16960
	v_mfma_f32_16x16x16_f16 a[0:3], v[68:69], v[148:149], a[0:3]
	s_nop 7
	v_accvgpr_read_b32 v68, a0
	v_accvgpr_read_b32 v69, a1
	v_accvgpr_read_b32 v74, a2
	v_accvgpr_read_b32 v75, a3
	v_cvt_f16_f32_e32 v68, v68
	v_cvt_f16_f32_e32 v69, v69
	;; [unrolled: 1-line block ×4, first 2 shown]
	v_cvt_f32_f16_e32 v187, v68
	v_cvt_f32_f16_e32 v196, v69
	;; [unrolled: 1-line block ×4, first 2 shown]
	s_waitcnt lgkmcnt(0)
	v_perm_b32 v69, v184, v170, s91
	v_perm_b32 v68, v169, v168, s91
	v_accvgpr_write_b32 a0, v187
	v_accvgpr_write_b32 a1, v196
	v_accvgpr_write_b32 a2, v74
	v_accvgpr_write_b32 a3, v75
	v_cvt_f32_f16_e32 v168, v194
	v_cvt_f32_f16_sdwa v169, v194 dst_sel:DWORD dst_unused:UNUSED_PAD src0_sel:WORD_1
	v_mfma_f32_16x16x16_f16 a[0:3], v[68:69], v[150:151], a[0:3]
	ds_read_u16 v68, v156 offset:96
	ds_read_u16 v74, v156 offset:624
	;; [unrolled: 1-line block ×4, first 2 shown]
	v_cvt_f32_f16_e32 v170, v189
	v_cvt_f32_f16_sdwa v184, v189 dst_sel:DWORD dst_unused:UNUSED_PAD src0_sel:WORD_1
	s_waitcnt lgkmcnt(2)
	v_perm_b32 v68, v74, v68, s91
	s_waitcnt lgkmcnt(0)
	v_perm_b32 v69, v75, v69, s91
	v_accvgpr_read_b32 v196, a0
	v_accvgpr_read_b32 v197, a1
	;; [unrolled: 1-line block ×4, first 2 shown]
	v_accvgpr_write_b32 a0, v168
	v_accvgpr_write_b32 a1, v169
	;; [unrolled: 1-line block ×4, first 2 shown]
	ds_read_u16 v168, v156 offset:16992
	ds_read_u16 v169, v156 offset:17520
	;; [unrolled: 1-line block ×4, first 2 shown]
	v_mfma_f32_16x16x16_f16 a[0:3], v[68:69], v[148:149], a[0:3]
	v_cvt_pk_f16_f32 v199, v199, v233
	s_nop 6
	v_accvgpr_read_b32 v68, a0
	v_accvgpr_read_b32 v69, a1
	v_accvgpr_read_b32 v74, a2
	v_accvgpr_read_b32 v75, a3
	v_cvt_f16_f32_e32 v68, v68
	v_cvt_f16_f32_e32 v69, v69
	v_cvt_f16_f32_e32 v74, v74
	v_cvt_f16_f32_e32 v75, v75
	v_cvt_f32_f16_e32 v187, v68
	v_cvt_f32_f16_e32 v189, v69
	v_cvt_f32_f16_e32 v74, v74
	v_cvt_f32_f16_e32 v75, v75
	s_waitcnt lgkmcnt(0)
	v_perm_b32 v69, v184, v170, s91
	v_perm_b32 v68, v169, v168, s91
	v_accvgpr_write_b32 a0, v187
	v_accvgpr_write_b32 a1, v189
	v_accvgpr_write_b32 a2, v74
	v_accvgpr_write_b32 a3, v75
	v_cvt_f32_f16_e32 v168, v186
	v_cvt_f32_f16_sdwa v169, v186 dst_sel:DWORD dst_unused:UNUSED_PAD src0_sel:WORD_1
	v_mfma_f32_16x16x16_f16 a[0:3], v[68:69], v[150:151], a[0:3]
	ds_read_u16 v68, v156 offset:128
	ds_read_u16 v74, v156 offset:656
	ds_read_u16 v69, v156 offset:1184
	ds_read_u16 v75, v157 offset:128
	v_cvt_f32_f16_e32 v170, v185
	v_cvt_f32_f16_sdwa v184, v185 dst_sel:DWORD dst_unused:UNUSED_PAD src0_sel:WORD_1
	s_waitcnt lgkmcnt(2)
	v_perm_b32 v68, v74, v68, s91
	s_waitcnt lgkmcnt(0)
	v_perm_b32 v69, v75, v69, s91
	v_accvgpr_read_b32 v189, a0
	v_accvgpr_read_b32 v194, a1
	v_accvgpr_read_b32 v198, a2
	v_accvgpr_read_b32 v234, a3
	v_accvgpr_write_b32 a0, v168
	v_accvgpr_write_b32 a1, v169
	v_accvgpr_write_b32 a2, v170
	v_accvgpr_write_b32 a3, v184
	ds_read_u16 v168, v156 offset:17024
	ds_read_u16 v169, v156 offset:17552
	ds_read_u16 v170, v156 offset:18080
	ds_read_u16 v184, v157 offset:17024
	v_mfma_f32_16x16x16_f16 a[0:3], v[68:69], v[148:149], a[0:3]
	s_nop 7
	v_accvgpr_read_b32 v68, a0
	v_accvgpr_read_b32 v69, a1
	v_accvgpr_read_b32 v74, a2
	v_accvgpr_read_b32 v75, a3
	v_cvt_f16_f32_e32 v68, v68
	v_cvt_f16_f32_e32 v69, v69
	v_cvt_f16_f32_e32 v74, v74
	v_cvt_f16_f32_e32 v75, v75
	v_cvt_f32_f16_e32 v185, v68
	v_cvt_f32_f16_e32 v186, v69
	v_cvt_f32_f16_e32 v74, v74
	v_cvt_f32_f16_e32 v75, v75
	s_waitcnt lgkmcnt(0)
	v_perm_b32 v69, v184, v170, s91
	v_perm_b32 v68, v169, v168, s91
	v_accvgpr_write_b32 a0, v185
	v_accvgpr_write_b32 a1, v186
	v_accvgpr_write_b32 a2, v74
	v_accvgpr_write_b32 a3, v75
	v_cvt_f32_f16_e32 v185, v183
	v_cvt_f32_f16_sdwa v183, v183 dst_sel:DWORD dst_unused:UNUSED_PAD src0_sel:WORD_1
	v_mfma_f32_16x16x16_f16 a[0:3], v[68:69], v[150:151], a[0:3]
	ds_read_u16 v68, v156 offset:160
	ds_read_u16 v170, v156 offset:688
	ds_read_u16 v69, v156 offset:1216
	ds_read_u16 v184, v157 offset:160
	v_cvt_f32_f16_e32 v186, v182
	v_cvt_f32_f16_sdwa v182, v182 dst_sel:DWORD dst_unused:UNUSED_PAD src0_sel:WORD_1
	s_waitcnt lgkmcnt(2)
	v_perm_b32 v68, v170, v68, s91
	s_waitcnt lgkmcnt(0)
	v_perm_b32 v69, v184, v69, s91
	v_accvgpr_read_b32 v74, a0
	v_accvgpr_read_b32 v75, a1
	v_accvgpr_read_b32 v168, a2
	v_accvgpr_read_b32 v169, a3
	v_accvgpr_write_b32 a0, v185
	v_accvgpr_write_b32 a1, v183
	v_accvgpr_write_b32 a2, v186
	v_accvgpr_write_b32 a3, v182
	ds_read_u16 v183, v156 offset:17056
	ds_read_u16 v184, v156 offset:17584
	ds_read_u16 v185, v156 offset:18112
	ds_read_u16 v186, v157 offset:17056
	v_mfma_f32_16x16x16_f16 a[0:3], v[68:69], v[148:149], a[0:3]
	;; [unrolled: 46-line block ×8, first 2 shown]
	v_cvt_pk_f16_f32 v204, v184, v204
	v_cvt_pk_f16_f32 v184, v174, v175
	v_cvt_pk_f16_f32 v175, v53, v57
	s_nop 4
	v_accvgpr_read_b32 v61, a0
	v_accvgpr_read_b32 v68, a1
	;; [unrolled: 1-line block ×4, first 2 shown]
	v_cvt_f16_f32_e32 v61, v61
	v_cvt_f16_f32_e32 v68, v68
	;; [unrolled: 1-line block ×4, first 2 shown]
	v_cvt_f32_f16_e32 v61, v61
	v_cvt_f32_f16_e32 v239, v68
	;; [unrolled: 1-line block ×4, first 2 shown]
	s_waitcnt lgkmcnt(0)
	v_perm_b32 v69, v238, v206, s91
	v_perm_b32 v68, v205, v187, s91
	v_accvgpr_write_b32 a0, v61
	v_accvgpr_write_b32 a1, v239
	;; [unrolled: 1-line block ×4, first 2 shown]
	v_cvt_f32_f16_e32 v206, v172
	v_cvt_f32_f16_sdwa v172, v172 dst_sel:DWORD dst_unused:UNUSED_PAD src0_sel:WORD_1
	v_mfma_f32_16x16x16_f16 a[0:3], v[68:69], v[150:151], a[0:3]
	ds_read_u16 v61, v156 offset:384
	ds_read_u16 v68, v156 offset:912
	;; [unrolled: 1-line block ×4, first 2 shown]
	v_cvt_f32_f16_e32 v253, v171
	v_cvt_f32_f16_sdwa v171, v171 dst_sel:DWORD dst_unused:UNUSED_PAD src0_sel:WORD_1
	s_waitcnt lgkmcnt(2)
	v_perm_b32 v68, v68, v61, s91
	s_waitcnt lgkmcnt(0)
	v_perm_b32 v69, v205, v69, s91
	v_accvgpr_read_b32 v173, a0
	v_accvgpr_read_b32 v187, a1
	;; [unrolled: 1-line block ×4, first 2 shown]
	v_accvgpr_write_b32 a0, v206
	v_accvgpr_write_b32 a1, v172
	;; [unrolled: 1-line block ×4, first 2 shown]
	ds_read_u16 v172, v156 offset:17280
	ds_read_u16 v205, v156 offset:17808
	;; [unrolled: 1-line block ×4, first 2 shown]
	v_mfma_f32_16x16x16_f16 a[0:3], v[68:69], v[148:149], a[0:3]
	s_nop 7
	v_accvgpr_read_b32 v61, a0
	v_accvgpr_read_b32 v68, a1
	;; [unrolled: 1-line block ×4, first 2 shown]
	v_cvt_f16_f32_e32 v61, v61
	v_cvt_f16_f32_e32 v68, v68
	;; [unrolled: 1-line block ×4, first 2 shown]
	v_cvt_f32_f16_e32 v61, v61
	v_cvt_f32_f16_e32 v254, v68
	;; [unrolled: 1-line block ×4, first 2 shown]
	s_waitcnt lgkmcnt(0)
	v_perm_b32 v69, v253, v206, s91
	v_perm_b32 v68, v205, v172, s91
	v_accvgpr_write_b32 a0, v61
	v_accvgpr_write_b32 a1, v254
	;; [unrolled: 1-line block ×4, first 2 shown]
	v_cvt_f32_f16_e32 v253, v64
	v_cvt_f32_f16_sdwa v64, v64 dst_sel:DWORD dst_unused:UNUSED_PAD src0_sel:WORD_1
	v_mfma_f32_16x16x16_f16 a[0:3], v[68:69], v[150:151], a[0:3]
	ds_read_u16 v61, v156 offset:416
	ds_read_u16 v68, v156 offset:944
	;; [unrolled: 1-line block ×4, first 2 shown]
	v_cvt_f32_f16_e32 v254, v62
	v_cvt_f32_f16_sdwa v62, v62 dst_sel:DWORD dst_unused:UNUSED_PAD src0_sel:WORD_1
	s_waitcnt lgkmcnt(2)
	v_perm_b32 v68, v68, v61, s91
	s_waitcnt lgkmcnt(0)
	v_perm_b32 v69, v206, v69, s91
	v_accvgpr_read_b32 v171, a0
	v_accvgpr_read_b32 v172, a1
	;; [unrolled: 1-line block ×4, first 2 shown]
	v_accvgpr_write_b32 a0, v253
	v_accvgpr_write_b32 a1, v64
	;; [unrolled: 1-line block ×4, first 2 shown]
	v_cvt_pk_f16_f32 v255, v205, v255
	v_cvt_pk_f16_f32 v205, v173, v187
	v_mfma_f32_16x16x16_f16 a[0:3], v[68:69], v[148:149], a[0:3]
	ds_read_u16 v206, v156 offset:17312
	ds_read_u16 v253, v156 offset:17840
	;; [unrolled: 1-line block ×4, first 2 shown]
	v_cvt_pk_f16_f32 v187, v238, v239
	v_cvt_pk_f16_f32 v239, v1, v52
	;; [unrolled: 1-line block ×4, first 2 shown]
	v_accvgpr_read_b32 v61, a0
	v_accvgpr_read_b32 v62, a1
	;; [unrolled: 1-line block ×4, first 2 shown]
	v_cvt_f16_f32_e32 v61, v61
	v_cvt_f16_f32_e32 v62, v62
	v_cvt_f16_f32_e32 v64, v64
	v_cvt_f16_f32_e32 v68, v68
	v_cvt_f32_f16_e32 v61, v61
	v_cvt_f32_f16_e32 v62, v62
	;; [unrolled: 1-line block ×4, first 2 shown]
	s_waitcnt lgkmcnt(0)
	v_perm_b32 v69, v254, v69, s91
	v_perm_b32 v68, v253, v206, s91
	v_accvgpr_write_b32 a0, v61
	v_accvgpr_write_b32 a1, v62
	;; [unrolled: 1-line block ×4, first 2 shown]
	v_cvt_f32_f16_e32 v254, v60
	v_cvt_pk_f16_f32 v236, v74, v75
	v_mfma_f32_16x16x16_f16 a[0:3], v[68:69], v[150:151], a[0:3]
	ds_read_u16 v69, v156 offset:448
	ds_read_u16 v206, v156 offset:976
	;; [unrolled: 1-line block ×4, first 2 shown]
	v_cvt_pk_f16_f32 v178, v189, v194
	s_waitcnt lgkmcnt(2)
	v_perm_b32 v60, v206, v69, s91
	s_waitcnt lgkmcnt(0)
	v_perm_b32 v61, v253, v61, s91
	v_accvgpr_read_b32 v47, a0
	v_accvgpr_read_b32 v62, a1
	;; [unrolled: 1-line block ×4, first 2 shown]
	v_accvgpr_write_b32 a0, v254
	v_accvgpr_write_b32 a1, v193
	;; [unrolled: 1-line block ×4, first 2 shown]
	ds_read_u16 v76, v156 offset:17344
	ds_read_u16 v77, v156 offset:17872
	;; [unrolled: 1-line block ×4, first 2 shown]
	v_mfma_f32_16x16x16_f16 a[0:3], v[60:61], v[148:149], a[0:3]
	s_nop 7
	v_accvgpr_read_b32 v58, a0
	v_accvgpr_read_b32 v60, a1
	;; [unrolled: 1-line block ×4, first 2 shown]
	v_cvt_f16_f32_e32 v58, v58
	v_cvt_f16_f32_e32 v60, v60
	;; [unrolled: 1-line block ×4, first 2 shown]
	v_cvt_f32_f16_e32 v58, v58
	v_cvt_f32_f16_e32 v253, v60
	;; [unrolled: 1-line block ×4, first 2 shown]
	s_waitcnt lgkmcnt(0)
	v_perm_b32 v61, v206, v193, s91
	v_perm_b32 v60, v77, v76, s91
	v_accvgpr_write_b32 a0, v58
	v_accvgpr_write_b32 a1, v253
	;; [unrolled: 1-line block ×4, first 2 shown]
	v_cvt_f32_f16_e32 v253, v56
	v_cvt_f32_f16_sdwa v56, v56 dst_sel:DWORD dst_unused:UNUSED_PAD src0_sel:WORD_1
	v_mfma_f32_16x16x16_f16 a[0:3], v[60:61], v[150:151], a[0:3]
	ds_read_u16 v60, v156 offset:480
	ds_read_u16 v193, v156 offset:1008
	;; [unrolled: 1-line block ×4, first 2 shown]
	v_cvt_f32_f16_e32 v254, v54
	v_cvt_f32_f16_sdwa v54, v54 dst_sel:DWORD dst_unused:UNUSED_PAD src0_sel:WORD_1
	s_waitcnt lgkmcnt(2)
	v_perm_b32 v60, v193, v60, s91
	s_waitcnt lgkmcnt(0)
	v_perm_b32 v61, v206, v61, s91
	v_accvgpr_read_b32 v58, a0
	v_accvgpr_read_b32 v69, a1
	v_accvgpr_read_b32 v76, a2
	v_accvgpr_read_b32 v77, a3
	v_accvgpr_write_b32 a0, v253
	v_accvgpr_write_b32 a1, v56
	;; [unrolled: 1-line block ×4, first 2 shown]
	s_nop 1
	v_mfma_f32_16x16x16_f16 a[0:3], v[60:61], v[148:149], a[0:3]
	ds_read_u16 v148, v156 offset:17376
	ds_read_u16 v149, v156 offset:17904
	;; [unrolled: 1-line block ×4, first 2 shown]
	s_waitcnt lgkmcnt(0)
	s_barrier
	s_nop 1
	v_accvgpr_read_b32 v54, a0
	v_accvgpr_read_b32 v56, a1
	;; [unrolled: 1-line block ×4, first 2 shown]
	v_cvt_f16_f32_e32 v54, v54
	v_cvt_f16_f32_e32 v56, v56
	;; [unrolled: 1-line block ×4, first 2 shown]
	v_cvt_f32_f16_e32 v54, v54
	v_cvt_f32_f16_e32 v56, v56
	;; [unrolled: 1-line block ×4, first 2 shown]
	v_perm_b32 v61, v206, v193, s91
	v_perm_b32 v60, v149, v148, s91
	v_accvgpr_write_b32 a0, v54
	v_accvgpr_write_b32 a1, v56
	;; [unrolled: 1-line block ×4, first 2 shown]
	v_cvt_pk_f16_f32 v254, v47, v62
	v_cvt_pk_f16_f32 v253, v64, v68
	v_mfma_f32_16x16x16_f16 a[0:3], v[60:61], v[150:151], a[0:3]
	v_cvt_pk_f16_f32 v151, v58, v69
	v_cvt_pk_f16_f32 v150, v76, v77
	;; [unrolled: 1-line block ×8, first 2 shown]
	v_accvgpr_read_b32 v54, a0
	v_accvgpr_read_b32 v56, a1
	v_accvgpr_read_b32 v60, a2
	v_accvgpr_read_b32 v61, a3
	v_cvt_pk_f16_f32 v148, v54, v56
	v_cvt_pk_f16_f32 v149, v60, v61
	v_cvt_pk_f16_f32 v60, v180, v181
	v_cvt_pk_f16_f32 v181, v183, v185
	v_cvt_pk_f16_f32 v200, v168, v169
	v_cvt_pk_f16_f32 v58, v198, v234
	v_cvt_pk_f16_f32 v198, v196, v197
	v_cvt_pk_f16_f32 v56, v55, v59
	v_cvt_pk_f16_f32 v235, v188, v195
	v_cvt_pk_f16_f32 v197, v9, v51
	s_cbranch_vccnz .LBB29_181
; %bb.182:                              ;   in Loop: Header=BB29_12 Depth=1
	v_lshlrev_b32_e32 v12, 6, v12
	v_mov_b64_e32 v[2:3], v[12:13]
	s_branch .LBB29_184
.LBB29_183:                             ;   in Loop: Header=BB29_12 Depth=1
	v_mov_b32_e32 v246, 0xfeffffff
	v_mov_b32_e32 v248, 0
	;; [unrolled: 1-line block ×3, first 2 shown]
	v_mov_b64_e32 v[2:3], 0
	v_mov_b32_e32 v197, 0
	v_mov_b32_e32 v235, 0
	;; [unrolled: 1-line block ×31, first 2 shown]
.LBB29_184:                             ;   in Loop: Header=BB29_12 Depth=1
	v_lshlrev_b64 v[52:53], 1, v[2:3]
	v_mad_i64_i32 v[4:5], s[8:9], v249, s38, 0
	v_lshl_add_u64 v[52:53], v[116:117], 0, v[52:53]
	v_lshl_add_u64 v[4:5], v[4:5], 1, v[52:53]
	v_lshlrev_b32_e32 v12, 1, v46
	v_lshl_add_u64 v[4:5], v[4:5], 0, v[12:13]
	global_load_dword v1, v[4:5], off
	v_mul_hi_u32 v3, v2, s14
	v_mul_lo_u32 v4, v2, s14
	v_lshlrev_b32_e32 v12, 2, v10
	v_cmp_lt_i32_e32 vcc, v247, v244
	s_waitcnt vmcnt(0)
	ds_write_b32 v161, v1 offset:33792
	v_mul_lo_u32 v1, v2, s15
	v_add_u32_e32 v5, v3, v1
	v_lshlrev_b64 v[4:5], 2, v[4:5]
	v_lshl_add_u64 v[4:5], v[114:115], 0, v[4:5]
	v_lshl_add_u64 v[54:55], v[16:17], 2, v[4:5]
	;; [unrolled: 1-line block ×15, first 2 shown]
	global_load_dwordx4 v[52:55], v[52:53], off
	v_lshl_add_u64 v[4:5], v[28:29], 2, v[4:5]
	v_lshl_add_u64 v[4:5], v[4:5], 0, v[12:13]
	v_add_u32_e32 v1, 0x4000, v154
	s_waitcnt vmcnt(0)
	ds_write_b128 v152, v[52:55]
	global_load_dwordx4 v[52:55], v[68:69], off
	s_waitcnt vmcnt(0)
	ds_write_b128 v208, v[52:55]
	global_load_dwordx4 v[52:55], v[74:75], off
	;; [unrolled: 3-line block ×7, first 2 shown]
	s_waitcnt vmcnt(0)
	ds_write_b128 v214, v[52:55]
	s_waitcnt lgkmcnt(0)
	s_barrier
	ds_read2_b64 v[52:55], v154 offset1:4
	s_waitcnt lgkmcnt(0)
	v_mfma_f32_16x16x16_f16 a[0:3], v[52:53], a[32:33], 0
	v_mfma_f32_16x16x16_f16 a[0:3], v[54:55], a[34:35], a[0:3]
	ds_read2_b64 v[52:55], v154 offset0:8 offset1:12
	s_waitcnt lgkmcnt(0)
	v_mfma_f32_16x16x16_f16 a[0:3], v[52:53], a[28:29], a[0:3]
	v_mfma_f32_16x16x16_f16 a[0:3], v[54:55], a[30:31], a[0:3]
	ds_read2_b64 v[52:55], v154 offset0:16 offset1:20
	;; [unrolled: 4-line block ×15, first 2 shown]
	v_add_u32_e32 v1, 0x8400, v155
	s_waitcnt lgkmcnt(0)
	s_barrier
	ds_read2_b32 v[4:5], v1 offset1:1
	v_mfma_f32_16x16x16_f16 a[8:11], v[52:53], a[4:5], a[8:11]
	s_waitcnt lgkmcnt(0)
	v_cvt_f32_f16_e32 v1, v4
	v_cvt_f32_f16_sdwa v3, v4 dst_sel:DWORD dst_unused:UNUSED_PAD src0_sel:WORD_1
	v_accvgpr_read_b32 v4, a0
	v_mfma_f32_16x16x16_f16 a[4:7], v[54:55], a[6:7], a[8:11]
	v_add_f32_e32 v47, v4, v1
	v_accvgpr_read_b32 v1, a1
	v_add_f32_e32 v52, v1, v3
	v_cvt_f32_f16_e32 v1, v5
	v_cvt_f32_f16_sdwa v3, v5 dst_sel:DWORD dst_unused:UNUSED_PAD src0_sel:WORD_1
	v_accvgpr_read_b32 v4, a2
	v_add_f32_e32 v54, 0x40051340, v52
	v_add_f32_e32 v51, v4, v1
	v_accvgpr_read_b32 v1, a3
	v_add_f32_e32 v9, v1, v3
	ds_read_b32 v1, v162 offset:33792
	v_accvgpr_read_b32 v4, a4
	v_accvgpr_read_b32 v53, a6
	v_add_f32_e32 v55, 0x40051340, v9
	s_waitcnt lgkmcnt(0)
	v_cvt_f32_f16_e32 v3, v1
	v_cvt_f32_f16_sdwa v1, v1 dst_sel:DWORD dst_unused:UNUSED_PAD src0_sel:WORD_1
	v_add_f32_e32 v5, v4, v3
	v_accvgpr_read_b32 v3, a5
	v_add_f32_e32 v4, v3, v1
	ds_read_b32 v1, v163 offset:33792
	s_waitcnt lgkmcnt(0)
	v_cvt_f32_f16_e32 v3, v1
	v_cvt_f32_f16_sdwa v1, v1 dst_sel:DWORD dst_unused:UNUSED_PAD src0_sel:WORD_1
	v_add_f32_e32 v3, v53, v3
	v_accvgpr_read_b32 v53, a7
	v_add_f32_e32 v1, v53, v1
	v_add_f32_e32 v53, 0x40051340, v47
	v_max3_f32 v53, v246, v53, v54
	v_add_f32_e32 v54, 0x40051340, v51
	v_max3_f32 v53, v53, v54, v55
	v_add_f32_e32 v54, 0x40051340, v5
	v_add_f32_e32 v55, 0x40051340, v4
	v_max3_f32 v53, v53, v54, v55
	v_add_f32_e32 v54, 0x40051340, v3
	v_add_f32_e32 v55, 0x40051340, v1
	v_max3_f32 v53, v53, v54, v55
	v_cndmask_b32_e32 v54, v243, v247, vcc
	v_lshlrev_b32_e32 v115, 2, v54
	ds_bpermute_b32 v54, v115, v53
	v_cmp_lt_i32_e32 vcc, v245, v244
	s_waitcnt lgkmcnt(0)
	v_max_f32_e32 v54, v54, v54
	v_max_f32_e32 v53, v53, v54
	v_cndmask_b32_e32 v54, v243, v245, vcc
	v_lshlrev_b32_e32 v116, 2, v54
	ds_bpermute_b32 v54, v116, v53
	s_waitcnt lgkmcnt(0)
	v_max_f32_e32 v54, v54, v54
	v_max_f32_e32 v114, v53, v54
	v_sub_f32_e32 v47, v47, v114
	v_mul_f32_e32 v53, 0x3fb8aa3b, v47
	v_fma_f32 v54, v47, s39, -v53
	v_rndne_f32_e32 v55, v53
	v_fmac_f32_e32 v54, 0x32a5705f, v47
	v_sub_f32_e32 v53, v53, v55
	v_add_f32_e32 v53, v53, v54
	v_exp_f32_e32 v53, v53
	v_cvt_i32_f32_e32 v54, v55
	v_cmp_ngt_f32_e32 vcc, s63, v47
	v_sub_f32_e32 v51, v51, v114
	v_sub_f32_e32 v9, v9, v114
	v_ldexp_f32 v53, v53, v54
	v_cndmask_b32_e32 v53, 0, v53, vcc
	v_cmp_nlt_f32_e32 vcc, s89, v47
	v_sub_f32_e32 v47, v52, v114
	v_mul_f32_e32 v52, 0x3fb8aa3b, v47
	v_cndmask_b32_e32 v61, v242, v53, vcc
	v_fma_f32 v53, v47, s39, -v52
	v_rndne_f32_e32 v54, v52
	v_fmac_f32_e32 v53, 0x32a5705f, v47
	v_sub_f32_e32 v52, v52, v54
	v_add_f32_e32 v52, v52, v53
	v_exp_f32_e32 v52, v52
	v_cvt_i32_f32_e32 v53, v54
	v_cmp_ngt_f32_e32 vcc, s63, v47
	v_sub_f32_e32 v5, v5, v114
	v_sub_f32_e32 v4, v4, v114
	v_ldexp_f32 v52, v52, v53
	v_cndmask_b32_e32 v52, 0, v52, vcc
	v_cmp_nlt_f32_e32 vcc, s89, v47
	v_sub_f32_e32 v3, v3, v114
	v_sub_f32_e32 v1, v1, v114
	v_cndmask_b32_e32 v118, v242, v52, vcc
	v_mul_f32_e32 v52, 0x3fb8aa3b, v51
	v_fma_f32 v53, v51, s39, -v52
	v_rndne_f32_e32 v54, v52
	v_fmac_f32_e32 v53, 0x32a5705f, v51
	v_sub_f32_e32 v52, v52, v54
	v_add_f32_e32 v52, v52, v53
	v_exp_f32_e32 v52, v52
	v_cvt_i32_f32_e32 v53, v54
	v_cmp_ngt_f32_e32 vcc, s63, v51
	v_add_f32_e32 v47, v61, v118
	v_ldexp_f32 v52, v52, v53
	v_cndmask_b32_e32 v52, 0, v52, vcc
	v_cmp_nlt_f32_e32 vcc, s89, v51
	v_mul_f32_e32 v51, 0x3fb8aa3b, v9
	v_rndne_f32_e32 v54, v51
	v_cndmask_b32_e32 v53, v242, v52, vcc
	v_fma_f32 v52, v9, s39, -v51
	v_fmac_f32_e32 v52, 0x32a5705f, v9
	v_sub_f32_e32 v51, v51, v54
	v_add_f32_e32 v51, v51, v52
	v_exp_f32_e32 v51, v51
	v_cvt_i32_f32_e32 v52, v54
	v_cmp_ngt_f32_e32 vcc, s63, v9
	v_add_f32_e32 v47, v53, v47
	v_ldexp_f32 v51, v51, v52
	v_cndmask_b32_e32 v51, 0, v51, vcc
	v_cmp_nlt_f32_e32 vcc, s89, v9
	s_nop 1
	v_cndmask_b32_e32 v55, v242, v51, vcc
	v_add_f32_e32 v9, v55, v47
	v_mul_f32_e32 v47, 0x3fb8aa3b, v5
	v_fma_f32 v51, v5, s39, -v47
	v_rndne_f32_e32 v52, v47
	v_fmac_f32_e32 v51, 0x32a5705f, v5
	v_sub_f32_e32 v47, v47, v52
	v_add_f32_e32 v47, v47, v51
	v_exp_f32_e32 v47, v47
	v_cvt_i32_f32_e32 v51, v52
	v_cmp_ngt_f32_e32 vcc, s63, v5
	v_ldexp_f32 v47, v47, v51
	s_nop 0
	v_cndmask_b32_e32 v47, 0, v47, vcc
	v_cmp_nlt_f32_e32 vcc, s89, v5
	s_nop 1
	v_cndmask_b32_e32 v57, v242, v47, vcc
	v_add_f32_e32 v5, v57, v9
	v_mul_f32_e32 v9, 0x3fb8aa3b, v4
	v_fma_f32 v47, v4, s39, -v9
	v_rndne_f32_e32 v51, v9
	v_fmac_f32_e32 v47, 0x32a5705f, v4
	v_sub_f32_e32 v9, v9, v51
	v_add_f32_e32 v9, v9, v47
	v_exp_f32_e32 v9, v9
	v_cvt_i32_f32_e32 v47, v51
	v_cmp_ngt_f32_e32 vcc, s63, v4
	v_ldexp_f32 v9, v9, v47
	s_nop 0
	v_cndmask_b32_e32 v9, 0, v9, vcc
	v_cmp_nlt_f32_e32 vcc, s89, v4
	s_nop 1
	v_cndmask_b32_e32 v59, v242, v9, vcc
	v_add_f32_e32 v4, v59, v5
	v_mul_f32_e32 v5, 0x3fb8aa3b, v3
	v_fma_f32 v9, v3, s39, -v5
	v_rndne_f32_e32 v47, v5
	v_fmac_f32_e32 v9, 0x32a5705f, v3
	v_sub_f32_e32 v5, v5, v47
	v_add_f32_e32 v5, v5, v9
	v_exp_f32_e32 v5, v5
	v_cvt_i32_f32_e32 v9, v47
	v_cmp_ngt_f32_e32 vcc, s63, v3
	v_ldexp_f32 v5, v5, v9
	s_nop 0
	v_cndmask_b32_e32 v5, 0, v5, vcc
	v_cmp_nlt_f32_e32 vcc, s89, v3
	s_nop 1
	v_cndmask_b32_e32 v119, v242, v5, vcc
	v_add_f32_e32 v3, v119, v4
	v_mul_f32_e32 v4, 0x3fb8aa3b, v1
	v_fma_f32 v5, v1, s39, -v4
	v_rndne_f32_e32 v9, v4
	v_fmac_f32_e32 v5, 0x32a5705f, v1
	v_sub_f32_e32 v4, v4, v9
	v_add_f32_e32 v4, v4, v5
	v_exp_f32_e32 v4, v4
	v_cvt_i32_f32_e32 v5, v9
	v_cmp_ngt_f32_e32 vcc, s63, v1
	v_ldexp_f32 v4, v4, v5
	s_nop 0
	v_cndmask_b32_e32 v4, 0, v4, vcc
	v_cmp_nlt_f32_e32 vcc, s89, v1
	v_sub_f32_e32 v1, v246, v114
	s_nop 0
	v_cndmask_b32_e32 v120, v242, v4, vcc
	v_add_f32_e32 v117, v120, v3
	v_mul_f32_e32 v3, 0x3fb8aa3b, v1
	v_fma_f32 v4, v1, s39, -v3
	v_rndne_f32_e32 v5, v3
	v_fmac_f32_e32 v4, 0x32a5705f, v1
	v_sub_f32_e32 v3, v3, v5
	v_add_f32_e32 v3, v3, v4
	v_exp_f32_e32 v3, v3
	v_cvt_i32_f32_e32 v4, v5
	v_cmp_ngt_f32_e32 vcc, s63, v1
	v_ldexp_f32 v3, v3, v4
	s_nop 0
	v_cndmask_b32_e32 v3, 0, v3, vcc
	v_cmp_nlt_f32_e32 vcc, s89, v1
	v_mul_hi_u32 v4, v2, s34
	s_nop 0
	v_cndmask_b32_e32 v3, v242, v3, vcc
	v_cmp_le_f32_e32 vcc, s90, v1
	s_nop 1
	v_cndmask_b32_e32 v1, 0, v3, vcc
	v_fmac_f32_e32 v117, v248, v1
	v_cvt_f16_f32_e32 v1, v1
	v_cmp_ne_u64_e32 vcc, 0, v[110:111]
	s_and_b64 s[12:13], s[0:1], vcc
	v_mul_u32_u24_e32 v3, 0x10001, v1
	v_pk_mul_f16 v124, v197, v3
	v_pk_mul_f16 v123, v175, v3
	;; [unrolled: 1-line block ×32, first 2 shown]
	v_mul_lo_u32 v3, v2, s35
	v_add_u32_e32 v3, v4, v3
	v_mul_lo_u32 v2, v2, s34
	v_lshlrev_b64 v[2:3], 2, v[2:3]
	v_lshl_add_u64 v[2:3], v[112:113], 0, v[2:3]
	v_lshl_add_u64 v[4:5], v[30:31], 2, v[2:3]
	;; [unrolled: 1-line block ×11, first 2 shown]
	global_load_dwordx4 v[2:5], v[4:5], off
	v_lshl_add_u64 v[68:69], v[68:69], 0, v[12:13]
	v_lshl_add_u64 v[74:75], v[74:75], 0, v[12:13]
	;; [unrolled: 1-line block ×6, first 2 shown]
	v_cvt_f32_f16_e32 v12, v124
	v_cvt_f32_f16_sdwa v47, v124 dst_sel:DWORD dst_unused:UNUSED_PAD src0_sel:WORD_1
	v_cvt_f32_f16_e32 v56, v123
	v_cvt_f32_f16_sdwa v58, v123 dst_sel:DWORD dst_unused:UNUSED_PAD src0_sel:WORD_1
	v_accvgpr_write_b32 a0, v12
	v_accvgpr_write_b32 a1, v47
	v_accvgpr_write_b32 a2, v56
	v_accvgpr_write_b32 a3, v58
	s_waitcnt vmcnt(0)
	ds_write_b128 v152, v[2:5]
	global_load_dwordx4 v[2:5], v[68:69], off
	s_waitcnt vmcnt(0)
	ds_write_b128 v208, v[2:5]
	global_load_dwordx4 v[2:5], v[74:75], off
	;; [unrolled: 3-line block ×7, first 2 shown]
	s_waitcnt vmcnt(0)
	ds_write_b128 v214, v[2:5]
	s_waitcnt lgkmcnt(0)
	s_barrier
	ds_read_u16 v2, v156 offset:528
	ds_read_u16 v3, v156 offset:1056
	ds_read_u16 v4, v157
	ds_read_u16 v68, v157 offset:32
	v_cvt_pk_f16_f32 v5, v53, v55
	s_waitcnt lgkmcnt(1)
	v_perm_b32 v3, v4, v3, s91
	ds_read_u16 v4, v156
	ds_read_u16 v69, v156 offset:32
	ds_read_u16 v53, v156 offset:16896
	ds_read_u16 v55, v156 offset:17424
	ds_read_u16 v56, v156 offset:17952
	ds_read_u16 v58, v157 offset:16896
	s_waitcnt lgkmcnt(5)
	v_perm_b32 v2, v2, v4, s91
	v_cvt_pk_f16_f32 v4, v61, v118
	s_waitcnt lgkmcnt(0)
	v_perm_b32 v61, v58, v56, s91
	v_perm_b32 v60, v55, v53, s91
	v_mfma_f32_16x16x16_f16 a[0:3], v[2:3], v[4:5], a[0:3]
	v_cvt_f32_f16_e32 v55, v51
	v_cvt_f32_f16_sdwa v51, v51 dst_sel:DWORD dst_unused:UNUSED_PAD src0_sel:WORD_1
	s_nop 5
	v_accvgpr_read_b32 v2, a0
	v_accvgpr_read_b32 v3, a1
	;; [unrolled: 1-line block ×4, first 2 shown]
	v_cvt_f16_f32_e32 v2, v2
	v_cvt_f16_f32_e32 v3, v3
	;; [unrolled: 1-line block ×4, first 2 shown]
	v_cvt_f32_f16_e32 v62, v2
	v_cvt_f32_f16_e32 v64, v3
	;; [unrolled: 1-line block ×4, first 2 shown]
	v_cvt_pk_f16_f32 v3, v119, v120
	v_cvt_pk_f16_f32 v2, v57, v59
	v_accvgpr_write_b32 a0, v62
	v_accvgpr_write_b32 a1, v64
	v_accvgpr_write_b32 a2, v12
	v_accvgpr_write_b32 a3, v47
	v_cvt_f32_f16_e32 v59, v9
	v_cvt_f32_f16_sdwa v9, v9 dst_sel:DWORD dst_unused:UNUSED_PAD src0_sel:WORD_1
	v_mfma_f32_16x16x16_f16 a[0:3], v[60:61], v[2:3], a[0:3]
	v_cvt_f32_f16_sdwa v61, v121 dst_sel:DWORD dst_unused:UNUSED_PAD src0_sel:WORD_1
	s_nop 6
	v_accvgpr_read_b32 v12, a2
	v_accvgpr_read_b32 v47, a3
	v_cvt_f16_f32_e32 v12, v12
	v_cvt_f16_f32_e32 v47, v47
	v_accvgpr_read_b32 v58, a0
	v_accvgpr_read_b32 v60, a1
	v_accvgpr_write_b32 a0, v55
	v_perm_b32 v12, v47, v12, s91
	ds_read_u16 v47, v156 offset:560
	ds_read_u16 v53, v156 offset:1088
	v_accvgpr_write_b32 a1, v51
	v_accvgpr_write_b32 a2, v59
	;; [unrolled: 1-line block ×3, first 2 shown]
	s_waitcnt lgkmcnt(1)
	v_perm_b32 v56, v47, v69, s91
	s_waitcnt lgkmcnt(0)
	v_perm_b32 v57, v68, v53, s91
	v_cvt_f16_f32_e32 v62, v58
	v_cvt_f16_f32_e32 v64, v60
	v_mfma_f32_16x16x16_f16 a[0:3], v[56:57], v[4:5], a[0:3]
	ds_read_u16 v55, v156 offset:16928
	ds_read_u16 v56, v156 offset:17456
	;; [unrolled: 1-line block ×4, first 2 shown]
	v_perm_b32 v62, v64, v62, s91
	s_waitcnt lgkmcnt(2)
	v_perm_b32 v56, v56, v55, s91
	s_nop 0
	v_accvgpr_read_b32 v9, a0
	v_accvgpr_read_b32 v47, a1
	;; [unrolled: 1-line block ×4, first 2 shown]
	v_cvt_f16_f32_e32 v9, v9
	v_cvt_f16_f32_e32 v47, v47
	;; [unrolled: 1-line block ×4, first 2 shown]
	v_cvt_f32_f16_e32 v9, v9
	v_cvt_f32_f16_e32 v47, v47
	;; [unrolled: 1-line block ×4, first 2 shown]
	s_waitcnt lgkmcnt(0)
	v_perm_b32 v57, v59, v57, s91
	v_accvgpr_write_b32 a0, v9
	v_accvgpr_write_b32 a1, v47
	;; [unrolled: 1-line block ×4, first 2 shown]
	v_cvt_f32_f16_e32 v55, v122
	v_cvt_f32_f16_e32 v59, v121
	v_mfma_f32_16x16x16_f16 a[0:3], v[56:57], v[2:3], a[0:3]
	v_cvt_f32_f16_sdwa v57, v122 dst_sel:DWORD dst_unused:UNUSED_PAD src0_sel:WORD_1
	s_nop 6
	v_accvgpr_read_b32 v9, a2
	v_accvgpr_read_b32 v47, a3
	v_cvt_f16_f32_e32 v9, v9
	v_cvt_f16_f32_e32 v47, v47
	v_accvgpr_read_b32 v113, a0
	v_accvgpr_read_b32 v118, a1
	v_accvgpr_write_b32 a0, v55
	v_perm_b32 v56, v47, v9, s91
	ds_read_u16 v9, v156 offset:64
	ds_read_u16 v47, v156 offset:592
	;; [unrolled: 1-line block ×4, first 2 shown]
	v_accvgpr_write_b32 a1, v57
	v_accvgpr_write_b32 a2, v59
	s_waitcnt lgkmcnt(2)
	v_perm_b32 v68, v47, v9, s91
	v_accvgpr_write_b32 a3, v61
	s_waitcnt lgkmcnt(0)
	v_perm_b32 v69, v53, v51, s91
	ds_read_u16 v55, v156 offset:16960
	ds_read_u16 v57, v156 offset:17488
	ds_read_u16 v59, v156 offset:18016
	ds_read_u16 v61, v157 offset:16960
	v_mfma_f32_16x16x16_f16 a[0:3], v[68:69], v[4:5], a[0:3]
	s_waitcnt lgkmcnt(0)
	v_perm_b32 v69, v61, v59, s91
	v_perm_b32 v68, v57, v55, s91
	v_cvt_f32_f16_e32 v55, v52
	v_cvt_f32_f16_sdwa v57, v52 dst_sel:DWORD dst_unused:UNUSED_PAD src0_sel:WORD_1
	v_cvt_f32_f16_e32 v59, v1
	s_nop 1
	v_accvgpr_read_b32 v9, a0
	v_accvgpr_read_b32 v47, a1
	;; [unrolled: 1-line block ×4, first 2 shown]
	v_cvt_f16_f32_e32 v9, v9
	v_cvt_f16_f32_e32 v47, v47
	;; [unrolled: 1-line block ×4, first 2 shown]
	v_cvt_f32_f16_e32 v9, v9
	v_cvt_f32_f16_e32 v47, v47
	;; [unrolled: 1-line block ×4, first 2 shown]
	v_accvgpr_write_b32 a0, v9
	v_accvgpr_write_b32 a1, v47
	;; [unrolled: 1-line block ×4, first 2 shown]
	v_cvt_f32_f16_sdwa v1, v1 dst_sel:DWORD dst_unused:UNUSED_PAD src0_sel:WORD_1
	v_cvt_f32_f16_sdwa v61, v126 dst_sel:DWORD dst_unused:UNUSED_PAD src0_sel:WORD_1
	v_mfma_f32_16x16x16_f16 a[0:3], v[68:69], v[2:3], a[0:3]
	v_cvt_f16_f32_e32 v119, v113
	v_cvt_f16_f32_e32 v120, v118
	v_perm_b32 v119, v120, v119, s91
	s_nop 4
	v_accvgpr_read_b32 v9, a2
	v_accvgpr_read_b32 v47, a3
	v_cvt_f16_f32_e32 v9, v9
	v_cvt_f16_f32_e32 v47, v47
	v_accvgpr_read_b32 v122, a0
	v_accvgpr_read_b32 v123, a1
	v_accvgpr_write_b32 a0, v55
	v_perm_b32 v112, v47, v9, s91
	ds_read_u16 v9, v156 offset:96
	ds_read_u16 v47, v156 offset:624
	;; [unrolled: 1-line block ×4, first 2 shown]
	v_accvgpr_write_b32 a1, v57
	v_accvgpr_write_b32 a2, v59
	s_waitcnt lgkmcnt(2)
	v_perm_b32 v52, v47, v9, s91
	v_accvgpr_write_b32 a3, v1
	s_waitcnt lgkmcnt(0)
	v_perm_b32 v53, v53, v51, s91
	v_cvt_f32_f16_e32 v59, v126
	v_cvt_f16_f32_e32 v124, v122
	v_mfma_f32_16x16x16_f16 a[0:3], v[52:53], v[4:5], a[0:3]
	ds_read_u16 v52, v156 offset:16992
	ds_read_u16 v55, v156 offset:17520
	;; [unrolled: 1-line block ×4, first 2 shown]
	v_cvt_f16_f32_e32 v125, v123
	s_waitcnt lgkmcnt(2)
	v_perm_b32 v52, v55, v52, s91
	s_nop 0
	v_accvgpr_read_b32 v1, a0
	v_accvgpr_read_b32 v9, a1
	v_accvgpr_read_b32 v47, a2
	v_accvgpr_read_b32 v51, a3
	v_cvt_f16_f32_e32 v1, v1
	v_cvt_f16_f32_e32 v9, v9
	;; [unrolled: 1-line block ×4, first 2 shown]
	v_cvt_f32_f16_e32 v1, v1
	v_cvt_f32_f16_e32 v9, v9
	v_cvt_f32_f16_e32 v47, v47
	v_cvt_f32_f16_e32 v51, v51
	s_waitcnt lgkmcnt(0)
	v_perm_b32 v53, v57, v53, s91
	v_accvgpr_write_b32 a0, v1
	v_accvgpr_write_b32 a1, v9
	;; [unrolled: 1-line block ×4, first 2 shown]
	v_cvt_f32_f16_e32 v55, v136
	v_cvt_f32_f16_sdwa v57, v136 dst_sel:DWORD dst_unused:UNUSED_PAD src0_sel:WORD_1
	v_mfma_f32_16x16x16_f16 a[0:3], v[52:53], v[2:3], a[0:3]
	v_perm_b32 v124, v125, v124, s91
	s_nop 6
	v_accvgpr_read_b32 v1, a2
	v_accvgpr_read_b32 v9, a3
	v_cvt_f16_f32_e32 v1, v1
	v_cvt_f16_f32_e32 v9, v9
	v_accvgpr_read_b32 v129, a0
	v_accvgpr_read_b32 v130, a1
	v_accvgpr_write_b32 a0, v55
	v_perm_b32 v121, v9, v1, s91
	ds_read_u16 v1, v156 offset:128
	ds_read_u16 v9, v156 offset:656
	ds_read_u16 v47, v156 offset:1184
	ds_read_u16 v51, v157 offset:128
	v_accvgpr_write_b32 a1, v57
	v_accvgpr_write_b32 a2, v59
	s_waitcnt lgkmcnt(2)
	v_perm_b32 v52, v9, v1, s91
	v_accvgpr_write_b32 a3, v61
	s_waitcnt lgkmcnt(0)
	v_perm_b32 v53, v51, v47, s91
	v_cvt_f32_f16_e32 v59, v133
	v_cvt_f32_f16_sdwa v61, v133 dst_sel:DWORD dst_unused:UNUSED_PAD src0_sel:WORD_1
	v_mfma_f32_16x16x16_f16 a[0:3], v[52:53], v[4:5], a[0:3]
	ds_read_u16 v52, v156 offset:17024
	ds_read_u16 v55, v156 offset:17552
	ds_read_u16 v53, v156 offset:18080
	ds_read_u16 v57, v157 offset:17024
	v_cvt_f16_f32_e32 v131, v129
	v_cvt_f16_f32_e32 v132, v130
	s_nop 1
	v_accvgpr_read_b32 v1, a0
	v_accvgpr_read_b32 v9, a1
	v_accvgpr_read_b32 v47, a2
	v_accvgpr_read_b32 v51, a3
	v_cvt_f16_f32_e32 v1, v1
	v_cvt_f16_f32_e32 v9, v9
	v_cvt_f16_f32_e32 v47, v47
	v_cvt_f16_f32_e32 v51, v51
	v_cvt_f32_f16_e32 v1, v1
	v_cvt_f32_f16_e32 v9, v9
	v_cvt_f32_f16_e32 v47, v47
	v_cvt_f32_f16_e32 v51, v51
	s_waitcnt lgkmcnt(0)
	v_perm_b32 v53, v57, v53, s91
	v_perm_b32 v52, v55, v52, s91
	v_accvgpr_write_b32 a0, v1
	v_accvgpr_write_b32 a1, v9
	v_accvgpr_write_b32 a2, v47
	v_accvgpr_write_b32 a3, v51
	v_cvt_f32_f16_e32 v55, v143
	v_cvt_f32_f16_sdwa v57, v143 dst_sel:DWORD dst_unused:UNUSED_PAD src0_sel:WORD_1
	v_mfma_f32_16x16x16_f16 a[0:3], v[52:53], v[2:3], a[0:3]
	s_nop 7
	v_accvgpr_read_b32 v1, a2
	v_accvgpr_read_b32 v9, a3
	v_cvt_f16_f32_e32 v1, v1
	v_cvt_f16_f32_e32 v9, v9
	v_accvgpr_read_b32 v136, a0
	v_accvgpr_read_b32 v137, a1
	v_accvgpr_write_b32 a0, v55
	v_perm_b32 v126, v9, v1, s91
	ds_read_u16 v1, v156 offset:160
	ds_read_u16 v9, v156 offset:688
	ds_read_u16 v47, v156 offset:1216
	ds_read_u16 v51, v157 offset:160
	v_accvgpr_write_b32 a1, v57
	v_accvgpr_write_b32 a2, v59
	s_waitcnt lgkmcnt(2)
	v_perm_b32 v52, v9, v1, s91
	v_accvgpr_write_b32 a3, v61
	s_waitcnt lgkmcnt(0)
	v_perm_b32 v53, v51, v47, s91
	v_cvt_f32_f16_e32 v59, v140
	v_cvt_f32_f16_sdwa v61, v140 dst_sel:DWORD dst_unused:UNUSED_PAD src0_sel:WORD_1
	v_mfma_f32_16x16x16_f16 a[0:3], v[52:53], v[4:5], a[0:3]
	ds_read_u16 v52, v156 offset:17056
	ds_read_u16 v55, v156 offset:17584
	ds_read_u16 v53, v156 offset:18112
	ds_read_u16 v57, v157 offset:17056
	v_cvt_f16_f32_e32 v138, v136
	v_cvt_f16_f32_e32 v139, v137
	s_nop 1
	v_accvgpr_read_b32 v1, a0
	v_accvgpr_read_b32 v9, a1
	v_accvgpr_read_b32 v47, a2
	v_accvgpr_read_b32 v51, a3
	v_cvt_f16_f32_e32 v1, v1
	v_cvt_f16_f32_e32 v9, v9
	v_cvt_f16_f32_e32 v47, v47
	v_cvt_f16_f32_e32 v51, v51
	v_cvt_f32_f16_e32 v1, v1
	v_cvt_f32_f16_e32 v9, v9
	v_cvt_f32_f16_e32 v47, v47
	v_cvt_f32_f16_e32 v51, v51
	s_waitcnt lgkmcnt(0)
	v_perm_b32 v53, v57, v53, s91
	v_perm_b32 v52, v55, v52, s91
	v_accvgpr_write_b32 a0, v1
	v_accvgpr_write_b32 a1, v9
	v_accvgpr_write_b32 a2, v47
	v_accvgpr_write_b32 a3, v51
	v_cvt_f32_f16_e32 v55, v173
	v_cvt_f32_f16_sdwa v57, v173 dst_sel:DWORD dst_unused:UNUSED_PAD src0_sel:WORD_1
	v_mfma_f32_16x16x16_f16 a[0:3], v[52:53], v[2:3], a[0:3]
	;; [unrolled: 52-line block ×3, first 2 shown]
	s_nop 7
	v_accvgpr_read_b32 v1, a2
	v_accvgpr_read_b32 v9, a3
	v_cvt_f16_f32_e32 v1, v1
	v_cvt_f16_f32_e32 v9, v9
	v_accvgpr_read_b32 v148, a0
	v_accvgpr_read_b32 v149, a1
	v_accvgpr_write_b32 a0, v55
	v_perm_b32 v140, v9, v1, s91
	ds_read_u16 v1, v156 offset:224
	ds_read_u16 v9, v156 offset:752
	;; [unrolled: 1-line block ×4, first 2 shown]
	v_accvgpr_write_b32 a1, v57
	v_accvgpr_write_b32 a2, v59
	s_waitcnt lgkmcnt(2)
	v_perm_b32 v52, v9, v1, s91
	v_accvgpr_write_b32 a3, v54
	s_waitcnt lgkmcnt(0)
	v_perm_b32 v53, v51, v47, s91
	v_cvt_f32_f16_sdwa v57, v201 dst_sel:DWORD dst_unused:UNUSED_PAD src0_sel:WORD_1
	v_cvt_f32_f16_e32 v59, v200
	v_mfma_f32_16x16x16_f16 a[0:3], v[52:53], v[4:5], a[0:3]
	v_cvt_f16_f32_e32 v150, v148
	v_cvt_f16_f32_e32 v151, v149
	s_nop 5
	v_accvgpr_read_b32 v9, a1
	v_cvt_f16_f32_e32 v52, v9
	v_accvgpr_read_b32 v9, a2
	v_cvt_f16_f32_e32 v54, v9
	v_accvgpr_read_b32 v9, a3
	v_accvgpr_read_b32 v1, a0
	v_cvt_f16_f32_e32 v171, v9
	ds_read_u16 v61, v156 offset:17120
	ds_read_u16 v172, v156 offset:17648
	;; [unrolled: 1-line block ×4, first 2 shown]
	v_cvt_f16_f32_e32 v1, v1
	v_cvt_f32_f16_e32 v47, v52
	v_cvt_f32_f16_e32 v54, v54
	v_cvt_f32_f16_e32 v55, v171
	v_cvt_f32_f16_e32 v1, v1
	s_waitcnt lgkmcnt(0)
	v_perm_b32 v53, v51, v9, s91
	v_perm_b32 v52, v172, v61, s91
	v_accvgpr_write_b32 a1, v47
	v_accvgpr_write_b32 a0, v1
	v_accvgpr_write_b32 a2, v54
	v_accvgpr_write_b32 a3, v55
	v_cvt_f32_f16_e32 v55, v201
	v_cvt_f32_f16_sdwa v61, v200 dst_sel:DWORD dst_unused:UNUSED_PAD src0_sel:WORD_1
	v_mfma_f32_16x16x16_f16 a[0:3], v[52:53], v[2:3], a[0:3]
	s_nop 7
	v_accvgpr_read_b32 v1, a2
	v_accvgpr_read_b32 v9, a3
	v_cvt_f16_f32_e32 v1, v1
	v_cvt_f16_f32_e32 v9, v9
	v_accvgpr_read_b32 v174, a0
	v_accvgpr_read_b32 v176, a1
	v_accvgpr_write_b32 a0, v55
	v_perm_b32 v54, v9, v1, s91
	ds_read_u16 v1, v156 offset:256
	ds_read_u16 v9, v156 offset:784
	ds_read_u16 v47, v156 offset:1312
	ds_read_u16 v51, v157 offset:256
	v_accvgpr_write_b32 a1, v57
	v_accvgpr_write_b32 a2, v59
	s_waitcnt lgkmcnt(2)
	v_perm_b32 v52, v9, v1, s91
	v_accvgpr_write_b32 a3, v61
	s_waitcnt lgkmcnt(0)
	v_perm_b32 v53, v51, v47, s91
	v_cvt_f32_f16_e32 v59, v198
	v_cvt_f32_f16_sdwa v61, v198 dst_sel:DWORD dst_unused:UNUSED_PAD src0_sel:WORD_1
	v_mfma_f32_16x16x16_f16 a[0:3], v[52:53], v[4:5], a[0:3]
	ds_read_u16 v52, v156 offset:17152
	ds_read_u16 v55, v156 offset:17680
	ds_read_u16 v53, v156 offset:18208
	ds_read_u16 v57, v157 offset:17152
	v_cvt_f16_f32_e32 v177, v174
	v_cvt_f16_f32_e32 v179, v176
	s_nop 1
	v_accvgpr_read_b32 v1, a0
	v_accvgpr_read_b32 v9, a1
	v_accvgpr_read_b32 v47, a2
	v_accvgpr_read_b32 v51, a3
	v_cvt_f16_f32_e32 v1, v1
	v_cvt_f16_f32_e32 v9, v9
	v_cvt_f16_f32_e32 v47, v47
	v_cvt_f16_f32_e32 v51, v51
	v_cvt_f32_f16_e32 v1, v1
	v_cvt_f32_f16_e32 v9, v9
	v_cvt_f32_f16_e32 v47, v47
	v_cvt_f32_f16_e32 v51, v51
	s_waitcnt lgkmcnt(0)
	v_perm_b32 v53, v57, v53, s91
	v_perm_b32 v52, v55, v52, s91
	v_accvgpr_write_b32 a0, v1
	v_accvgpr_write_b32 a1, v9
	v_accvgpr_write_b32 a2, v47
	v_accvgpr_write_b32 a3, v51
	v_cvt_f32_f16_e32 v55, v199
	v_cvt_f32_f16_sdwa v57, v199 dst_sel:DWORD dst_unused:UNUSED_PAD src0_sel:WORD_1
	v_mfma_f32_16x16x16_f16 a[0:3], v[52:53], v[2:3], a[0:3]
	s_nop 7
	v_accvgpr_read_b32 v1, a2
	v_accvgpr_read_b32 v9, a3
	v_cvt_f16_f32_e32 v1, v1
	v_cvt_f16_f32_e32 v9, v9
	v_accvgpr_read_b32 v180, a0
	v_accvgpr_read_b32 v182, a1
	v_accvgpr_write_b32 a0, v55
	v_perm_b32 v172, v9, v1, s91
	ds_read_u16 v1, v156 offset:288
	ds_read_u16 v9, v156 offset:816
	ds_read_u16 v47, v156 offset:1344
	ds_read_u16 v51, v157 offset:288
	v_accvgpr_write_b32 a1, v57
	v_accvgpr_write_b32 a2, v59
	s_waitcnt lgkmcnt(2)
	v_perm_b32 v52, v9, v1, s91
	v_accvgpr_write_b32 a3, v61
	s_waitcnt lgkmcnt(0)
	v_perm_b32 v53, v51, v47, s91
	v_cvt_f32_f16_e32 v59, v184
	v_cvt_f32_f16_sdwa v61, v184 dst_sel:DWORD dst_unused:UNUSED_PAD src0_sel:WORD_1
	v_mfma_f32_16x16x16_f16 a[0:3], v[52:53], v[4:5], a[0:3]
	ds_read_u16 v52, v156 offset:17184
	ds_read_u16 v55, v156 offset:17712
	ds_read_u16 v53, v156 offset:18240
	ds_read_u16 v57, v157 offset:17184
	v_cvt_f16_f32_e32 v183, v180
	v_cvt_f16_f32_e32 v185, v182
	s_nop 1
	v_accvgpr_read_b32 v1, a0
	v_accvgpr_read_b32 v9, a1
	v_accvgpr_read_b32 v47, a2
	v_accvgpr_read_b32 v51, a3
	v_cvt_f16_f32_e32 v1, v1
	v_cvt_f16_f32_e32 v9, v9
	v_cvt_f16_f32_e32 v47, v47
	;; [unrolled: 52-line block ×7, first 2 shown]
	v_cvt_f16_f32_e32 v51, v51
	v_cvt_f32_f16_e32 v1, v1
	v_cvt_f32_f16_e32 v9, v9
	;; [unrolled: 1-line block ×4, first 2 shown]
	s_waitcnt lgkmcnt(0)
	v_perm_b32 v53, v57, v53, s91
	v_perm_b32 v52, v55, v52, s91
	v_accvgpr_write_b32 a0, v1
	v_accvgpr_write_b32 a1, v9
	;; [unrolled: 1-line block ×4, first 2 shown]
	v_cvt_f32_f16_e32 v55, v128
	v_cvt_f32_f16_sdwa v57, v128 dst_sel:DWORD dst_unused:UNUSED_PAD src0_sel:WORD_1
	v_mfma_f32_16x16x16_f16 a[0:3], v[52:53], v[2:3], a[0:3]
	v_perm_b32 v128, v132, v131, s91
	s_nop 6
	v_accvgpr_read_b32 v9, a2
	v_accvgpr_read_b32 v47, a3
	v_cvt_f16_f32_e32 v9, v9
	v_cvt_f16_f32_e32 v47, v47
	v_accvgpr_read_b32 v135, a0
	v_accvgpr_read_b32 v206, a1
	v_accvgpr_write_b32 a0, v55
	v_perm_b32 v134, v47, v9, s91
	ds_read_u16 v9, v156 offset:480
	ds_read_u16 v47, v156 offset:1008
	;; [unrolled: 1-line block ×4, first 2 shown]
	v_accvgpr_write_b32 a1, v57
	v_accvgpr_write_b32 a2, v59
	s_waitcnt lgkmcnt(2)
	v_perm_b32 v68, v47, v9, s91
	v_accvgpr_write_b32 a3, v61
	s_waitcnt lgkmcnt(0)
	v_perm_b32 v69, v53, v51, s91
	ds_read_u16 v127, v156 offset:17376
	ds_read_u16 v51, v156 offset:17904
	;; [unrolled: 1-line block ×4, first 2 shown]
	v_mfma_f32_16x16x16_f16 a[0:3], v[68:69], v[4:5], a[0:3]
	v_cvt_f16_f32_e32 v52, v135
	v_cvt_f16_f32_e32 v1, v206
	s_waitcnt lgkmcnt(0)
	s_barrier
	s_nop 3
	v_accvgpr_read_b32 v9, a2
	v_accvgpr_read_b32 v4, a0
	;; [unrolled: 1-line block ×3, first 2 shown]
	v_cvt_f16_f32_e32 v61, v9
	v_accvgpr_read_b32 v9, a3
	v_cvt_f16_f32_e32 v4, v4
	v_cvt_f16_f32_e32 v5, v5
	;; [unrolled: 1-line block ×3, first 2 shown]
	v_cvt_f32_f16_e32 v59, v61
	v_cvt_f32_f16_e32 v47, v4
	;; [unrolled: 1-line block ×4, first 2 shown]
	v_perm_b32 v5, v55, v53, s91
	v_perm_b32 v4, v51, v127, s91
	v_accvgpr_write_b32 a0, v47
	v_accvgpr_write_b32 a1, v57
	;; [unrolled: 1-line block ×4, first 2 shown]
	v_perm_b32 v1, v1, v52, s91
	v_perm_b32 v52, v201, v200, s91
	v_mfma_f32_16x16x16_f16 a[0:3], v[4:5], v[2:3], a[0:3]
	v_perm_b32 v53, v198, v197, s91
	v_perm_b32 v55, v189, v188, s91
	;; [unrolled: 1-line block ×6, first 2 shown]
	s_nop 1
	v_accvgpr_read_b32 v4, a2
	v_accvgpr_read_b32 v47, a3
	v_cvt_f16_f32_e32 v4, v4
	v_cvt_f16_f32_e32 v47, v47
	v_accvgpr_read_b32 v2, a0
	v_accvgpr_read_b32 v3, a1
	v_cvt_f16_f32_e32 v5, v2
	v_perm_b32 v4, v47, v4, s91
	ds_bpermute_b32 v47, v115, v117
	v_cvt_f16_f32_e32 v9, v3
	s_waitcnt lgkmcnt(0)
	v_add_f32_e32 v47, v117, v47
	ds_bpermute_b32 v51, v116, v47
	v_perm_b32 v5, v9, v5, s91
	v_perm_b32 v9, v171, v205, s91
	;; [unrolled: 1-line block ×3, first 2 shown]
	s_waitcnt lgkmcnt(0)
	v_add_f32_e32 v115, v47, v51
	v_perm_b32 v51, v194, v203, s91
	s_and_saveexec_b64 s[8:9], s[12:13]
	s_cbranch_execz .LBB29_186
; %bb.185:                              ;   in Loop: Header=BB29_12 Depth=1
	v_lshlrev_b32_e32 v1, 2, v66
	v_readfirstlane_b32 s12, v110
	v_readfirstlane_b32 s13, v111
	v_max_f32_e32 v59, v114, v114
	v_cvt_pk_f16_f32 v2, v2, v3
	v_cvt_pk_f16_f32 v5, v58, v60
	;; [unrolled: 1-line block ×4, first 2 shown]
	global_load_dword v1, v1, s[12:13]
	v_cvt_pk_f16_f32 v51, v129, v130
	v_cvt_pk_f16_f32 v52, v136, v137
	;; [unrolled: 1-line block ×11, first 2 shown]
	s_waitcnt vmcnt(0)
	v_max_f32_e32 v61, v1, v1
	v_max_f32_e32 v68, v59, v61
	v_sub_f32_e32 v59, v114, v68
	v_sub_f32_e32 v1, v1, v68
	v_mul_f32_e32 v61, 0x3fb8aa3b, v59
	v_mul_f32_e32 v62, 0x3fb8aa3b, v1
	v_fma_f32 v69, v59, s39, -v61
	v_rndne_f32_e32 v77, v61
	v_fma_f32 v110, v1, s39, -v62
	v_rndne_f32_e32 v111, v62
	v_fmac_f32_e32 v69, 0x32a5705f, v59
	v_sub_f32_e32 v61, v61, v77
	v_fmac_f32_e32 v110, 0x32a5705f, v1
	v_sub_f32_e32 v62, v62, v111
	v_add_f32_e32 v61, v61, v69
	v_cvt_i32_f32_e32 v77, v77
	v_add_f32_e32 v62, v62, v110
	v_exp_f32_e32 v61, v61
	v_cvt_i32_f32_e32 v111, v111
	v_exp_f32_e32 v62, v62
	v_cmp_ngt_f32_e32 vcc, s63, v59
	v_ldexp_f32 v3, v61, v77
	v_cvt_pk_f16_f32 v110, v135, v206
	v_ldexp_f32 v61, v62, v111
	v_cndmask_b32_e32 v3, 0, v3, vcc
	v_cmp_ngt_f32_e32 vcc, s63, v1
	s_nop 1
	v_cndmask_b32_e32 v61, 0, v61, vcc
	v_cmp_nlt_f32_e32 vcc, s89, v59
	s_nop 1
	v_cndmask_b32_e32 v3, v242, v3, vcc
	v_cmp_le_f32_e32 vcc, s90, v59
	s_nop 1
	v_cndmask_b32_e32 v3, 0, v3, vcc
	v_cvt_f16_f32_e32 v59, v3
	v_cmp_nlt_f32_e32 vcc, s89, v1
	s_nop 1
	v_cndmask_b32_e32 v69, v242, v61, vcc
	v_fmac_f32_e32 v69, v115, v3
	v_mul_u32_u24_e32 v3, 0x10001, v59
	v_pk_mul_f16 v62, v5, v3
	v_pk_mul_f16 v12, v12, v3
	;; [unrolled: 1-line block ×32, first 2 shown]
	v_mov_b64_e32 v[114:115], v[68:69]
.LBB29_186:                             ;   in Loop: Header=BB29_12 Depth=1
	s_or_b64 exec, exec, s[8:9]
	s_and_saveexec_b64 s[8:9], s[4:5]
; %bb.187:                              ;   in Loop: Header=BB29_12 Depth=1
	v_add_u32_e32 v2, 0, v164
	ds_write2_b32 v2, v114, v115 offset0:128 offset1:129
; %bb.188:                              ;   in Loop: Header=BB29_12 Depth=1
	s_or_b64 exec, exec, s[8:9]
	s_waitcnt lgkmcnt(0)
	s_barrier
	s_and_saveexec_b64 s[8:9], s[10:11]
	s_xor_b64 s[8:9], exec, s[8:9]
	s_cbranch_execz .LBB29_190
; %bb.189:                              ;   in Loop: Header=BB29_12 Depth=1
	s_barrier
                                        ; implicit-def: $vgpr116
.LBB29_190:                             ;   in Loop: Header=BB29_12 Depth=1
	s_andn2_saveexec_b64 s[8:9], s[8:9]
	s_cbranch_execz .LBB29_194
; %bb.191:                              ;   in Loop: Header=BB29_12 Depth=1
	v_add_u32_e32 v58, 0, v165
	ds_read_b64 v[2:3], v58 offset:512
	s_waitcnt lgkmcnt(0)
	s_barrier
	ds_bpermute_b32 v47, v116, v2
	v_max_f32_e32 v60, v2, v2
	s_waitcnt lgkmcnt(0)
	v_max_f32_e32 v47, v47, v47
	v_max_f32_e32 v47, v60, v47
	v_sub_f32_e32 v2, v2, v47
	v_mul_f32_e32 v47, 0x3fb8aa3b, v2
	v_fma_f32 v60, v2, s39, -v47
	v_rndne_f32_e32 v64, v47
	v_fmac_f32_e32 v60, 0x32a5705f, v2
	v_sub_f32_e32 v47, v47, v64
	v_add_f32_e32 v47, v47, v60
	v_cvt_i32_f32_e32 v64, v64
	v_exp_f32_e32 v47, v47
	v_cmp_ngt_f32_e32 vcc, s63, v2
	v_ldexp_f32 v47, v47, v64
	s_nop 0
	v_cndmask_b32_e32 v47, 0, v47, vcc
	v_cmp_nlt_f32_e32 vcc, s89, v2
	s_nop 1
	v_cndmask_b32_e32 v2, v242, v47, vcc
	v_mul_f32_e32 v3, v3, v2
	ds_bpermute_b32 v60, v116, v3
	s_and_saveexec_b64 s[12:13], s[6:7]
	s_cbranch_execz .LBB29_193
; %bb.192:                              ;   in Loop: Header=BB29_12 Depth=1
	s_waitcnt lgkmcnt(0)
	v_add_f32_e32 v3, v3, v60
	ds_write_b64 v58, v[2:3] offset:512
.LBB29_193:                             ;   in Loop: Header=BB29_12 Depth=1
	s_or_b64 exec, exec, s[12:13]
.LBB29_194:                             ;   in Loop: Header=BB29_12 Depth=1
	s_or_b64 exec, exec, s[8:9]
	v_add_u32_e32 v2, v153, v166
	ds_write2_b32 v2, v62, v12 offset1:1
	ds_write2_b32 v2, v119, v56 offset0:8 offset1:9
	ds_write2_b32 v2, v124, v112 offset0:16 offset1:17
	;; [unrolled: 1-line block ×15, first 2 shown]
	s_waitcnt lgkmcnt(0)
	s_barrier
	s_and_saveexec_b64 s[70:71], s[0:1]
	s_cbranch_execz .LBB29_10
; %bb.195:                              ;   in Loop: Header=BB29_12 Depth=1
	v_add_u32_e32 v1, v231, v73
	v_or_b32_e32 v2, v70, v11
	v_cmp_gt_i32_e32 vcc, s36, v1
	v_cmp_gt_i32_e64 s[8:9], s3, v2
	s_and_b64 s[72:73], vcc, s[8:9]
	v_mov_b32_e32 v2, 0x47
	s_and_saveexec_b64 s[12:13], s[72:73]
	s_cbranch_execz .LBB29_197
; %bb.196:                              ;   in Loop: Header=BB29_12 Depth=1
	ds_read2st64_b32 v[2:3], v191 offset1:1
	ds_read2st64_b32 v[4:5], v191 offset0:33 offset1:34
	ds_read2_b32 v[52:53], v167 offset0:128 offset1:129
	ds_read_b32 v12, v167 offset:8960
	v_mad_u64_u32 v[58:59], s[72:73], v1, s37, v[70:71]
	s_waitcnt lgkmcnt(3)
	v_cvt_f32_f16_sdwa v55, v2 dst_sel:DWORD dst_unused:UNUSED_PAD src0_sel:WORD_1
	v_cvt_f32_f16_e32 v54, v2
	s_waitcnt lgkmcnt(2)
	v_cvt_f32_f16_sdwa v57, v4 dst_sel:DWORD dst_unused:UNUSED_PAD src0_sel:WORD_1
	v_cvt_f32_f16_e32 v56, v4
	v_cvt_f32_f16_sdwa v59, v3 dst_sel:DWORD dst_unused:UNUSED_PAD src0_sel:WORD_1
	s_waitcnt lgkmcnt(1)
	v_pk_fma_f32 v[54:55], v[52:53], v[54:55], 0 op_sel_hi:[0,1,0]
	s_waitcnt lgkmcnt(0)
	v_pk_fma_f32 v[54:55], v[12:13], v[56:57], v[54:55] op_sel_hi:[0,1,1]
	v_div_scale_f32 v1, s[72:73], v53, v53, v55
	v_rcp_f32_e32 v2, v1
	v_lshl_add_u32 v56, v58, 7, v8
	v_cvt_f32_f16_e32 v58, v3
	v_cvt_f32_f16_sdwa v3, v5 dst_sel:DWORD dst_unused:UNUSED_PAD src0_sel:WORD_1
	v_fma_f32 v4, -v1, v2, 1.0
	v_fmac_f32_e32 v2, v4, v2
	v_div_scale_f32 v4, vcc, v55, v53, v55
	v_mul_f32_e32 v9, v4, v2
	v_fma_f32 v47, -v1, v9, v4
	v_fmac_f32_e32 v9, v47, v2
	v_fma_f32 v1, -v1, v9, v4
	v_div_scale_f32 v4, s[72:73], v53, v53, v54
	v_rcp_f32_e32 v47, v4
	v_div_fmas_f32 v1, v1, v2, v9
	v_div_fixup_f32 v55, v1, v53, v55
	v_cvt_f32_f16_e32 v2, v5
	v_fma_f32 v1, -v4, v47, 1.0
	v_fmac_f32_e32 v47, v1, v47
	v_div_scale_f32 v1, vcc, v54, v53, v54
	v_mul_f32_e32 v9, v1, v47
	v_fma_f32 v51, -v4, v9, v1
	v_fmac_f32_e32 v9, v51, v47
	v_fma_f32 v1, -v4, v9, v1
	v_pk_fma_f32 v[4:5], v[52:53], v[58:59], 0 op_sel_hi:[0,1,0]
	v_pk_fma_f32 v[2:3], v[12:13], v[2:3], v[4:5] op_sel_hi:[0,1,1]
	v_div_scale_f32 v4, s[72:73], v53, v53, v3
	v_rcp_f32_e32 v5, v4
	v_div_fmas_f32 v1, v1, v47, v9
	v_div_fixup_f32 v54, v1, v53, v54
	v_ashrrev_i32_e32 v57, 31, v56
	v_fma_f32 v1, -v4, v5, 1.0
	v_fmac_f32_e32 v5, v1, v5
	v_div_scale_f32 v1, vcc, v3, v53, v3
	v_mul_f32_e32 v9, v1, v5
	v_fma_f32 v12, -v4, v9, v1
	v_fmac_f32_e32 v9, v12, v5
	v_fma_f32 v1, -v4, v9, v1
	v_div_scale_f32 v4, s[72:73], v53, v53, v2
	v_rcp_f32_e32 v12, v4
	v_div_fmas_f32 v1, v1, v5, v9
	v_div_fixup_f32 v3, v1, v53, v3
	v_lshl_add_u64 v[56:57], v[56:57], 3, v[108:109]
	v_fma_f32 v1, -v4, v12, 1.0
	v_fmac_f32_e32 v12, v1, v12
	v_div_scale_f32 v1, vcc, v2, v53, v2
	v_mul_f32_e32 v5, v1, v12
	v_fma_f32 v9, -v4, v5, v1
	v_fmac_f32_e32 v5, v9, v12
	v_fma_f32 v1, -v4, v5, v1
	v_div_fmas_f32 v1, v1, v12, v5
	v_div_fixup_f32 v2, v1, v53, v2
	global_store_dwordx2 v[56:57], v[2:3], off offset:512
	v_mov_b32_e32 v2, 0
	global_store_dwordx2 v[56:57], v[54:55], off
.LBB29_197:                             ;   in Loop: Header=BB29_12 Depth=1
	s_or_b64 exec, exec, s[12:13]
	v_cmp_gt_i32_e32 vcc, s92, v2
	s_mov_b64 s[12:13], -1
	s_and_saveexec_b64 s[72:73], vcc
; %bb.198:                              ;   in Loop: Header=BB29_12 Depth=1
	v_cmp_eq_u32_e32 vcc, 0, v2
	s_orn2_b64 s[12:13], vcc, exec
; %bb.199:                              ;   in Loop: Header=BB29_12 Depth=1
	s_or_b64 exec, exec, s[72:73]
	s_and_b64 exec, exec, s[12:13]
	s_cbranch_execz .LBB29_10
; %bb.200:                              ;   in Loop: Header=BB29_12 Depth=1
	v_add_u32_e32 v1, v232, v73
	v_or_b32_e32 v2, v50, v11
	v_cmp_gt_i32_e32 vcc, s36, v1
	v_cmp_gt_i32_e64 s[12:13], s3, v2
	s_and_b64 s[72:73], vcc, s[12:13]
	v_mov_b32_e32 v2, 0x47
	s_and_saveexec_b64 s[12:13], s[72:73]
	s_cbranch_execz .LBB29_202
; %bb.201:                              ;   in Loop: Header=BB29_12 Depth=1
	ds_read2st64_b32 v[2:3], v192 offset1:1
	ds_read2st64_b32 v[4:5], v192 offset0:33 offset1:34
	v_accvgpr_read_b32 v9, a49
	ds_read2_b32 v[52:53], v9 offset0:128 offset1:129
	ds_read_b32 v12, v9 offset:8960
	v_mad_u64_u32 v[58:59], s[72:73], v1, s37, v[50:51]
	s_waitcnt lgkmcnt(3)
	v_cvt_f32_f16_sdwa v55, v2 dst_sel:DWORD dst_unused:UNUSED_PAD src0_sel:WORD_1
	v_cvt_f32_f16_e32 v54, v2
	s_waitcnt lgkmcnt(2)
	v_cvt_f32_f16_sdwa v57, v4 dst_sel:DWORD dst_unused:UNUSED_PAD src0_sel:WORD_1
	v_cvt_f32_f16_e32 v56, v4
	v_cvt_f32_f16_sdwa v59, v3 dst_sel:DWORD dst_unused:UNUSED_PAD src0_sel:WORD_1
	s_waitcnt lgkmcnt(1)
	v_pk_fma_f32 v[54:55], v[52:53], v[54:55], 0 op_sel_hi:[0,1,0]
	s_waitcnt lgkmcnt(0)
	v_pk_fma_f32 v[54:55], v[12:13], v[56:57], v[54:55] op_sel_hi:[0,1,1]
	v_div_scale_f32 v1, s[72:73], v53, v53, v55
	v_rcp_f32_e32 v2, v1
	v_lshl_add_u32 v56, v58, 7, v8
	v_cvt_f32_f16_e32 v58, v3
	v_cvt_f32_f16_sdwa v3, v5 dst_sel:DWORD dst_unused:UNUSED_PAD src0_sel:WORD_1
	v_fma_f32 v4, -v1, v2, 1.0
	v_fmac_f32_e32 v2, v4, v2
	v_div_scale_f32 v4, vcc, v55, v53, v55
	v_mul_f32_e32 v9, v4, v2
	v_fma_f32 v47, -v1, v9, v4
	v_fmac_f32_e32 v9, v47, v2
	v_fma_f32 v1, -v1, v9, v4
	v_div_scale_f32 v4, s[72:73], v53, v53, v54
	v_rcp_f32_e32 v47, v4
	v_div_fmas_f32 v1, v1, v2, v9
	v_div_fixup_f32 v55, v1, v53, v55
	v_cvt_f32_f16_e32 v2, v5
	v_fma_f32 v1, -v4, v47, 1.0
	v_fmac_f32_e32 v47, v1, v47
	v_div_scale_f32 v1, vcc, v54, v53, v54
	v_mul_f32_e32 v9, v1, v47
	v_fma_f32 v51, -v4, v9, v1
	v_fmac_f32_e32 v9, v51, v47
	v_fma_f32 v1, -v4, v9, v1
	v_pk_fma_f32 v[4:5], v[52:53], v[58:59], 0 op_sel_hi:[0,1,0]
	v_pk_fma_f32 v[2:3], v[12:13], v[2:3], v[4:5] op_sel_hi:[0,1,1]
	v_div_scale_f32 v4, s[72:73], v53, v53, v3
	v_rcp_f32_e32 v5, v4
	v_div_fmas_f32 v1, v1, v47, v9
	v_div_fixup_f32 v54, v1, v53, v54
	v_ashrrev_i32_e32 v57, 31, v56
	v_fma_f32 v1, -v4, v5, 1.0
	v_fmac_f32_e32 v5, v1, v5
	v_div_scale_f32 v1, vcc, v3, v53, v3
	v_mul_f32_e32 v9, v1, v5
	v_fma_f32 v12, -v4, v9, v1
	v_fmac_f32_e32 v9, v12, v5
	v_fma_f32 v1, -v4, v9, v1
	v_div_scale_f32 v4, s[72:73], v53, v53, v2
	v_rcp_f32_e32 v12, v4
	v_div_fmas_f32 v1, v1, v5, v9
	v_div_fixup_f32 v3, v1, v53, v3
	v_lshl_add_u64 v[56:57], v[56:57], 3, v[108:109]
	v_fma_f32 v1, -v4, v12, 1.0
	v_fmac_f32_e32 v12, v1, v12
	v_div_scale_f32 v1, vcc, v2, v53, v2
	v_mul_f32_e32 v5, v1, v12
	v_fma_f32 v9, -v4, v5, v1
	v_fmac_f32_e32 v5, v9, v12
	v_fma_f32 v1, -v4, v5, v1
	v_div_fmas_f32 v1, v1, v12, v5
	v_div_fixup_f32 v2, v1, v53, v2
	global_store_dwordx2 v[56:57], v[2:3], off offset:512
	v_mov_b32_e32 v2, 0
	global_store_dwordx2 v[56:57], v[54:55], off
.LBB29_202:                             ;   in Loop: Header=BB29_12 Depth=1
	s_or_b64 exec, exec, s[12:13]
	v_cmp_gt_i32_e32 vcc, s92, v2
	s_mov_b64 s[12:13], -1
	s_and_saveexec_b64 s[72:73], vcc
; %bb.203:                              ;   in Loop: Header=BB29_12 Depth=1
	v_cmp_eq_u32_e32 vcc, 0, v2
	s_orn2_b64 s[12:13], vcc, exec
; %bb.204:                              ;   in Loop: Header=BB29_12 Depth=1
	s_or_b64 exec, exec, s[72:73]
	s_and_b64 exec, exec, s[12:13]
	s_cbranch_execz .LBB29_10
; %bb.205:                              ;   in Loop: Header=BB29_12 Depth=1
	v_accvgpr_read_b32 v1, a50
	v_add_u32_e32 v1, v1, v73
	v_cmp_gt_i32_e32 vcc, s36, v1
	s_and_b64 s[72:73], vcc, s[8:9]
	v_mov_b32_e32 v2, 0x47
	s_and_saveexec_b64 s[12:13], s[72:73]
	s_cbranch_execz .LBB29_207
; %bb.206:                              ;   in Loop: Header=BB29_12 Depth=1
	v_accvgpr_read_b32 v4, a71
	ds_read2st64_b32 v[2:3], v4 offset1:1
	ds_read2st64_b32 v[4:5], v4 offset0:33 offset1:34
	v_accvgpr_read_b32 v9, a51
	ds_read2_b32 v[52:53], v9 offset0:128 offset1:129
	ds_read_b32 v12, v9 offset:8960
	v_mad_u64_u32 v[58:59], s[72:73], v1, s37, v[70:71]
	s_waitcnt lgkmcnt(3)
	v_cvt_f32_f16_sdwa v55, v2 dst_sel:DWORD dst_unused:UNUSED_PAD src0_sel:WORD_1
	v_cvt_f32_f16_e32 v54, v2
	s_waitcnt lgkmcnt(2)
	v_cvt_f32_f16_sdwa v57, v4 dst_sel:DWORD dst_unused:UNUSED_PAD src0_sel:WORD_1
	v_cvt_f32_f16_e32 v56, v4
	v_cvt_f32_f16_sdwa v59, v3 dst_sel:DWORD dst_unused:UNUSED_PAD src0_sel:WORD_1
	s_waitcnt lgkmcnt(1)
	v_pk_fma_f32 v[54:55], v[52:53], v[54:55], 0 op_sel_hi:[0,1,0]
	s_waitcnt lgkmcnt(0)
	v_pk_fma_f32 v[54:55], v[12:13], v[56:57], v[54:55] op_sel_hi:[0,1,1]
	v_div_scale_f32 v1, s[72:73], v53, v53, v55
	v_rcp_f32_e32 v2, v1
	v_lshl_add_u32 v56, v58, 7, v8
	v_cvt_f32_f16_e32 v58, v3
	v_cvt_f32_f16_sdwa v3, v5 dst_sel:DWORD dst_unused:UNUSED_PAD src0_sel:WORD_1
	v_fma_f32 v4, -v1, v2, 1.0
	v_fmac_f32_e32 v2, v4, v2
	v_div_scale_f32 v4, vcc, v55, v53, v55
	v_mul_f32_e32 v9, v4, v2
	v_fma_f32 v47, -v1, v9, v4
	v_fmac_f32_e32 v9, v47, v2
	v_fma_f32 v1, -v1, v9, v4
	v_div_scale_f32 v4, s[72:73], v53, v53, v54
	v_rcp_f32_e32 v47, v4
	v_div_fmas_f32 v1, v1, v2, v9
	v_div_fixup_f32 v55, v1, v53, v55
	v_cvt_f32_f16_e32 v2, v5
	v_fma_f32 v1, -v4, v47, 1.0
	v_fmac_f32_e32 v47, v1, v47
	v_div_scale_f32 v1, vcc, v54, v53, v54
	v_mul_f32_e32 v9, v1, v47
	v_fma_f32 v51, -v4, v9, v1
	v_fmac_f32_e32 v9, v51, v47
	v_fma_f32 v1, -v4, v9, v1
	v_pk_fma_f32 v[4:5], v[52:53], v[58:59], 0 op_sel_hi:[0,1,0]
	v_pk_fma_f32 v[2:3], v[12:13], v[2:3], v[4:5] op_sel_hi:[0,1,1]
	v_div_scale_f32 v4, s[72:73], v53, v53, v3
	v_rcp_f32_e32 v5, v4
	v_div_fmas_f32 v1, v1, v47, v9
	v_div_fixup_f32 v54, v1, v53, v54
	v_ashrrev_i32_e32 v57, 31, v56
	v_fma_f32 v1, -v4, v5, 1.0
	v_fmac_f32_e32 v5, v1, v5
	v_div_scale_f32 v1, vcc, v3, v53, v3
	v_mul_f32_e32 v9, v1, v5
	v_fma_f32 v12, -v4, v9, v1
	v_fmac_f32_e32 v9, v12, v5
	v_fma_f32 v1, -v4, v9, v1
	v_div_scale_f32 v4, s[72:73], v53, v53, v2
	v_rcp_f32_e32 v12, v4
	v_div_fmas_f32 v1, v1, v5, v9
	v_div_fixup_f32 v3, v1, v53, v3
	v_lshl_add_u64 v[56:57], v[56:57], 3, v[108:109]
	v_fma_f32 v1, -v4, v12, 1.0
	v_fmac_f32_e32 v12, v1, v12
	v_div_scale_f32 v1, vcc, v2, v53, v2
	v_mul_f32_e32 v5, v1, v12
	v_fma_f32 v9, -v4, v5, v1
	v_fmac_f32_e32 v5, v9, v12
	v_fma_f32 v1, -v4, v5, v1
	v_div_fmas_f32 v1, v1, v12, v5
	v_div_fixup_f32 v2, v1, v53, v2
	global_store_dwordx2 v[56:57], v[2:3], off offset:512
	v_mov_b32_e32 v2, 0
	global_store_dwordx2 v[56:57], v[54:55], off
.LBB29_207:                             ;   in Loop: Header=BB29_12 Depth=1
	s_or_b64 exec, exec, s[12:13]
	v_cmp_gt_i32_e32 vcc, s92, v2
	s_mov_b64 s[12:13], -1
	s_and_saveexec_b64 s[72:73], vcc
; %bb.208:                              ;   in Loop: Header=BB29_12 Depth=1
	v_cmp_eq_u32_e32 vcc, 0, v2
	s_orn2_b64 s[12:13], vcc, exec
; %bb.209:                              ;   in Loop: Header=BB29_12 Depth=1
	s_or_b64 exec, exec, s[72:73]
	s_and_b64 exec, exec, s[12:13]
	s_cbranch_execz .LBB29_10
; %bb.210:                              ;   in Loop: Header=BB29_12 Depth=1
	v_accvgpr_read_b32 v1, a85
	v_accvgpr_read_b32 v2, a86
	v_add_u32_e32 v1, v1, v73
	v_or_b32_e32 v2, v2, v11
	v_cmp_gt_i32_e32 vcc, s36, v1
	v_cmp_gt_i32_e64 s[12:13], s3, v2
	s_and_b64 s[72:73], vcc, s[12:13]
	v_mov_b32_e32 v2, 0x47
	s_and_saveexec_b64 s[12:13], s[72:73]
	s_cbranch_execz .LBB29_212
; %bb.211:                              ;   in Loop: Header=BB29_12 Depth=1
	v_accvgpr_read_b32 v4, a72
	ds_read2st64_b32 v[2:3], v4 offset1:1
	ds_read2st64_b32 v[4:5], v4 offset0:33 offset1:34
	v_accvgpr_read_b32 v9, a52
	ds_read2_b32 v[52:53], v9 offset0:128 offset1:129
	ds_read_b32 v12, v9 offset:8960
	s_waitcnt lgkmcnt(3)
	v_cvt_f32_f16_sdwa v55, v2 dst_sel:DWORD dst_unused:UNUSED_PAD src0_sel:WORD_1
	v_cvt_f32_f16_e32 v54, v2
	s_waitcnt lgkmcnt(2)
	v_cvt_f32_f16_sdwa v57, v4 dst_sel:DWORD dst_unused:UNUSED_PAD src0_sel:WORD_1
	v_cvt_f32_f16_e32 v56, v4
	v_accvgpr_read_b32 v2, a86
	s_waitcnt lgkmcnt(1)
	v_pk_fma_f32 v[54:55], v[52:53], v[54:55], 0 op_sel_hi:[0,1,0]
	v_mad_u64_u32 v[58:59], s[72:73], v1, s37, v[2:3]
	s_waitcnt lgkmcnt(0)
	v_pk_fma_f32 v[54:55], v[12:13], v[56:57], v[54:55] op_sel_hi:[0,1,1]
	v_div_scale_f32 v1, s[72:73], v53, v53, v55
	v_rcp_f32_e32 v2, v1
	v_lshl_add_u32 v56, v58, 7, v8
	v_cvt_f32_f16_sdwa v59, v3 dst_sel:DWORD dst_unused:UNUSED_PAD src0_sel:WORD_1
	v_cvt_f32_f16_e32 v58, v3
	v_fma_f32 v4, -v1, v2, 1.0
	v_fmac_f32_e32 v2, v4, v2
	v_div_scale_f32 v4, vcc, v55, v53, v55
	v_mul_f32_e32 v9, v4, v2
	v_fma_f32 v47, -v1, v9, v4
	v_fmac_f32_e32 v9, v47, v2
	v_fma_f32 v1, -v1, v9, v4
	v_div_scale_f32 v4, s[72:73], v53, v53, v54
	v_rcp_f32_e32 v47, v4
	v_div_fmas_f32 v1, v1, v2, v9
	v_div_fixup_f32 v55, v1, v53, v55
	v_cvt_f32_f16_sdwa v3, v5 dst_sel:DWORD dst_unused:UNUSED_PAD src0_sel:WORD_1
	v_fma_f32 v1, -v4, v47, 1.0
	v_fmac_f32_e32 v47, v1, v47
	v_div_scale_f32 v1, vcc, v54, v53, v54
	v_mul_f32_e32 v9, v1, v47
	v_cvt_f32_f16_e32 v2, v5
	v_fma_f32 v51, -v4, v9, v1
	v_fmac_f32_e32 v9, v51, v47
	v_fma_f32 v1, -v4, v9, v1
	v_pk_fma_f32 v[4:5], v[52:53], v[58:59], 0 op_sel_hi:[0,1,0]
	v_pk_fma_f32 v[2:3], v[12:13], v[2:3], v[4:5] op_sel_hi:[0,1,1]
	v_div_scale_f32 v4, s[72:73], v53, v53, v3
	v_rcp_f32_e32 v5, v4
	v_div_fmas_f32 v1, v1, v47, v9
	v_div_fixup_f32 v54, v1, v53, v54
	v_ashrrev_i32_e32 v57, 31, v56
	v_fma_f32 v1, -v4, v5, 1.0
	v_fmac_f32_e32 v5, v1, v5
	v_div_scale_f32 v1, vcc, v3, v53, v3
	v_mul_f32_e32 v9, v1, v5
	v_fma_f32 v12, -v4, v9, v1
	v_fmac_f32_e32 v9, v12, v5
	v_fma_f32 v1, -v4, v9, v1
	v_div_scale_f32 v4, s[72:73], v53, v53, v2
	v_rcp_f32_e32 v12, v4
	v_div_fmas_f32 v1, v1, v5, v9
	v_div_fixup_f32 v3, v1, v53, v3
	v_lshl_add_u64 v[56:57], v[56:57], 3, v[108:109]
	v_fma_f32 v1, -v4, v12, 1.0
	v_fmac_f32_e32 v12, v1, v12
	v_div_scale_f32 v1, vcc, v2, v53, v2
	v_mul_f32_e32 v5, v1, v12
	v_fma_f32 v9, -v4, v5, v1
	v_fmac_f32_e32 v5, v9, v12
	v_fma_f32 v1, -v4, v5, v1
	v_div_fmas_f32 v1, v1, v12, v5
	v_div_fixup_f32 v2, v1, v53, v2
	global_store_dwordx2 v[56:57], v[2:3], off offset:512
	v_mov_b32_e32 v2, 0
	global_store_dwordx2 v[56:57], v[54:55], off
.LBB29_212:                             ;   in Loop: Header=BB29_12 Depth=1
	s_or_b64 exec, exec, s[12:13]
	v_cmp_gt_i32_e32 vcc, s92, v2
	s_mov_b64 s[12:13], -1
	s_and_saveexec_b64 s[72:73], vcc
; %bb.213:                              ;   in Loop: Header=BB29_12 Depth=1
	v_cmp_eq_u32_e32 vcc, 0, v2
	s_orn2_b64 s[12:13], vcc, exec
; %bb.214:                              ;   in Loop: Header=BB29_12 Depth=1
	s_or_b64 exec, exec, s[72:73]
	s_and_b64 exec, exec, s[12:13]
	s_cbranch_execz .LBB29_10
; %bb.215:                              ;   in Loop: Header=BB29_12 Depth=1
	v_accvgpr_read_b32 v1, a53
	v_add_u32_e32 v1, v1, v73
	v_cmp_gt_i32_e32 vcc, s36, v1
	s_and_b64 s[72:73], vcc, s[8:9]
	v_mov_b32_e32 v2, 0x47
	s_and_saveexec_b64 s[12:13], s[72:73]
	s_cbranch_execz .LBB29_217
; %bb.216:                              ;   in Loop: Header=BB29_12 Depth=1
	v_accvgpr_read_b32 v4, a73
	ds_read2st64_b32 v[2:3], v4 offset1:1
	ds_read2st64_b32 v[4:5], v4 offset0:33 offset1:34
	v_accvgpr_read_b32 v9, a54
	ds_read2_b32 v[52:53], v9 offset0:128 offset1:129
	ds_read_b32 v12, v9 offset:8960
	v_mad_u64_u32 v[58:59], s[72:73], v1, s37, v[70:71]
	s_waitcnt lgkmcnt(3)
	v_cvt_f32_f16_sdwa v55, v2 dst_sel:DWORD dst_unused:UNUSED_PAD src0_sel:WORD_1
	v_cvt_f32_f16_e32 v54, v2
	s_waitcnt lgkmcnt(2)
	v_cvt_f32_f16_sdwa v57, v4 dst_sel:DWORD dst_unused:UNUSED_PAD src0_sel:WORD_1
	v_cvt_f32_f16_e32 v56, v4
	v_cvt_f32_f16_sdwa v59, v3 dst_sel:DWORD dst_unused:UNUSED_PAD src0_sel:WORD_1
	s_waitcnt lgkmcnt(1)
	v_pk_fma_f32 v[54:55], v[52:53], v[54:55], 0 op_sel_hi:[0,1,0]
	s_waitcnt lgkmcnt(0)
	v_pk_fma_f32 v[54:55], v[12:13], v[56:57], v[54:55] op_sel_hi:[0,1,1]
	v_div_scale_f32 v1, s[72:73], v53, v53, v55
	v_rcp_f32_e32 v2, v1
	v_lshl_add_u32 v56, v58, 7, v8
	v_cvt_f32_f16_e32 v58, v3
	v_cvt_f32_f16_sdwa v3, v5 dst_sel:DWORD dst_unused:UNUSED_PAD src0_sel:WORD_1
	v_fma_f32 v4, -v1, v2, 1.0
	v_fmac_f32_e32 v2, v4, v2
	v_div_scale_f32 v4, vcc, v55, v53, v55
	v_mul_f32_e32 v9, v4, v2
	v_fma_f32 v47, -v1, v9, v4
	v_fmac_f32_e32 v9, v47, v2
	v_fma_f32 v1, -v1, v9, v4
	v_div_scale_f32 v4, s[72:73], v53, v53, v54
	v_rcp_f32_e32 v47, v4
	v_div_fmas_f32 v1, v1, v2, v9
	v_div_fixup_f32 v55, v1, v53, v55
	v_cvt_f32_f16_e32 v2, v5
	v_fma_f32 v1, -v4, v47, 1.0
	v_fmac_f32_e32 v47, v1, v47
	v_div_scale_f32 v1, vcc, v54, v53, v54
	v_mul_f32_e32 v9, v1, v47
	v_fma_f32 v51, -v4, v9, v1
	v_fmac_f32_e32 v9, v51, v47
	v_fma_f32 v1, -v4, v9, v1
	v_pk_fma_f32 v[4:5], v[52:53], v[58:59], 0 op_sel_hi:[0,1,0]
	v_pk_fma_f32 v[2:3], v[12:13], v[2:3], v[4:5] op_sel_hi:[0,1,1]
	v_div_scale_f32 v4, s[72:73], v53, v53, v3
	v_rcp_f32_e32 v5, v4
	v_div_fmas_f32 v1, v1, v47, v9
	v_div_fixup_f32 v54, v1, v53, v54
	v_ashrrev_i32_e32 v57, 31, v56
	v_fma_f32 v1, -v4, v5, 1.0
	v_fmac_f32_e32 v5, v1, v5
	v_div_scale_f32 v1, vcc, v3, v53, v3
	v_mul_f32_e32 v9, v1, v5
	v_fma_f32 v12, -v4, v9, v1
	v_fmac_f32_e32 v9, v12, v5
	v_fma_f32 v1, -v4, v9, v1
	v_div_scale_f32 v4, s[72:73], v53, v53, v2
	v_rcp_f32_e32 v12, v4
	v_div_fmas_f32 v1, v1, v5, v9
	v_div_fixup_f32 v3, v1, v53, v3
	v_lshl_add_u64 v[56:57], v[56:57], 3, v[108:109]
	v_fma_f32 v1, -v4, v12, 1.0
	v_fmac_f32_e32 v12, v1, v12
	v_div_scale_f32 v1, vcc, v2, v53, v2
	v_mul_f32_e32 v5, v1, v12
	v_fma_f32 v9, -v4, v5, v1
	v_fmac_f32_e32 v5, v9, v12
	v_fma_f32 v1, -v4, v5, v1
	v_div_fmas_f32 v1, v1, v12, v5
	v_div_fixup_f32 v2, v1, v53, v2
	global_store_dwordx2 v[56:57], v[2:3], off offset:512
	v_mov_b32_e32 v2, 0
	global_store_dwordx2 v[56:57], v[54:55], off
.LBB29_217:                             ;   in Loop: Header=BB29_12 Depth=1
	s_or_b64 exec, exec, s[12:13]
	v_cmp_gt_i32_e32 vcc, s92, v2
	s_mov_b64 s[12:13], -1
	s_and_saveexec_b64 s[72:73], vcc
; %bb.218:                              ;   in Loop: Header=BB29_12 Depth=1
	v_cmp_eq_u32_e32 vcc, 0, v2
	s_orn2_b64 s[12:13], vcc, exec
; %bb.219:                              ;   in Loop: Header=BB29_12 Depth=1
	s_or_b64 exec, exec, s[72:73]
	s_and_b64 exec, exec, s[12:13]
	s_cbranch_execz .LBB29_10
; %bb.220:                              ;   in Loop: Header=BB29_12 Depth=1
	v_accvgpr_read_b32 v1, a87
	v_accvgpr_read_b32 v2, a88
	v_add_u32_e32 v1, v1, v73
	v_or_b32_e32 v2, v2, v11
	v_cmp_gt_i32_e32 vcc, s36, v1
	v_cmp_gt_i32_e64 s[12:13], s3, v2
	s_and_b64 s[72:73], vcc, s[12:13]
	v_mov_b32_e32 v2, 0x47
	s_and_saveexec_b64 s[12:13], s[72:73]
	s_cbranch_execz .LBB29_222
; %bb.221:                              ;   in Loop: Header=BB29_12 Depth=1
	v_accvgpr_read_b32 v4, a74
	ds_read2st64_b32 v[2:3], v4 offset1:1
	ds_read2st64_b32 v[4:5], v4 offset0:33 offset1:34
	v_accvgpr_read_b32 v9, a55
	ds_read2_b32 v[52:53], v9 offset0:128 offset1:129
	ds_read_b32 v12, v9 offset:8960
	s_waitcnt lgkmcnt(3)
	v_cvt_f32_f16_sdwa v55, v2 dst_sel:DWORD dst_unused:UNUSED_PAD src0_sel:WORD_1
	v_cvt_f32_f16_e32 v54, v2
	s_waitcnt lgkmcnt(2)
	v_cvt_f32_f16_sdwa v57, v4 dst_sel:DWORD dst_unused:UNUSED_PAD src0_sel:WORD_1
	v_cvt_f32_f16_e32 v56, v4
	v_accvgpr_read_b32 v2, a88
	s_waitcnt lgkmcnt(1)
	v_pk_fma_f32 v[54:55], v[52:53], v[54:55], 0 op_sel_hi:[0,1,0]
	v_mad_u64_u32 v[58:59], s[72:73], v1, s37, v[2:3]
	s_waitcnt lgkmcnt(0)
	v_pk_fma_f32 v[54:55], v[12:13], v[56:57], v[54:55] op_sel_hi:[0,1,1]
	v_div_scale_f32 v1, s[72:73], v53, v53, v55
	v_rcp_f32_e32 v2, v1
	v_lshl_add_u32 v56, v58, 7, v8
	v_cvt_f32_f16_sdwa v59, v3 dst_sel:DWORD dst_unused:UNUSED_PAD src0_sel:WORD_1
	v_cvt_f32_f16_e32 v58, v3
	v_fma_f32 v4, -v1, v2, 1.0
	v_fmac_f32_e32 v2, v4, v2
	v_div_scale_f32 v4, vcc, v55, v53, v55
	v_mul_f32_e32 v9, v4, v2
	v_fma_f32 v47, -v1, v9, v4
	v_fmac_f32_e32 v9, v47, v2
	v_fma_f32 v1, -v1, v9, v4
	v_div_scale_f32 v4, s[72:73], v53, v53, v54
	v_rcp_f32_e32 v47, v4
	v_div_fmas_f32 v1, v1, v2, v9
	v_div_fixup_f32 v55, v1, v53, v55
	v_cvt_f32_f16_sdwa v3, v5 dst_sel:DWORD dst_unused:UNUSED_PAD src0_sel:WORD_1
	v_fma_f32 v1, -v4, v47, 1.0
	v_fmac_f32_e32 v47, v1, v47
	v_div_scale_f32 v1, vcc, v54, v53, v54
	v_mul_f32_e32 v9, v1, v47
	v_cvt_f32_f16_e32 v2, v5
	v_fma_f32 v51, -v4, v9, v1
	v_fmac_f32_e32 v9, v51, v47
	v_fma_f32 v1, -v4, v9, v1
	v_pk_fma_f32 v[4:5], v[52:53], v[58:59], 0 op_sel_hi:[0,1,0]
	v_pk_fma_f32 v[2:3], v[12:13], v[2:3], v[4:5] op_sel_hi:[0,1,1]
	v_div_scale_f32 v4, s[72:73], v53, v53, v3
	v_rcp_f32_e32 v5, v4
	v_div_fmas_f32 v1, v1, v47, v9
	v_div_fixup_f32 v54, v1, v53, v54
	v_ashrrev_i32_e32 v57, 31, v56
	v_fma_f32 v1, -v4, v5, 1.0
	v_fmac_f32_e32 v5, v1, v5
	v_div_scale_f32 v1, vcc, v3, v53, v3
	v_mul_f32_e32 v9, v1, v5
	v_fma_f32 v12, -v4, v9, v1
	v_fmac_f32_e32 v9, v12, v5
	v_fma_f32 v1, -v4, v9, v1
	v_div_scale_f32 v4, s[72:73], v53, v53, v2
	v_rcp_f32_e32 v12, v4
	v_div_fmas_f32 v1, v1, v5, v9
	v_div_fixup_f32 v3, v1, v53, v3
	v_lshl_add_u64 v[56:57], v[56:57], 3, v[108:109]
	v_fma_f32 v1, -v4, v12, 1.0
	v_fmac_f32_e32 v12, v1, v12
	v_div_scale_f32 v1, vcc, v2, v53, v2
	v_mul_f32_e32 v5, v1, v12
	v_fma_f32 v9, -v4, v5, v1
	v_fmac_f32_e32 v5, v9, v12
	v_fma_f32 v1, -v4, v5, v1
	v_div_fmas_f32 v1, v1, v12, v5
	v_div_fixup_f32 v2, v1, v53, v2
	global_store_dwordx2 v[56:57], v[2:3], off offset:512
	v_mov_b32_e32 v2, 0
	global_store_dwordx2 v[56:57], v[54:55], off
.LBB29_222:                             ;   in Loop: Header=BB29_12 Depth=1
	s_or_b64 exec, exec, s[12:13]
	v_cmp_gt_i32_e32 vcc, s92, v2
	s_mov_b64 s[12:13], -1
	s_and_saveexec_b64 s[72:73], vcc
; %bb.223:                              ;   in Loop: Header=BB29_12 Depth=1
	v_cmp_eq_u32_e32 vcc, 0, v2
	s_orn2_b64 s[12:13], vcc, exec
; %bb.224:                              ;   in Loop: Header=BB29_12 Depth=1
	s_or_b64 exec, exec, s[72:73]
	s_and_b64 exec, exec, s[12:13]
	s_cbranch_execz .LBB29_10
; %bb.225:                              ;   in Loop: Header=BB29_12 Depth=1
	v_accvgpr_read_b32 v1, a56
	v_add_u32_e32 v1, v1, v73
	v_cmp_gt_i32_e32 vcc, s36, v1
	s_and_b64 s[72:73], vcc, s[8:9]
	v_mov_b32_e32 v2, 0x47
	s_and_saveexec_b64 s[12:13], s[72:73]
	s_cbranch_execz .LBB29_227
; %bb.226:                              ;   in Loop: Header=BB29_12 Depth=1
	v_accvgpr_read_b32 v4, a75
	ds_read2st64_b32 v[2:3], v4 offset1:1
	ds_read2st64_b32 v[4:5], v4 offset0:33 offset1:34
	v_accvgpr_read_b32 v9, a57
	ds_read2_b32 v[52:53], v9 offset0:128 offset1:129
	ds_read_b32 v12, v9 offset:8960
	v_mad_u64_u32 v[58:59], s[72:73], v1, s37, v[70:71]
	s_waitcnt lgkmcnt(3)
	v_cvt_f32_f16_sdwa v55, v2 dst_sel:DWORD dst_unused:UNUSED_PAD src0_sel:WORD_1
	v_cvt_f32_f16_e32 v54, v2
	s_waitcnt lgkmcnt(2)
	v_cvt_f32_f16_sdwa v57, v4 dst_sel:DWORD dst_unused:UNUSED_PAD src0_sel:WORD_1
	v_cvt_f32_f16_e32 v56, v4
	v_cvt_f32_f16_sdwa v59, v3 dst_sel:DWORD dst_unused:UNUSED_PAD src0_sel:WORD_1
	s_waitcnt lgkmcnt(1)
	v_pk_fma_f32 v[54:55], v[52:53], v[54:55], 0 op_sel_hi:[0,1,0]
	s_waitcnt lgkmcnt(0)
	v_pk_fma_f32 v[54:55], v[12:13], v[56:57], v[54:55] op_sel_hi:[0,1,1]
	v_div_scale_f32 v1, s[72:73], v53, v53, v55
	v_rcp_f32_e32 v2, v1
	v_lshl_add_u32 v56, v58, 7, v8
	v_cvt_f32_f16_e32 v58, v3
	v_cvt_f32_f16_sdwa v3, v5 dst_sel:DWORD dst_unused:UNUSED_PAD src0_sel:WORD_1
	v_fma_f32 v4, -v1, v2, 1.0
	v_fmac_f32_e32 v2, v4, v2
	v_div_scale_f32 v4, vcc, v55, v53, v55
	v_mul_f32_e32 v9, v4, v2
	v_fma_f32 v47, -v1, v9, v4
	v_fmac_f32_e32 v9, v47, v2
	v_fma_f32 v1, -v1, v9, v4
	v_div_scale_f32 v4, s[72:73], v53, v53, v54
	v_rcp_f32_e32 v47, v4
	v_div_fmas_f32 v1, v1, v2, v9
	v_div_fixup_f32 v55, v1, v53, v55
	v_cvt_f32_f16_e32 v2, v5
	v_fma_f32 v1, -v4, v47, 1.0
	v_fmac_f32_e32 v47, v1, v47
	v_div_scale_f32 v1, vcc, v54, v53, v54
	v_mul_f32_e32 v9, v1, v47
	v_fma_f32 v51, -v4, v9, v1
	v_fmac_f32_e32 v9, v51, v47
	v_fma_f32 v1, -v4, v9, v1
	v_pk_fma_f32 v[4:5], v[52:53], v[58:59], 0 op_sel_hi:[0,1,0]
	v_pk_fma_f32 v[2:3], v[12:13], v[2:3], v[4:5] op_sel_hi:[0,1,1]
	v_div_scale_f32 v4, s[72:73], v53, v53, v3
	v_rcp_f32_e32 v5, v4
	v_div_fmas_f32 v1, v1, v47, v9
	v_div_fixup_f32 v54, v1, v53, v54
	v_ashrrev_i32_e32 v57, 31, v56
	v_fma_f32 v1, -v4, v5, 1.0
	v_fmac_f32_e32 v5, v1, v5
	v_div_scale_f32 v1, vcc, v3, v53, v3
	v_mul_f32_e32 v9, v1, v5
	v_fma_f32 v12, -v4, v9, v1
	v_fmac_f32_e32 v9, v12, v5
	v_fma_f32 v1, -v4, v9, v1
	v_div_scale_f32 v4, s[72:73], v53, v53, v2
	v_rcp_f32_e32 v12, v4
	v_div_fmas_f32 v1, v1, v5, v9
	v_div_fixup_f32 v3, v1, v53, v3
	v_lshl_add_u64 v[56:57], v[56:57], 3, v[108:109]
	v_fma_f32 v1, -v4, v12, 1.0
	v_fmac_f32_e32 v12, v1, v12
	v_div_scale_f32 v1, vcc, v2, v53, v2
	v_mul_f32_e32 v5, v1, v12
	v_fma_f32 v9, -v4, v5, v1
	v_fmac_f32_e32 v5, v9, v12
	v_fma_f32 v1, -v4, v5, v1
	v_div_fmas_f32 v1, v1, v12, v5
	v_div_fixup_f32 v2, v1, v53, v2
	global_store_dwordx2 v[56:57], v[2:3], off offset:512
	v_mov_b32_e32 v2, 0
	global_store_dwordx2 v[56:57], v[54:55], off
.LBB29_227:                             ;   in Loop: Header=BB29_12 Depth=1
	s_or_b64 exec, exec, s[12:13]
	v_cmp_gt_i32_e32 vcc, s92, v2
	s_mov_b64 s[12:13], -1
	s_and_saveexec_b64 s[72:73], vcc
; %bb.228:                              ;   in Loop: Header=BB29_12 Depth=1
	v_cmp_eq_u32_e32 vcc, 0, v2
	s_orn2_b64 s[12:13], vcc, exec
; %bb.229:                              ;   in Loop: Header=BB29_12 Depth=1
	s_or_b64 exec, exec, s[72:73]
	s_and_b64 exec, exec, s[12:13]
	s_cbranch_execz .LBB29_10
; %bb.230:                              ;   in Loop: Header=BB29_12 Depth=1
	v_accvgpr_read_b32 v1, a89
	v_accvgpr_read_b32 v2, a90
	v_add_u32_e32 v1, v1, v73
	v_or_b32_e32 v2, v2, v11
	v_cmp_gt_i32_e32 vcc, s36, v1
	v_cmp_gt_i32_e64 s[12:13], s3, v2
	s_and_b64 s[72:73], vcc, s[12:13]
	v_mov_b32_e32 v2, 0x47
	s_and_saveexec_b64 s[12:13], s[72:73]
	s_cbranch_execz .LBB29_232
; %bb.231:                              ;   in Loop: Header=BB29_12 Depth=1
	v_accvgpr_read_b32 v4, a76
	ds_read2st64_b32 v[2:3], v4 offset1:1
	ds_read2st64_b32 v[4:5], v4 offset0:33 offset1:34
	v_accvgpr_read_b32 v9, a58
	ds_read2_b32 v[52:53], v9 offset0:128 offset1:129
	ds_read_b32 v12, v9 offset:8960
	s_waitcnt lgkmcnt(3)
	v_cvt_f32_f16_sdwa v55, v2 dst_sel:DWORD dst_unused:UNUSED_PAD src0_sel:WORD_1
	v_cvt_f32_f16_e32 v54, v2
	s_waitcnt lgkmcnt(2)
	v_cvt_f32_f16_sdwa v57, v4 dst_sel:DWORD dst_unused:UNUSED_PAD src0_sel:WORD_1
	v_cvt_f32_f16_e32 v56, v4
	v_accvgpr_read_b32 v2, a90
	s_waitcnt lgkmcnt(1)
	v_pk_fma_f32 v[54:55], v[52:53], v[54:55], 0 op_sel_hi:[0,1,0]
	v_mad_u64_u32 v[58:59], s[72:73], v1, s37, v[2:3]
	s_waitcnt lgkmcnt(0)
	v_pk_fma_f32 v[54:55], v[12:13], v[56:57], v[54:55] op_sel_hi:[0,1,1]
	v_div_scale_f32 v1, s[72:73], v53, v53, v55
	v_rcp_f32_e32 v2, v1
	v_lshl_add_u32 v56, v58, 7, v8
	v_cvt_f32_f16_sdwa v59, v3 dst_sel:DWORD dst_unused:UNUSED_PAD src0_sel:WORD_1
	v_cvt_f32_f16_e32 v58, v3
	v_fma_f32 v4, -v1, v2, 1.0
	v_fmac_f32_e32 v2, v4, v2
	v_div_scale_f32 v4, vcc, v55, v53, v55
	v_mul_f32_e32 v9, v4, v2
	v_fma_f32 v47, -v1, v9, v4
	v_fmac_f32_e32 v9, v47, v2
	v_fma_f32 v1, -v1, v9, v4
	v_div_scale_f32 v4, s[72:73], v53, v53, v54
	v_rcp_f32_e32 v47, v4
	v_div_fmas_f32 v1, v1, v2, v9
	v_div_fixup_f32 v55, v1, v53, v55
	v_cvt_f32_f16_sdwa v3, v5 dst_sel:DWORD dst_unused:UNUSED_PAD src0_sel:WORD_1
	v_fma_f32 v1, -v4, v47, 1.0
	v_fmac_f32_e32 v47, v1, v47
	v_div_scale_f32 v1, vcc, v54, v53, v54
	v_mul_f32_e32 v9, v1, v47
	v_cvt_f32_f16_e32 v2, v5
	v_fma_f32 v51, -v4, v9, v1
	v_fmac_f32_e32 v9, v51, v47
	v_fma_f32 v1, -v4, v9, v1
	v_pk_fma_f32 v[4:5], v[52:53], v[58:59], 0 op_sel_hi:[0,1,0]
	v_pk_fma_f32 v[2:3], v[12:13], v[2:3], v[4:5] op_sel_hi:[0,1,1]
	v_div_scale_f32 v4, s[72:73], v53, v53, v3
	v_rcp_f32_e32 v5, v4
	v_div_fmas_f32 v1, v1, v47, v9
	v_div_fixup_f32 v54, v1, v53, v54
	v_ashrrev_i32_e32 v57, 31, v56
	v_fma_f32 v1, -v4, v5, 1.0
	v_fmac_f32_e32 v5, v1, v5
	v_div_scale_f32 v1, vcc, v3, v53, v3
	v_mul_f32_e32 v9, v1, v5
	v_fma_f32 v12, -v4, v9, v1
	v_fmac_f32_e32 v9, v12, v5
	v_fma_f32 v1, -v4, v9, v1
	v_div_scale_f32 v4, s[72:73], v53, v53, v2
	v_rcp_f32_e32 v12, v4
	v_div_fmas_f32 v1, v1, v5, v9
	v_div_fixup_f32 v3, v1, v53, v3
	v_lshl_add_u64 v[56:57], v[56:57], 3, v[108:109]
	v_fma_f32 v1, -v4, v12, 1.0
	v_fmac_f32_e32 v12, v1, v12
	v_div_scale_f32 v1, vcc, v2, v53, v2
	v_mul_f32_e32 v5, v1, v12
	v_fma_f32 v9, -v4, v5, v1
	v_fmac_f32_e32 v5, v9, v12
	v_fma_f32 v1, -v4, v5, v1
	v_div_fmas_f32 v1, v1, v12, v5
	v_div_fixup_f32 v2, v1, v53, v2
	global_store_dwordx2 v[56:57], v[2:3], off offset:512
	v_mov_b32_e32 v2, 0
	global_store_dwordx2 v[56:57], v[54:55], off
.LBB29_232:                             ;   in Loop: Header=BB29_12 Depth=1
	s_or_b64 exec, exec, s[12:13]
	v_cmp_gt_i32_e32 vcc, s92, v2
	s_mov_b64 s[12:13], -1
	s_and_saveexec_b64 s[72:73], vcc
; %bb.233:                              ;   in Loop: Header=BB29_12 Depth=1
	v_cmp_eq_u32_e32 vcc, 0, v2
	s_orn2_b64 s[12:13], vcc, exec
; %bb.234:                              ;   in Loop: Header=BB29_12 Depth=1
	s_or_b64 exec, exec, s[72:73]
	s_and_b64 exec, exec, s[12:13]
	s_cbranch_execz .LBB29_10
; %bb.235:                              ;   in Loop: Header=BB29_12 Depth=1
	v_accvgpr_read_b32 v1, a59
	v_add_u32_e32 v1, v1, v73
	v_cmp_gt_i32_e32 vcc, s36, v1
	s_and_b64 s[72:73], vcc, s[8:9]
	v_mov_b32_e32 v2, 0x47
	s_and_saveexec_b64 s[12:13], s[72:73]
	s_cbranch_execz .LBB29_237
; %bb.236:                              ;   in Loop: Header=BB29_12 Depth=1
	v_accvgpr_read_b32 v4, a77
	ds_read2st64_b32 v[2:3], v4 offset1:1
	ds_read2st64_b32 v[4:5], v4 offset0:33 offset1:34
	v_accvgpr_read_b32 v9, a60
	ds_read2_b32 v[52:53], v9 offset0:128 offset1:129
	ds_read_b32 v12, v9 offset:8960
	v_mad_u64_u32 v[58:59], s[72:73], v1, s37, v[70:71]
	s_waitcnt lgkmcnt(3)
	v_cvt_f32_f16_sdwa v55, v2 dst_sel:DWORD dst_unused:UNUSED_PAD src0_sel:WORD_1
	v_cvt_f32_f16_e32 v54, v2
	s_waitcnt lgkmcnt(2)
	v_cvt_f32_f16_sdwa v57, v4 dst_sel:DWORD dst_unused:UNUSED_PAD src0_sel:WORD_1
	v_cvt_f32_f16_e32 v56, v4
	v_cvt_f32_f16_sdwa v59, v3 dst_sel:DWORD dst_unused:UNUSED_PAD src0_sel:WORD_1
	s_waitcnt lgkmcnt(1)
	v_pk_fma_f32 v[54:55], v[52:53], v[54:55], 0 op_sel_hi:[0,1,0]
	s_waitcnt lgkmcnt(0)
	v_pk_fma_f32 v[54:55], v[12:13], v[56:57], v[54:55] op_sel_hi:[0,1,1]
	v_div_scale_f32 v1, s[72:73], v53, v53, v55
	v_rcp_f32_e32 v2, v1
	v_lshl_add_u32 v56, v58, 7, v8
	v_cvt_f32_f16_e32 v58, v3
	v_cvt_f32_f16_sdwa v3, v5 dst_sel:DWORD dst_unused:UNUSED_PAD src0_sel:WORD_1
	v_fma_f32 v4, -v1, v2, 1.0
	v_fmac_f32_e32 v2, v4, v2
	v_div_scale_f32 v4, vcc, v55, v53, v55
	v_mul_f32_e32 v9, v4, v2
	v_fma_f32 v47, -v1, v9, v4
	v_fmac_f32_e32 v9, v47, v2
	v_fma_f32 v1, -v1, v9, v4
	v_div_scale_f32 v4, s[72:73], v53, v53, v54
	v_rcp_f32_e32 v47, v4
	v_div_fmas_f32 v1, v1, v2, v9
	v_div_fixup_f32 v55, v1, v53, v55
	v_cvt_f32_f16_e32 v2, v5
	v_fma_f32 v1, -v4, v47, 1.0
	v_fmac_f32_e32 v47, v1, v47
	v_div_scale_f32 v1, vcc, v54, v53, v54
	v_mul_f32_e32 v9, v1, v47
	v_fma_f32 v51, -v4, v9, v1
	v_fmac_f32_e32 v9, v51, v47
	v_fma_f32 v1, -v4, v9, v1
	v_pk_fma_f32 v[4:5], v[52:53], v[58:59], 0 op_sel_hi:[0,1,0]
	v_pk_fma_f32 v[2:3], v[12:13], v[2:3], v[4:5] op_sel_hi:[0,1,1]
	v_div_scale_f32 v4, s[72:73], v53, v53, v3
	v_rcp_f32_e32 v5, v4
	v_div_fmas_f32 v1, v1, v47, v9
	v_div_fixup_f32 v54, v1, v53, v54
	v_ashrrev_i32_e32 v57, 31, v56
	v_fma_f32 v1, -v4, v5, 1.0
	v_fmac_f32_e32 v5, v1, v5
	v_div_scale_f32 v1, vcc, v3, v53, v3
	v_mul_f32_e32 v9, v1, v5
	v_fma_f32 v12, -v4, v9, v1
	v_fmac_f32_e32 v9, v12, v5
	v_fma_f32 v1, -v4, v9, v1
	v_div_scale_f32 v4, s[72:73], v53, v53, v2
	v_rcp_f32_e32 v12, v4
	v_div_fmas_f32 v1, v1, v5, v9
	v_div_fixup_f32 v3, v1, v53, v3
	v_lshl_add_u64 v[56:57], v[56:57], 3, v[108:109]
	v_fma_f32 v1, -v4, v12, 1.0
	v_fmac_f32_e32 v12, v1, v12
	v_div_scale_f32 v1, vcc, v2, v53, v2
	v_mul_f32_e32 v5, v1, v12
	v_fma_f32 v9, -v4, v5, v1
	v_fmac_f32_e32 v5, v9, v12
	v_fma_f32 v1, -v4, v5, v1
	v_div_fmas_f32 v1, v1, v12, v5
	v_div_fixup_f32 v2, v1, v53, v2
	global_store_dwordx2 v[56:57], v[2:3], off offset:512
	v_mov_b32_e32 v2, 0
	global_store_dwordx2 v[56:57], v[54:55], off
.LBB29_237:                             ;   in Loop: Header=BB29_12 Depth=1
	s_or_b64 exec, exec, s[12:13]
	v_cmp_gt_i32_e32 vcc, s92, v2
	s_mov_b64 s[12:13], -1
	s_and_saveexec_b64 s[72:73], vcc
; %bb.238:                              ;   in Loop: Header=BB29_12 Depth=1
	v_cmp_eq_u32_e32 vcc, 0, v2
	s_orn2_b64 s[12:13], vcc, exec
; %bb.239:                              ;   in Loop: Header=BB29_12 Depth=1
	s_or_b64 exec, exec, s[72:73]
	s_and_b64 exec, exec, s[12:13]
	s_cbranch_execz .LBB29_10
; %bb.240:                              ;   in Loop: Header=BB29_12 Depth=1
	v_accvgpr_read_b32 v1, a91
	v_accvgpr_read_b32 v2, a92
	v_add_u32_e32 v1, v1, v73
	v_or_b32_e32 v2, v2, v11
	v_cmp_gt_i32_e32 vcc, s36, v1
	v_cmp_gt_i32_e64 s[12:13], s3, v2
	s_and_b64 s[72:73], vcc, s[12:13]
	v_mov_b32_e32 v2, 0x47
	s_and_saveexec_b64 s[12:13], s[72:73]
	s_cbranch_execz .LBB29_242
; %bb.241:                              ;   in Loop: Header=BB29_12 Depth=1
	v_accvgpr_read_b32 v4, a78
	ds_read2st64_b32 v[2:3], v4 offset1:1
	ds_read2st64_b32 v[4:5], v4 offset0:33 offset1:34
	v_accvgpr_read_b32 v9, a61
	ds_read2_b32 v[52:53], v9 offset0:128 offset1:129
	ds_read_b32 v12, v9 offset:8960
	s_waitcnt lgkmcnt(3)
	v_cvt_f32_f16_sdwa v55, v2 dst_sel:DWORD dst_unused:UNUSED_PAD src0_sel:WORD_1
	v_cvt_f32_f16_e32 v54, v2
	s_waitcnt lgkmcnt(2)
	v_cvt_f32_f16_sdwa v57, v4 dst_sel:DWORD dst_unused:UNUSED_PAD src0_sel:WORD_1
	v_cvt_f32_f16_e32 v56, v4
	v_accvgpr_read_b32 v2, a92
	s_waitcnt lgkmcnt(1)
	v_pk_fma_f32 v[54:55], v[52:53], v[54:55], 0 op_sel_hi:[0,1,0]
	v_mad_u64_u32 v[58:59], s[72:73], v1, s37, v[2:3]
	s_waitcnt lgkmcnt(0)
	v_pk_fma_f32 v[54:55], v[12:13], v[56:57], v[54:55] op_sel_hi:[0,1,1]
	v_div_scale_f32 v1, s[72:73], v53, v53, v55
	v_rcp_f32_e32 v2, v1
	v_lshl_add_u32 v56, v58, 7, v8
	v_cvt_f32_f16_sdwa v59, v3 dst_sel:DWORD dst_unused:UNUSED_PAD src0_sel:WORD_1
	v_cvt_f32_f16_e32 v58, v3
	v_fma_f32 v4, -v1, v2, 1.0
	v_fmac_f32_e32 v2, v4, v2
	v_div_scale_f32 v4, vcc, v55, v53, v55
	v_mul_f32_e32 v9, v4, v2
	v_fma_f32 v47, -v1, v9, v4
	v_fmac_f32_e32 v9, v47, v2
	v_fma_f32 v1, -v1, v9, v4
	v_div_scale_f32 v4, s[72:73], v53, v53, v54
	v_rcp_f32_e32 v47, v4
	v_div_fmas_f32 v1, v1, v2, v9
	v_div_fixup_f32 v55, v1, v53, v55
	v_cvt_f32_f16_sdwa v3, v5 dst_sel:DWORD dst_unused:UNUSED_PAD src0_sel:WORD_1
	v_fma_f32 v1, -v4, v47, 1.0
	v_fmac_f32_e32 v47, v1, v47
	v_div_scale_f32 v1, vcc, v54, v53, v54
	v_mul_f32_e32 v9, v1, v47
	v_cvt_f32_f16_e32 v2, v5
	v_fma_f32 v51, -v4, v9, v1
	v_fmac_f32_e32 v9, v51, v47
	v_fma_f32 v1, -v4, v9, v1
	v_pk_fma_f32 v[4:5], v[52:53], v[58:59], 0 op_sel_hi:[0,1,0]
	v_pk_fma_f32 v[2:3], v[12:13], v[2:3], v[4:5] op_sel_hi:[0,1,1]
	v_div_scale_f32 v4, s[72:73], v53, v53, v3
	v_rcp_f32_e32 v5, v4
	v_div_fmas_f32 v1, v1, v47, v9
	v_div_fixup_f32 v54, v1, v53, v54
	v_ashrrev_i32_e32 v57, 31, v56
	v_fma_f32 v1, -v4, v5, 1.0
	v_fmac_f32_e32 v5, v1, v5
	v_div_scale_f32 v1, vcc, v3, v53, v3
	v_mul_f32_e32 v9, v1, v5
	v_fma_f32 v12, -v4, v9, v1
	v_fmac_f32_e32 v9, v12, v5
	v_fma_f32 v1, -v4, v9, v1
	v_div_scale_f32 v4, s[72:73], v53, v53, v2
	v_rcp_f32_e32 v12, v4
	v_div_fmas_f32 v1, v1, v5, v9
	v_div_fixup_f32 v3, v1, v53, v3
	v_lshl_add_u64 v[56:57], v[56:57], 3, v[108:109]
	v_fma_f32 v1, -v4, v12, 1.0
	v_fmac_f32_e32 v12, v1, v12
	v_div_scale_f32 v1, vcc, v2, v53, v2
	v_mul_f32_e32 v5, v1, v12
	v_fma_f32 v9, -v4, v5, v1
	v_fmac_f32_e32 v5, v9, v12
	v_fma_f32 v1, -v4, v5, v1
	v_div_fmas_f32 v1, v1, v12, v5
	v_div_fixup_f32 v2, v1, v53, v2
	global_store_dwordx2 v[56:57], v[2:3], off offset:512
	v_mov_b32_e32 v2, 0
	global_store_dwordx2 v[56:57], v[54:55], off
.LBB29_242:                             ;   in Loop: Header=BB29_12 Depth=1
	s_or_b64 exec, exec, s[12:13]
	v_cmp_gt_i32_e32 vcc, s92, v2
	s_mov_b64 s[12:13], -1
	s_and_saveexec_b64 s[72:73], vcc
; %bb.243:                              ;   in Loop: Header=BB29_12 Depth=1
	v_cmp_eq_u32_e32 vcc, 0, v2
	s_orn2_b64 s[12:13], vcc, exec
; %bb.244:                              ;   in Loop: Header=BB29_12 Depth=1
	s_or_b64 exec, exec, s[72:73]
	s_and_b64 exec, exec, s[12:13]
	s_cbranch_execz .LBB29_10
; %bb.245:                              ;   in Loop: Header=BB29_12 Depth=1
	v_accvgpr_read_b32 v1, a62
	v_add_u32_e32 v1, v1, v73
	v_cmp_gt_i32_e32 vcc, s36, v1
	s_and_b64 s[72:73], vcc, s[8:9]
	v_mov_b32_e32 v2, 0x47
	s_and_saveexec_b64 s[12:13], s[72:73]
	s_cbranch_execz .LBB29_247
; %bb.246:                              ;   in Loop: Header=BB29_12 Depth=1
	v_accvgpr_read_b32 v4, a79
	ds_read2st64_b32 v[2:3], v4 offset1:1
	ds_read2st64_b32 v[4:5], v4 offset0:33 offset1:34
	v_accvgpr_read_b32 v9, a63
	ds_read2_b32 v[52:53], v9 offset0:128 offset1:129
	ds_read_b32 v12, v9 offset:8960
	v_mad_u64_u32 v[58:59], s[72:73], v1, s37, v[70:71]
	s_waitcnt lgkmcnt(3)
	v_cvt_f32_f16_sdwa v55, v2 dst_sel:DWORD dst_unused:UNUSED_PAD src0_sel:WORD_1
	v_cvt_f32_f16_e32 v54, v2
	s_waitcnt lgkmcnt(2)
	v_cvt_f32_f16_sdwa v57, v4 dst_sel:DWORD dst_unused:UNUSED_PAD src0_sel:WORD_1
	v_cvt_f32_f16_e32 v56, v4
	v_cvt_f32_f16_sdwa v59, v3 dst_sel:DWORD dst_unused:UNUSED_PAD src0_sel:WORD_1
	s_waitcnt lgkmcnt(1)
	v_pk_fma_f32 v[54:55], v[52:53], v[54:55], 0 op_sel_hi:[0,1,0]
	s_waitcnt lgkmcnt(0)
	v_pk_fma_f32 v[54:55], v[12:13], v[56:57], v[54:55] op_sel_hi:[0,1,1]
	v_div_scale_f32 v1, s[72:73], v53, v53, v55
	v_rcp_f32_e32 v2, v1
	v_lshl_add_u32 v56, v58, 7, v8
	v_cvt_f32_f16_e32 v58, v3
	v_cvt_f32_f16_sdwa v3, v5 dst_sel:DWORD dst_unused:UNUSED_PAD src0_sel:WORD_1
	v_fma_f32 v4, -v1, v2, 1.0
	v_fmac_f32_e32 v2, v4, v2
	v_div_scale_f32 v4, vcc, v55, v53, v55
	v_mul_f32_e32 v9, v4, v2
	v_fma_f32 v47, -v1, v9, v4
	v_fmac_f32_e32 v9, v47, v2
	v_fma_f32 v1, -v1, v9, v4
	v_div_scale_f32 v4, s[72:73], v53, v53, v54
	v_rcp_f32_e32 v47, v4
	v_div_fmas_f32 v1, v1, v2, v9
	v_div_fixup_f32 v55, v1, v53, v55
	v_cvt_f32_f16_e32 v2, v5
	v_fma_f32 v1, -v4, v47, 1.0
	v_fmac_f32_e32 v47, v1, v47
	v_div_scale_f32 v1, vcc, v54, v53, v54
	v_mul_f32_e32 v9, v1, v47
	v_fma_f32 v51, -v4, v9, v1
	v_fmac_f32_e32 v9, v51, v47
	v_fma_f32 v1, -v4, v9, v1
	v_pk_fma_f32 v[4:5], v[52:53], v[58:59], 0 op_sel_hi:[0,1,0]
	v_pk_fma_f32 v[2:3], v[12:13], v[2:3], v[4:5] op_sel_hi:[0,1,1]
	v_div_scale_f32 v4, s[72:73], v53, v53, v3
	v_rcp_f32_e32 v5, v4
	v_div_fmas_f32 v1, v1, v47, v9
	v_div_fixup_f32 v54, v1, v53, v54
	v_ashrrev_i32_e32 v57, 31, v56
	v_fma_f32 v1, -v4, v5, 1.0
	v_fmac_f32_e32 v5, v1, v5
	v_div_scale_f32 v1, vcc, v3, v53, v3
	v_mul_f32_e32 v9, v1, v5
	v_fma_f32 v12, -v4, v9, v1
	v_fmac_f32_e32 v9, v12, v5
	v_fma_f32 v1, -v4, v9, v1
	v_div_scale_f32 v4, s[72:73], v53, v53, v2
	v_rcp_f32_e32 v12, v4
	v_div_fmas_f32 v1, v1, v5, v9
	v_div_fixup_f32 v3, v1, v53, v3
	v_lshl_add_u64 v[56:57], v[56:57], 3, v[108:109]
	v_fma_f32 v1, -v4, v12, 1.0
	v_fmac_f32_e32 v12, v1, v12
	v_div_scale_f32 v1, vcc, v2, v53, v2
	v_mul_f32_e32 v5, v1, v12
	v_fma_f32 v9, -v4, v5, v1
	v_fmac_f32_e32 v5, v9, v12
	v_fma_f32 v1, -v4, v5, v1
	v_div_fmas_f32 v1, v1, v12, v5
	v_div_fixup_f32 v2, v1, v53, v2
	global_store_dwordx2 v[56:57], v[2:3], off offset:512
	v_mov_b32_e32 v2, 0
	global_store_dwordx2 v[56:57], v[54:55], off
.LBB29_247:                             ;   in Loop: Header=BB29_12 Depth=1
	s_or_b64 exec, exec, s[12:13]
	v_cmp_gt_i32_e32 vcc, s92, v2
	s_mov_b64 s[12:13], -1
	s_and_saveexec_b64 s[72:73], vcc
; %bb.248:                              ;   in Loop: Header=BB29_12 Depth=1
	v_cmp_eq_u32_e32 vcc, 0, v2
	s_orn2_b64 s[12:13], vcc, exec
; %bb.249:                              ;   in Loop: Header=BB29_12 Depth=1
	s_or_b64 exec, exec, s[72:73]
	s_and_b64 exec, exec, s[12:13]
	s_cbranch_execz .LBB29_10
; %bb.250:                              ;   in Loop: Header=BB29_12 Depth=1
	v_accvgpr_read_b32 v1, a93
	v_accvgpr_read_b32 v2, a94
	v_add_u32_e32 v1, v1, v73
	v_or_b32_e32 v2, v2, v11
	v_cmp_gt_i32_e32 vcc, s36, v1
	v_cmp_gt_i32_e64 s[12:13], s3, v2
	s_and_b64 s[72:73], vcc, s[12:13]
	v_mov_b32_e32 v2, 0x47
	s_and_saveexec_b64 s[12:13], s[72:73]
	s_cbranch_execz .LBB29_252
; %bb.251:                              ;   in Loop: Header=BB29_12 Depth=1
	v_accvgpr_read_b32 v4, a80
	ds_read2st64_b32 v[2:3], v4 offset1:1
	ds_read2st64_b32 v[4:5], v4 offset0:33 offset1:34
	v_accvgpr_read_b32 v9, a64
	ds_read2_b32 v[52:53], v9 offset0:128 offset1:129
	ds_read_b32 v12, v9 offset:8960
	s_waitcnt lgkmcnt(3)
	v_cvt_f32_f16_sdwa v55, v2 dst_sel:DWORD dst_unused:UNUSED_PAD src0_sel:WORD_1
	v_cvt_f32_f16_e32 v54, v2
	s_waitcnt lgkmcnt(2)
	v_cvt_f32_f16_sdwa v57, v4 dst_sel:DWORD dst_unused:UNUSED_PAD src0_sel:WORD_1
	v_cvt_f32_f16_e32 v56, v4
	v_accvgpr_read_b32 v2, a94
	s_waitcnt lgkmcnt(1)
	v_pk_fma_f32 v[54:55], v[52:53], v[54:55], 0 op_sel_hi:[0,1,0]
	v_mad_u64_u32 v[58:59], s[72:73], v1, s37, v[2:3]
	s_waitcnt lgkmcnt(0)
	v_pk_fma_f32 v[54:55], v[12:13], v[56:57], v[54:55] op_sel_hi:[0,1,1]
	v_div_scale_f32 v1, s[72:73], v53, v53, v55
	v_rcp_f32_e32 v2, v1
	v_lshl_add_u32 v56, v58, 7, v8
	v_cvt_f32_f16_sdwa v59, v3 dst_sel:DWORD dst_unused:UNUSED_PAD src0_sel:WORD_1
	v_cvt_f32_f16_e32 v58, v3
	v_fma_f32 v4, -v1, v2, 1.0
	v_fmac_f32_e32 v2, v4, v2
	v_div_scale_f32 v4, vcc, v55, v53, v55
	v_mul_f32_e32 v9, v4, v2
	v_fma_f32 v47, -v1, v9, v4
	v_fmac_f32_e32 v9, v47, v2
	v_fma_f32 v1, -v1, v9, v4
	v_div_scale_f32 v4, s[72:73], v53, v53, v54
	v_rcp_f32_e32 v47, v4
	v_div_fmas_f32 v1, v1, v2, v9
	v_div_fixup_f32 v55, v1, v53, v55
	v_cvt_f32_f16_sdwa v3, v5 dst_sel:DWORD dst_unused:UNUSED_PAD src0_sel:WORD_1
	v_fma_f32 v1, -v4, v47, 1.0
	v_fmac_f32_e32 v47, v1, v47
	v_div_scale_f32 v1, vcc, v54, v53, v54
	v_mul_f32_e32 v9, v1, v47
	v_cvt_f32_f16_e32 v2, v5
	v_fma_f32 v51, -v4, v9, v1
	v_fmac_f32_e32 v9, v51, v47
	v_fma_f32 v1, -v4, v9, v1
	v_pk_fma_f32 v[4:5], v[52:53], v[58:59], 0 op_sel_hi:[0,1,0]
	v_pk_fma_f32 v[2:3], v[12:13], v[2:3], v[4:5] op_sel_hi:[0,1,1]
	v_div_scale_f32 v4, s[72:73], v53, v53, v3
	v_rcp_f32_e32 v5, v4
	v_div_fmas_f32 v1, v1, v47, v9
	v_div_fixup_f32 v54, v1, v53, v54
	v_ashrrev_i32_e32 v57, 31, v56
	v_fma_f32 v1, -v4, v5, 1.0
	v_fmac_f32_e32 v5, v1, v5
	v_div_scale_f32 v1, vcc, v3, v53, v3
	v_mul_f32_e32 v9, v1, v5
	v_fma_f32 v12, -v4, v9, v1
	v_fmac_f32_e32 v9, v12, v5
	v_fma_f32 v1, -v4, v9, v1
	v_div_scale_f32 v4, s[72:73], v53, v53, v2
	v_rcp_f32_e32 v12, v4
	v_div_fmas_f32 v1, v1, v5, v9
	v_div_fixup_f32 v3, v1, v53, v3
	v_lshl_add_u64 v[56:57], v[56:57], 3, v[108:109]
	v_fma_f32 v1, -v4, v12, 1.0
	v_fmac_f32_e32 v12, v1, v12
	v_div_scale_f32 v1, vcc, v2, v53, v2
	v_mul_f32_e32 v5, v1, v12
	v_fma_f32 v9, -v4, v5, v1
	v_fmac_f32_e32 v5, v9, v12
	v_fma_f32 v1, -v4, v5, v1
	v_div_fmas_f32 v1, v1, v12, v5
	v_div_fixup_f32 v2, v1, v53, v2
	global_store_dwordx2 v[56:57], v[2:3], off offset:512
	v_mov_b32_e32 v2, 0
	global_store_dwordx2 v[56:57], v[54:55], off
.LBB29_252:                             ;   in Loop: Header=BB29_12 Depth=1
	s_or_b64 exec, exec, s[12:13]
	v_cmp_gt_i32_e32 vcc, s92, v2
	s_mov_b64 s[12:13], -1
	s_and_saveexec_b64 s[72:73], vcc
; %bb.253:                              ;   in Loop: Header=BB29_12 Depth=1
	v_cmp_eq_u32_e32 vcc, 0, v2
	s_orn2_b64 s[12:13], vcc, exec
; %bb.254:                              ;   in Loop: Header=BB29_12 Depth=1
	s_or_b64 exec, exec, s[72:73]
	s_and_b64 exec, exec, s[12:13]
	s_cbranch_execz .LBB29_10
; %bb.255:                              ;   in Loop: Header=BB29_12 Depth=1
	v_accvgpr_read_b32 v1, a65
	v_add_u32_e32 v1, v1, v73
	v_cmp_gt_i32_e32 vcc, s36, v1
	s_and_b64 s[72:73], vcc, s[8:9]
	v_mov_b32_e32 v2, 0x47
	s_and_saveexec_b64 s[12:13], s[72:73]
	s_cbranch_execz .LBB29_257
; %bb.256:                              ;   in Loop: Header=BB29_12 Depth=1
	v_accvgpr_read_b32 v4, a81
	ds_read2st64_b32 v[2:3], v4 offset1:1
	ds_read2st64_b32 v[4:5], v4 offset0:33 offset1:34
	v_accvgpr_read_b32 v9, a66
	ds_read2_b32 v[52:53], v9 offset0:128 offset1:129
	ds_read_b32 v12, v9 offset:8960
	v_mad_u64_u32 v[58:59], s[72:73], v1, s37, v[70:71]
	s_waitcnt lgkmcnt(3)
	v_cvt_f32_f16_sdwa v55, v2 dst_sel:DWORD dst_unused:UNUSED_PAD src0_sel:WORD_1
	v_cvt_f32_f16_e32 v54, v2
	s_waitcnt lgkmcnt(2)
	v_cvt_f32_f16_sdwa v57, v4 dst_sel:DWORD dst_unused:UNUSED_PAD src0_sel:WORD_1
	v_cvt_f32_f16_e32 v56, v4
	v_cvt_f32_f16_sdwa v59, v3 dst_sel:DWORD dst_unused:UNUSED_PAD src0_sel:WORD_1
	s_waitcnt lgkmcnt(1)
	v_pk_fma_f32 v[54:55], v[52:53], v[54:55], 0 op_sel_hi:[0,1,0]
	s_waitcnt lgkmcnt(0)
	v_pk_fma_f32 v[54:55], v[12:13], v[56:57], v[54:55] op_sel_hi:[0,1,1]
	v_div_scale_f32 v1, s[72:73], v53, v53, v55
	v_rcp_f32_e32 v2, v1
	v_lshl_add_u32 v56, v58, 7, v8
	v_cvt_f32_f16_e32 v58, v3
	v_cvt_f32_f16_sdwa v3, v5 dst_sel:DWORD dst_unused:UNUSED_PAD src0_sel:WORD_1
	v_fma_f32 v4, -v1, v2, 1.0
	v_fmac_f32_e32 v2, v4, v2
	v_div_scale_f32 v4, vcc, v55, v53, v55
	v_mul_f32_e32 v9, v4, v2
	v_fma_f32 v47, -v1, v9, v4
	v_fmac_f32_e32 v9, v47, v2
	v_fma_f32 v1, -v1, v9, v4
	v_div_scale_f32 v4, s[72:73], v53, v53, v54
	v_rcp_f32_e32 v47, v4
	v_div_fmas_f32 v1, v1, v2, v9
	v_div_fixup_f32 v55, v1, v53, v55
	v_cvt_f32_f16_e32 v2, v5
	v_fma_f32 v1, -v4, v47, 1.0
	v_fmac_f32_e32 v47, v1, v47
	v_div_scale_f32 v1, vcc, v54, v53, v54
	v_mul_f32_e32 v9, v1, v47
	v_fma_f32 v51, -v4, v9, v1
	v_fmac_f32_e32 v9, v51, v47
	v_fma_f32 v1, -v4, v9, v1
	v_pk_fma_f32 v[4:5], v[52:53], v[58:59], 0 op_sel_hi:[0,1,0]
	v_pk_fma_f32 v[2:3], v[12:13], v[2:3], v[4:5] op_sel_hi:[0,1,1]
	v_div_scale_f32 v4, s[72:73], v53, v53, v3
	v_rcp_f32_e32 v5, v4
	v_div_fmas_f32 v1, v1, v47, v9
	v_div_fixup_f32 v54, v1, v53, v54
	v_ashrrev_i32_e32 v57, 31, v56
	v_fma_f32 v1, -v4, v5, 1.0
	v_fmac_f32_e32 v5, v1, v5
	v_div_scale_f32 v1, vcc, v3, v53, v3
	v_mul_f32_e32 v9, v1, v5
	v_fma_f32 v12, -v4, v9, v1
	v_fmac_f32_e32 v9, v12, v5
	v_fma_f32 v1, -v4, v9, v1
	v_div_scale_f32 v4, s[72:73], v53, v53, v2
	v_rcp_f32_e32 v12, v4
	v_div_fmas_f32 v1, v1, v5, v9
	v_div_fixup_f32 v3, v1, v53, v3
	v_lshl_add_u64 v[56:57], v[56:57], 3, v[108:109]
	v_fma_f32 v1, -v4, v12, 1.0
	v_fmac_f32_e32 v12, v1, v12
	v_div_scale_f32 v1, vcc, v2, v53, v2
	v_mul_f32_e32 v5, v1, v12
	v_fma_f32 v9, -v4, v5, v1
	v_fmac_f32_e32 v5, v9, v12
	v_fma_f32 v1, -v4, v5, v1
	v_div_fmas_f32 v1, v1, v12, v5
	v_div_fixup_f32 v2, v1, v53, v2
	global_store_dwordx2 v[56:57], v[2:3], off offset:512
	v_mov_b32_e32 v2, 0
	global_store_dwordx2 v[56:57], v[54:55], off
.LBB29_257:                             ;   in Loop: Header=BB29_12 Depth=1
	s_or_b64 exec, exec, s[12:13]
	v_cmp_gt_i32_e32 vcc, s92, v2
	s_mov_b64 s[12:13], -1
	s_and_saveexec_b64 s[72:73], vcc
; %bb.258:                              ;   in Loop: Header=BB29_12 Depth=1
	v_cmp_eq_u32_e32 vcc, 0, v2
	s_orn2_b64 s[12:13], vcc, exec
; %bb.259:                              ;   in Loop: Header=BB29_12 Depth=1
	s_or_b64 exec, exec, s[72:73]
	s_and_b64 exec, exec, s[12:13]
	s_cbranch_execz .LBB29_10
; %bb.260:                              ;   in Loop: Header=BB29_12 Depth=1
	v_accvgpr_read_b32 v1, a95
	v_accvgpr_read_b32 v2, a96
	v_add_u32_e32 v1, v1, v73
	v_or_b32_e32 v2, v2, v11
	v_cmp_gt_i32_e32 vcc, s36, v1
	v_cmp_gt_i32_e64 s[12:13], s3, v2
	s_and_b64 s[72:73], vcc, s[12:13]
	v_mov_b32_e32 v2, 0x47
	s_and_saveexec_b64 s[12:13], s[72:73]
	s_cbranch_execz .LBB29_262
; %bb.261:                              ;   in Loop: Header=BB29_12 Depth=1
	v_accvgpr_read_b32 v4, a82
	ds_read2st64_b32 v[2:3], v4 offset1:1
	ds_read2st64_b32 v[4:5], v4 offset0:33 offset1:34
	v_accvgpr_read_b32 v9, a67
	ds_read2_b32 v[52:53], v9 offset0:128 offset1:129
	ds_read_b32 v12, v9 offset:8960
	s_waitcnt lgkmcnt(3)
	v_cvt_f32_f16_sdwa v55, v2 dst_sel:DWORD dst_unused:UNUSED_PAD src0_sel:WORD_1
	v_cvt_f32_f16_e32 v54, v2
	s_waitcnt lgkmcnt(2)
	v_cvt_f32_f16_sdwa v57, v4 dst_sel:DWORD dst_unused:UNUSED_PAD src0_sel:WORD_1
	v_cvt_f32_f16_e32 v56, v4
	v_accvgpr_read_b32 v2, a96
	s_waitcnt lgkmcnt(1)
	v_pk_fma_f32 v[54:55], v[52:53], v[54:55], 0 op_sel_hi:[0,1,0]
	v_mad_u64_u32 v[58:59], s[72:73], v1, s37, v[2:3]
	s_waitcnt lgkmcnt(0)
	v_pk_fma_f32 v[54:55], v[12:13], v[56:57], v[54:55] op_sel_hi:[0,1,1]
	v_div_scale_f32 v1, s[72:73], v53, v53, v55
	v_rcp_f32_e32 v2, v1
	v_lshl_add_u32 v56, v58, 7, v8
	v_cvt_f32_f16_sdwa v59, v3 dst_sel:DWORD dst_unused:UNUSED_PAD src0_sel:WORD_1
	v_cvt_f32_f16_e32 v58, v3
	v_fma_f32 v4, -v1, v2, 1.0
	v_fmac_f32_e32 v2, v4, v2
	v_div_scale_f32 v4, vcc, v55, v53, v55
	v_mul_f32_e32 v9, v4, v2
	v_fma_f32 v47, -v1, v9, v4
	v_fmac_f32_e32 v9, v47, v2
	v_fma_f32 v1, -v1, v9, v4
	v_div_scale_f32 v4, s[72:73], v53, v53, v54
	v_rcp_f32_e32 v47, v4
	v_div_fmas_f32 v1, v1, v2, v9
	v_div_fixup_f32 v55, v1, v53, v55
	v_cvt_f32_f16_sdwa v3, v5 dst_sel:DWORD dst_unused:UNUSED_PAD src0_sel:WORD_1
	v_fma_f32 v1, -v4, v47, 1.0
	v_fmac_f32_e32 v47, v1, v47
	v_div_scale_f32 v1, vcc, v54, v53, v54
	v_mul_f32_e32 v9, v1, v47
	v_cvt_f32_f16_e32 v2, v5
	v_fma_f32 v51, -v4, v9, v1
	v_fmac_f32_e32 v9, v51, v47
	v_fma_f32 v1, -v4, v9, v1
	v_pk_fma_f32 v[4:5], v[52:53], v[58:59], 0 op_sel_hi:[0,1,0]
	v_pk_fma_f32 v[2:3], v[12:13], v[2:3], v[4:5] op_sel_hi:[0,1,1]
	v_div_scale_f32 v4, s[72:73], v53, v53, v3
	v_rcp_f32_e32 v5, v4
	v_div_fmas_f32 v1, v1, v47, v9
	v_div_fixup_f32 v54, v1, v53, v54
	v_ashrrev_i32_e32 v57, 31, v56
	v_fma_f32 v1, -v4, v5, 1.0
	v_fmac_f32_e32 v5, v1, v5
	v_div_scale_f32 v1, vcc, v3, v53, v3
	v_mul_f32_e32 v9, v1, v5
	v_fma_f32 v12, -v4, v9, v1
	v_fmac_f32_e32 v9, v12, v5
	v_fma_f32 v1, -v4, v9, v1
	v_div_scale_f32 v4, s[72:73], v53, v53, v2
	v_rcp_f32_e32 v12, v4
	v_div_fmas_f32 v1, v1, v5, v9
	v_div_fixup_f32 v3, v1, v53, v3
	v_lshl_add_u64 v[56:57], v[56:57], 3, v[108:109]
	v_fma_f32 v1, -v4, v12, 1.0
	v_fmac_f32_e32 v12, v1, v12
	v_div_scale_f32 v1, vcc, v2, v53, v2
	v_mul_f32_e32 v5, v1, v12
	v_fma_f32 v9, -v4, v5, v1
	v_fmac_f32_e32 v5, v9, v12
	v_fma_f32 v1, -v4, v5, v1
	v_div_fmas_f32 v1, v1, v12, v5
	v_div_fixup_f32 v2, v1, v53, v2
	global_store_dwordx2 v[56:57], v[2:3], off offset:512
	v_mov_b32_e32 v2, 0
	global_store_dwordx2 v[56:57], v[54:55], off
.LBB29_262:                             ;   in Loop: Header=BB29_12 Depth=1
	s_or_b64 exec, exec, s[12:13]
	v_cmp_gt_i32_e32 vcc, s92, v2
	s_mov_b64 s[12:13], -1
	s_and_saveexec_b64 s[72:73], vcc
; %bb.263:                              ;   in Loop: Header=BB29_12 Depth=1
	v_cmp_eq_u32_e32 vcc, 0, v2
	s_orn2_b64 s[12:13], vcc, exec
; %bb.264:                              ;   in Loop: Header=BB29_12 Depth=1
	s_or_b64 exec, exec, s[72:73]
	s_and_b64 exec, exec, s[12:13]
	s_cbranch_execz .LBB29_10
; %bb.265:                              ;   in Loop: Header=BB29_12 Depth=1
	v_accvgpr_read_b32 v1, a68
	v_add_u32_e32 v1, v1, v73
	v_cmp_gt_i32_e32 vcc, s36, v1
	s_and_b64 s[12:13], vcc, s[8:9]
	v_mov_b32_e32 v2, 0x47
	s_and_saveexec_b64 s[8:9], s[12:13]
	s_cbranch_execz .LBB29_267
; %bb.266:                              ;   in Loop: Header=BB29_12 Depth=1
	v_accvgpr_read_b32 v4, a83
	ds_read2st64_b32 v[2:3], v4 offset1:1
	ds_read2st64_b32 v[4:5], v4 offset0:33 offset1:34
	v_accvgpr_read_b32 v9, a69
	ds_read2_b32 v[52:53], v9 offset0:128 offset1:129
	ds_read_b32 v12, v9 offset:8960
	v_mad_u64_u32 v[58:59], s[12:13], v1, s37, v[70:71]
	s_waitcnt lgkmcnt(3)
	v_cvt_f32_f16_sdwa v55, v2 dst_sel:DWORD dst_unused:UNUSED_PAD src0_sel:WORD_1
	v_cvt_f32_f16_e32 v54, v2
	s_waitcnt lgkmcnt(2)
	v_cvt_f32_f16_sdwa v57, v4 dst_sel:DWORD dst_unused:UNUSED_PAD src0_sel:WORD_1
	v_cvt_f32_f16_e32 v56, v4
	v_cvt_f32_f16_sdwa v59, v3 dst_sel:DWORD dst_unused:UNUSED_PAD src0_sel:WORD_1
	s_waitcnt lgkmcnt(1)
	v_pk_fma_f32 v[54:55], v[52:53], v[54:55], 0 op_sel_hi:[0,1,0]
	s_waitcnt lgkmcnt(0)
	v_pk_fma_f32 v[54:55], v[12:13], v[56:57], v[54:55] op_sel_hi:[0,1,1]
	v_div_scale_f32 v1, s[12:13], v53, v53, v55
	v_rcp_f32_e32 v2, v1
	v_lshl_add_u32 v56, v58, 7, v8
	v_cvt_f32_f16_e32 v58, v3
	v_cvt_f32_f16_sdwa v3, v5 dst_sel:DWORD dst_unused:UNUSED_PAD src0_sel:WORD_1
	v_fma_f32 v4, -v1, v2, 1.0
	v_fmac_f32_e32 v2, v4, v2
	v_div_scale_f32 v4, vcc, v55, v53, v55
	v_mul_f32_e32 v9, v4, v2
	v_fma_f32 v47, -v1, v9, v4
	v_fmac_f32_e32 v9, v47, v2
	v_fma_f32 v1, -v1, v9, v4
	v_div_scale_f32 v4, s[12:13], v53, v53, v54
	v_rcp_f32_e32 v47, v4
	v_div_fmas_f32 v1, v1, v2, v9
	v_div_fixup_f32 v55, v1, v53, v55
	v_cvt_f32_f16_e32 v2, v5
	v_fma_f32 v1, -v4, v47, 1.0
	v_fmac_f32_e32 v47, v1, v47
	v_div_scale_f32 v1, vcc, v54, v53, v54
	v_mul_f32_e32 v9, v1, v47
	v_fma_f32 v51, -v4, v9, v1
	v_fmac_f32_e32 v9, v51, v47
	v_fma_f32 v1, -v4, v9, v1
	v_pk_fma_f32 v[4:5], v[52:53], v[58:59], 0 op_sel_hi:[0,1,0]
	v_pk_fma_f32 v[2:3], v[12:13], v[2:3], v[4:5] op_sel_hi:[0,1,1]
	v_div_scale_f32 v4, s[12:13], v53, v53, v3
	v_rcp_f32_e32 v5, v4
	v_div_fmas_f32 v1, v1, v47, v9
	v_div_fixup_f32 v54, v1, v53, v54
	v_ashrrev_i32_e32 v57, 31, v56
	v_fma_f32 v1, -v4, v5, 1.0
	v_fmac_f32_e32 v5, v1, v5
	v_div_scale_f32 v1, vcc, v3, v53, v3
	v_mul_f32_e32 v9, v1, v5
	v_fma_f32 v12, -v4, v9, v1
	v_fmac_f32_e32 v9, v12, v5
	v_fma_f32 v1, -v4, v9, v1
	v_div_scale_f32 v4, s[12:13], v53, v53, v2
	v_rcp_f32_e32 v12, v4
	v_div_fmas_f32 v1, v1, v5, v9
	v_div_fixup_f32 v3, v1, v53, v3
	v_lshl_add_u64 v[56:57], v[56:57], 3, v[108:109]
	v_fma_f32 v1, -v4, v12, 1.0
	v_fmac_f32_e32 v12, v1, v12
	v_div_scale_f32 v1, vcc, v2, v53, v2
	v_mul_f32_e32 v5, v1, v12
	v_fma_f32 v9, -v4, v5, v1
	v_fmac_f32_e32 v5, v9, v12
	v_fma_f32 v1, -v4, v5, v1
	v_div_fmas_f32 v1, v1, v12, v5
	v_div_fixup_f32 v2, v1, v53, v2
	global_store_dwordx2 v[56:57], v[2:3], off offset:512
	v_mov_b32_e32 v2, 0
	global_store_dwordx2 v[56:57], v[54:55], off
.LBB29_267:                             ;   in Loop: Header=BB29_12 Depth=1
	s_or_b64 exec, exec, s[8:9]
	v_cmp_gt_i32_e32 vcc, s92, v2
	s_mov_b64 s[8:9], -1
	s_and_saveexec_b64 s[12:13], vcc
; %bb.268:                              ;   in Loop: Header=BB29_12 Depth=1
	v_cmp_eq_u32_e32 vcc, 0, v2
	s_orn2_b64 s[8:9], vcc, exec
; %bb.269:                              ;   in Loop: Header=BB29_12 Depth=1
	s_or_b64 exec, exec, s[12:13]
	s_and_b64 exec, exec, s[8:9]
	s_cbranch_execz .LBB29_10
; %bb.270:                              ;   in Loop: Header=BB29_12 Depth=1
	v_accvgpr_read_b32 v1, a97
	v_accvgpr_read_b32 v2, a98
	v_add_u32_e32 v1, v1, v73
	v_or_b32_e32 v2, v2, v11
	v_cmp_gt_i32_e32 vcc, s36, v1
	v_cmp_gt_i32_e64 s[8:9], s3, v2
	s_and_b64 s[8:9], vcc, s[8:9]
	s_and_b64 exec, exec, s[8:9]
	s_cbranch_execz .LBB29_10
; %bb.271:                              ;   in Loop: Header=BB29_12 Depth=1
	v_accvgpr_read_b32 v4, a84
	ds_read2st64_b32 v[2:3], v4 offset1:1
	ds_read2st64_b32 v[4:5], v4 offset0:33 offset1:34
	v_accvgpr_read_b32 v9, a70
	ds_read2_b32 v[52:53], v9 offset0:128 offset1:129
	ds_read_b32 v12, v9 offset:8960
	s_waitcnt lgkmcnt(3)
	v_cvt_f32_f16_sdwa v55, v2 dst_sel:DWORD dst_unused:UNUSED_PAD src0_sel:WORD_1
	v_cvt_f32_f16_e32 v54, v2
	s_waitcnt lgkmcnt(2)
	v_cvt_f32_f16_sdwa v57, v4 dst_sel:DWORD dst_unused:UNUSED_PAD src0_sel:WORD_1
	v_cvt_f32_f16_e32 v56, v4
	v_accvgpr_read_b32 v2, a98
	s_waitcnt lgkmcnt(1)
	v_pk_fma_f32 v[54:55], v[52:53], v[54:55], 0 op_sel_hi:[0,1,0]
	v_mad_u64_u32 v[58:59], s[8:9], v1, s37, v[2:3]
	s_waitcnt lgkmcnt(0)
	v_pk_fma_f32 v[54:55], v[12:13], v[56:57], v[54:55] op_sel_hi:[0,1,1]
	v_div_scale_f32 v1, s[8:9], v53, v53, v55
	v_rcp_f32_e32 v2, v1
	v_lshl_add_u32 v56, v58, 7, v8
	v_cvt_f32_f16_sdwa v59, v3 dst_sel:DWORD dst_unused:UNUSED_PAD src0_sel:WORD_1
	v_cvt_f32_f16_e32 v58, v3
	v_fma_f32 v4, -v1, v2, 1.0
	v_fmac_f32_e32 v2, v4, v2
	v_div_scale_f32 v4, vcc, v55, v53, v55
	v_mul_f32_e32 v9, v4, v2
	v_fma_f32 v11, -v1, v9, v4
	v_fmac_f32_e32 v9, v11, v2
	v_fma_f32 v1, -v1, v9, v4
	v_div_scale_f32 v4, s[8:9], v53, v53, v54
	v_rcp_f32_e32 v11, v4
	v_div_fmas_f32 v1, v1, v2, v9
	v_div_fixup_f32 v55, v1, v53, v55
	v_cvt_f32_f16_sdwa v3, v5 dst_sel:DWORD dst_unused:UNUSED_PAD src0_sel:WORD_1
	v_fma_f32 v1, -v4, v11, 1.0
	v_fmac_f32_e32 v11, v1, v11
	v_div_scale_f32 v1, vcc, v54, v53, v54
	v_mul_f32_e32 v9, v1, v11
	v_cvt_f32_f16_e32 v2, v5
	v_fma_f32 v47, -v4, v9, v1
	v_fmac_f32_e32 v9, v47, v11
	v_fma_f32 v1, -v4, v9, v1
	v_pk_fma_f32 v[4:5], v[52:53], v[58:59], 0 op_sel_hi:[0,1,0]
	v_pk_fma_f32 v[2:3], v[12:13], v[2:3], v[4:5] op_sel_hi:[0,1,1]
	v_div_scale_f32 v4, s[8:9], v53, v53, v3
	v_rcp_f32_e32 v5, v4
	v_div_fmas_f32 v1, v1, v11, v9
	v_div_fixup_f32 v54, v1, v53, v54
	v_ashrrev_i32_e32 v57, 31, v56
	v_fma_f32 v1, -v4, v5, 1.0
	v_fmac_f32_e32 v5, v1, v5
	v_div_scale_f32 v1, vcc, v3, v53, v3
	v_mul_f32_e32 v9, v1, v5
	v_fma_f32 v11, -v4, v9, v1
	v_fmac_f32_e32 v9, v11, v5
	v_fma_f32 v1, -v4, v9, v1
	v_div_scale_f32 v4, s[8:9], v53, v53, v2
	v_rcp_f32_e32 v11, v4
	v_div_fmas_f32 v1, v1, v5, v9
	v_div_fixup_f32 v3, v1, v53, v3
	v_lshl_add_u64 v[56:57], v[56:57], 3, v[108:109]
	v_fma_f32 v1, -v4, v11, 1.0
	v_fmac_f32_e32 v11, v1, v11
	v_div_scale_f32 v1, vcc, v2, v53, v2
	v_mul_f32_e32 v5, v1, v11
	v_fma_f32 v9, -v4, v5, v1
	v_fmac_f32_e32 v5, v9, v11
	v_fma_f32 v1, -v4, v5, v1
	v_div_fmas_f32 v1, v1, v11, v5
	v_div_fixup_f32 v2, v1, v53, v2
	global_store_dwordx2 v[56:57], v[54:55], off
	global_store_dwordx2 v[56:57], v[2:3], off offset:512
	s_branch .LBB29_10
.LBB29_272:
	v_accvgpr_read_b32 v197, a40
	v_accvgpr_read_b32 v47, a41
	;; [unrolled: 1-line block ×9, first 2 shown]
	s_andn2_b64 vcc, exec, s[8:9]
	s_cbranch_vccnz .LBB29_8
.LBB29_273:
	s_abs_i32 s0, s78
	v_cvt_f32_u32_e32 v1, s0
	s_sub_i32 s5, 0, s0
	s_abs_i32 s4, s54
	s_xor_b32 s1, s54, s78
	v_rcp_iflag_f32_e32 v1, v1
	s_ashr_i32 s1, s1, 31
	v_mul_f32_e32 v1, 0x4f7ffffe, v1
	v_cvt_u32_f32_e32 v1, v1
	s_nop 0
	v_readfirstlane_b32 s6, v1
	s_mul_i32 s5, s5, s6
	s_mul_hi_u32 s5, s6, s5
	s_add_i32 s6, s6, s5
	s_mul_hi_u32 s5, s4, s6
	s_mul_i32 s6, s5, s0
	s_sub_i32 s4, s4, s6
	s_add_i32 s7, s5, 1
	s_sub_i32 s6, s4, s0
	s_cmp_ge_u32 s4, s0
	s_cselect_b32 s5, s7, s5
	s_cselect_b32 s4, s6, s4
	s_add_i32 s6, s5, 1
	s_cmp_ge_u32 s4, s0
	s_cselect_b32 s0, s6, s5
	s_abs_i32 s4, s77
	v_cvt_f32_u32_e32 v1, s4
	s_xor_b32 s0, s0, s1
	s_sub_i32 s5, 0, s4
	s_sub_i32 s8, s0, s1
	v_rcp_iflag_f32_e32 v1, v1
	s_mul_i32 s0, s8, s78
	s_sub_i32 s0, s54, s0
	s_abs_i32 s6, s0
	v_mul_f32_e32 v1, 0x4f7ffffe, v1
	v_cvt_u32_f32_e32 v1, v1
	s_xor_b32 s1, s0, s77
	s_ashr_i32 s1, s1, 31
	v_readfirstlane_b32 s7, v1
	s_mul_i32 s5, s5, s7
	s_mul_hi_u32 s5, s7, s5
	s_add_i32 s7, s7, s5
	s_mul_hi_u32 s5, s6, s7
	s_mul_i32 s7, s5, s4
	s_sub_i32 s6, s6, s7
	s_add_i32 s9, s5, 1
	s_sub_i32 s7, s6, s4
	s_cmp_ge_u32 s6, s4
	s_cselect_b32 s5, s9, s5
	s_cselect_b32 s6, s7, s6
	s_add_i32 s7, s5, 1
	s_cmp_ge_u32 s6, s4
	s_cselect_b32 s4, s7, s5
	s_abs_i32 s5, s76
	v_cvt_f32_u32_e32 v1, s5
	s_xor_b32 s4, s4, s1
	s_sub_i32 s6, 0, s5
	s_sub_i32 s9, s4, s1
	v_rcp_iflag_f32_e32 v1, v1
	s_mul_i32 s1, s9, s77
	s_sub_i32 s1, s0, s1
	s_abs_i32 s4, s1
	v_mul_f32_e32 v1, 0x4f7ffffe, v1
	v_cvt_u32_f32_e32 v1, v1
	s_xor_b32 s0, s1, s76
	s_ashr_i32 s0, s0, 31
	v_readfirstlane_b32 s7, v1
	s_mul_i32 s6, s6, s7
	s_mul_hi_u32 s6, s7, s6
	s_add_i32 s7, s7, s6
	s_mul_hi_u32 s6, s4, s7
	s_mul_i32 s7, s6, s5
	s_sub_i32 s4, s4, s7
	s_add_i32 s10, s6, 1
	s_sub_i32 s7, s4, s5
	s_cmp_ge_u32 s4, s5
	s_cselect_b32 s6, s10, s6
	s_cselect_b32 s4, s7, s4
	s_add_i32 s7, s6, 1
	s_cmp_ge_u32 s4, s5
	s_cselect_b32 s4, s7, s6
	s_xor_b32 s4, s4, s0
	s_sub_i32 s0, s4, s0
	s_mul_i32 s4, s0, s76
	s_sub_i32 s1, s1, s4
	s_ashr_i32 s4, s1, 31
	s_abs_i32 s1, s1
	s_mul_hi_u32 s5, s1, s50
	s_mul_i32 s6, s5, s80
	s_sub_i32 s1, s1, s6
	s_xor_b32 s4, s4, s42
	s_add_i32 s6, s5, 1
	s_sub_i32 s7, s1, s80
	s_cmp_ge_u32 s1, s80
	s_cselect_b32 s5, s6, s5
	s_cselect_b32 s1, s7, s1
	s_add_i32 s6, s5, 1
	s_cmp_ge_u32 s1, s80
	s_cselect_b32 s1, s6, s5
	s_abs_i32 s11, s56
	v_cvt_f32_u32_e32 v1, s11
	s_xor_b32 s1, s1, s4
	s_sub_i32 s1, s1, s4
	s_cmp_eq_u64 s[26:27], 0
	v_rcp_iflag_f32_e32 v1, v1
	s_nop 0
	v_mul_f32_e32 v1, 0x4f7ffffe, v1
	v_cvt_u32_f32_e32 v1, v1
	s_nop 0
	v_readfirstlane_b32 s12, v1
	s_cbranch_scc1 .LBB29_275
; %bb.274:
	s_mul_i32 s4, s8, s75
	s_add_i32 s4, s1, s4
	s_ashr_i32 s5, s4, 31
	s_lshl_b64 s[4:5], s[4:5], 2
	s_add_u32 s4, s26, s4
	s_addc_u32 s5, s27, s5
	v_mov_b32_e32 v1, 0
	global_load_dword v1, v1, s[4:5]
	s_waitcnt vmcnt(0)
	v_ashrrev_i32_e32 v2, 31, v1
	v_lshrrev_b32_e32 v2, 26, v2
	v_add_u32_e32 v1, v1, v2
	v_ashrrev_i32_e32 v1, 6, v1
	v_min_i32_e32 v134, v134, v1
.LBB29_275:
	s_mul_i32 s4, s9, s3
	s_lshl_b32 s5, s0, 2
	s_add_i32 s0, s5, s4
	s_mul_i32 s4, s8, s53
	s_ashr_i32 s6, s4, 31
	s_add_u32 s4, s16, s4
	s_mul_i32 s0, s0, s52
	s_addc_u32 s7, s17, s6
	s_ashr_i32 s10, s0, 31
	s_add_u32 s6, s4, s0
	s_addc_u32 s7, s7, s10
	v_and_b32_e32 v64, 0x3ff, v0
	s_lshl_b32 s10, s1, 3
	v_bfe_u32 v0, v63, 2, 8
	v_add_u32_e32 v2, s10, v0
	v_or_b32_e32 v0, s5, v7
	v_cmp_le_i32_e64 s[0:1], s36, v2
	v_cmp_le_i32_e64 s[4:5], s3, v0
	s_mov_b32 s13, 0x10001
	v_lshl_add_u32 v1, v64, 2, 0
	v_cmp_gt_i32_e32 vcc, s3, v0
	s_or_b64 s[0:1], s[0:1], s[4:5]
	s_and_saveexec_b64 s[4:5], s[0:1]
	s_xor_b64 s[0:1], exec, s[4:5]
; %bb.276:
	s_movk_i32 s3, 0x210
	v_mad_u32_u24 v0, v65, s3, v1
	v_mov_b32_e32 v2, 0
	ds_write2st64_b32 v0, v2, v2 offset1:1
                                        ; implicit-def: $vgpr2
; %bb.277:
	s_or_saveexec_b64 s[0:1], s[0:1]
	v_mul_lo_u32 v0, v86, s13
	s_xor_b64 exec, exec, s[0:1]
	s_cbranch_execz .LBB29_279
; %bb.278:
	v_mul_lo_u32 v2, v2, s55
	v_mul_lo_u32 v3, v7, s74
	v_add3_u32 v2, v2, v3, v64
	v_ashrrev_i32_e32 v3, 31, v2
	v_lshl_add_u64 v[2:3], v[2:3], 3, s[6:7]
	global_load_dwordx2 v[4:5], v[2:3], off
	global_load_dwordx2 v[8:9], v[2:3], off offset:512
	v_mul_u32_u24_e32 v2, 0x210, v65
	v_lshlrev_b32_e32 v3, 2, v64
	v_add3_u32 v2, 0, v2, v3
	s_waitcnt vmcnt(1)
	v_cvt_pk_f16_f32 v3, v4, v5
	s_waitcnt vmcnt(0)
	v_cvt_pk_f16_f32 v4, v8, v9
	v_pk_mul_f16 v3, v3, v0
	v_pk_mul_f16 v4, v4, v0
	ds_write2st64_b32 v2, v3, v4 offset1:1
.LBB29_279:
	s_or_b64 exec, exec, s[0:1]
	v_lshrrev_b32_e32 v2, 2, v85
	v_add_u32_e32 v2, s10, v2
	v_cmp_le_i32_e64 s[0:1], s36, v2
	s_xor_b64 s[4:5], vcc, -1
	s_or_b64 s[0:1], s[0:1], s[4:5]
	s_and_saveexec_b64 s[16:17], s[0:1]
	s_xor_b64 s[0:1], exec, s[16:17]
; %bb.280:
	s_movk_i32 s3, 0x210
	v_mad_u32_u24 v2, v85, s3, v1
	v_mov_b32_e32 v3, 0
	ds_write2st64_b32 v2, v3, v3 offset1:1
                                        ; implicit-def: $vgpr2
                                        ; implicit-def: $vgpr85
; %bb.281:
	s_andn2_saveexec_b64 s[0:1], s[0:1]
	s_cbranch_execz .LBB29_283
; %bb.282:
	v_mul_lo_u32 v2, v2, s55
	v_mul_lo_u32 v3, v7, s74
	v_add3_u32 v2, v2, v3, v64
	v_ashrrev_i32_e32 v3, 31, v2
	v_lshl_add_u64 v[2:3], v[2:3], 3, s[6:7]
	global_load_dwordx2 v[4:5], v[2:3], off
	global_load_dwordx2 v[8:9], v[2:3], off offset:512
	v_mul_u32_u24_e32 v2, 0x210, v85
	v_lshlrev_b32_e32 v3, 2, v64
	v_add3_u32 v2, 0, v2, v3
	s_waitcnt vmcnt(1)
	v_cvt_pk_f16_f32 v3, v4, v5
	s_waitcnt vmcnt(0)
	v_cvt_pk_f16_f32 v4, v8, v9
	v_pk_mul_f16 v3, v3, v0
	v_pk_mul_f16 v4, v4, v0
	ds_write2st64_b32 v2, v3, v4 offset1:1
.LBB29_283:
	s_or_b64 exec, exec, s[0:1]
	v_lshrrev_b32_e32 v2, 2, v84
	v_add_u32_e32 v2, s10, v2
	v_cmp_le_i32_e32 vcc, s36, v2
	s_or_b64 s[0:1], vcc, s[4:5]
	s_and_saveexec_b64 s[16:17], s[0:1]
	s_xor_b64 s[0:1], exec, s[16:17]
; %bb.284:
	s_movk_i32 s3, 0x210
	v_mad_u32_u24 v2, v84, s3, v1
	v_mov_b32_e32 v3, 0
	ds_write2st64_b32 v2, v3, v3 offset1:1
                                        ; implicit-def: $vgpr2
                                        ; implicit-def: $vgpr84
; %bb.285:
	s_andn2_saveexec_b64 s[0:1], s[0:1]
	s_cbranch_execz .LBB29_287
; %bb.286:
	v_mul_lo_u32 v2, v2, s55
	v_mul_lo_u32 v3, v7, s74
	v_add3_u32 v2, v2, v3, v64
	v_ashrrev_i32_e32 v3, 31, v2
	v_lshl_add_u64 v[2:3], v[2:3], 3, s[6:7]
	global_load_dwordx2 v[4:5], v[2:3], off
	global_load_dwordx2 v[8:9], v[2:3], off offset:512
	v_mul_u32_u24_e32 v2, 0x210, v84
	v_lshlrev_b32_e32 v3, 2, v64
	v_add3_u32 v2, 0, v2, v3
	s_waitcnt vmcnt(1)
	v_cvt_pk_f16_f32 v3, v4, v5
	s_waitcnt vmcnt(0)
	v_cvt_pk_f16_f32 v4, v8, v9
	v_pk_mul_f16 v3, v3, v0
	v_pk_mul_f16 v4, v4, v0
	ds_write2st64_b32 v2, v3, v4 offset1:1
.LBB29_287:
	s_or_b64 exec, exec, s[0:1]
	v_lshrrev_b32_e32 v2, 2, v83
	v_add_u32_e32 v2, s10, v2
	v_cmp_le_i32_e32 vcc, s36, v2
	s_or_b64 s[0:1], vcc, s[4:5]
	s_and_saveexec_b64 s[16:17], s[0:1]
	s_xor_b64 s[0:1], exec, s[16:17]
; %bb.288:
	s_movk_i32 s3, 0x210
	v_mad_u32_u24 v2, v83, s3, v1
	v_mov_b32_e32 v3, 0
	ds_write2st64_b32 v2, v3, v3 offset1:1
                                        ; implicit-def: $vgpr2
                                        ; implicit-def: $vgpr83
; %bb.289:
	s_andn2_saveexec_b64 s[0:1], s[0:1]
	s_cbranch_execz .LBB29_291
; %bb.290:
	v_mul_lo_u32 v2, v2, s55
	v_mul_lo_u32 v3, v7, s74
	v_add3_u32 v2, v2, v3, v64
	v_ashrrev_i32_e32 v3, 31, v2
	v_lshl_add_u64 v[2:3], v[2:3], 3, s[6:7]
	global_load_dwordx2 v[4:5], v[2:3], off
	global_load_dwordx2 v[8:9], v[2:3], off offset:512
	v_mul_u32_u24_e32 v2, 0x210, v83
	v_lshlrev_b32_e32 v3, 2, v64
	v_add3_u32 v2, 0, v2, v3
	s_waitcnt vmcnt(1)
	v_cvt_pk_f16_f32 v3, v4, v5
	s_waitcnt vmcnt(0)
	v_cvt_pk_f16_f32 v4, v8, v9
	v_pk_mul_f16 v3, v3, v0
	v_pk_mul_f16 v4, v4, v0
	ds_write2st64_b32 v2, v3, v4 offset1:1
.LBB29_291:
	s_or_b64 exec, exec, s[0:1]
	v_lshrrev_b32_e32 v2, 2, v82
	v_add_u32_e32 v2, s10, v2
	v_cmp_le_i32_e32 vcc, s36, v2
	s_or_b64 s[0:1], vcc, s[4:5]
	s_and_saveexec_b64 s[16:17], s[0:1]
	s_xor_b64 s[0:1], exec, s[16:17]
; %bb.292:
	s_movk_i32 s3, 0x210
	v_mad_u32_u24 v2, v82, s3, v1
	v_mov_b32_e32 v3, 0
	ds_write2st64_b32 v2, v3, v3 offset1:1
                                        ; implicit-def: $vgpr2
                                        ; implicit-def: $vgpr82
; %bb.293:
	s_andn2_saveexec_b64 s[0:1], s[0:1]
	s_cbranch_execz .LBB29_295
; %bb.294:
	v_mul_lo_u32 v2, v2, s55
	v_mul_lo_u32 v3, v7, s74
	v_add3_u32 v2, v2, v3, v64
	v_ashrrev_i32_e32 v3, 31, v2
	v_lshl_add_u64 v[2:3], v[2:3], 3, s[6:7]
	global_load_dwordx2 v[4:5], v[2:3], off
	global_load_dwordx2 v[8:9], v[2:3], off offset:512
	v_mul_u32_u24_e32 v2, 0x210, v82
	v_lshlrev_b32_e32 v3, 2, v64
	v_add3_u32 v2, 0, v2, v3
	s_waitcnt vmcnt(1)
	v_cvt_pk_f16_f32 v3, v4, v5
	s_waitcnt vmcnt(0)
	v_cvt_pk_f16_f32 v4, v8, v9
	v_pk_mul_f16 v3, v3, v0
	v_pk_mul_f16 v4, v4, v0
	ds_write2st64_b32 v2, v3, v4 offset1:1
.LBB29_295:
	s_or_b64 exec, exec, s[0:1]
	v_lshrrev_b32_e32 v2, 2, v81
	v_add_u32_e32 v2, s10, v2
	v_cmp_le_i32_e32 vcc, s36, v2
	s_sub_i32 s3, 0, s11
	s_or_b64 s[0:1], vcc, s[4:5]
	s_and_saveexec_b64 s[16:17], s[0:1]
	s_xor_b64 s[0:1], exec, s[16:17]
; %bb.296:
	s_movk_i32 s13, 0x210
	v_mad_u32_u24 v2, v81, s13, v1
	v_mov_b32_e32 v3, 0
	ds_write2st64_b32 v2, v3, v3 offset1:1
                                        ; implicit-def: $vgpr2
                                        ; implicit-def: $vgpr81
; %bb.297:
	s_or_saveexec_b64 s[0:1], s[0:1]
	s_mul_i32 s3, s3, s12
	s_xor_b64 exec, exec, s[0:1]
	s_cbranch_execz .LBB29_299
; %bb.298:
	v_mul_lo_u32 v2, v2, s55
	v_mul_lo_u32 v3, v7, s74
	v_add3_u32 v2, v2, v3, v64
	v_ashrrev_i32_e32 v3, 31, v2
	v_lshl_add_u64 v[2:3], v[2:3], 3, s[6:7]
	global_load_dwordx2 v[4:5], v[2:3], off
	global_load_dwordx2 v[8:9], v[2:3], off offset:512
	v_mul_u32_u24_e32 v2, 0x210, v81
	v_lshlrev_b32_e32 v3, 2, v64
	v_add3_u32 v2, 0, v2, v3
	s_waitcnt vmcnt(1)
	v_cvt_pk_f16_f32 v3, v4, v5
	s_waitcnt vmcnt(0)
	v_cvt_pk_f16_f32 v4, v8, v9
	v_pk_mul_f16 v3, v3, v0
	v_pk_mul_f16 v4, v4, v0
	ds_write2st64_b32 v2, v3, v4 offset1:1
.LBB29_299:
	s_or_b64 exec, exec, s[0:1]
	v_lshrrev_b32_e32 v2, 2, v80
	v_add_u32_e32 v2, s10, v2
	v_cmp_le_i32_e32 vcc, s36, v2
	s_mul_hi_u32 s13, s12, s3
	s_or_b64 s[0:1], vcc, s[4:5]
	s_and_saveexec_b64 s[16:17], s[0:1]
	s_xor_b64 s[0:1], exec, s[16:17]
; %bb.300:
	s_movk_i32 s3, 0x210
	v_mad_u32_u24 v2, v80, s3, v1
	v_mov_b32_e32 v3, 0
	ds_write2st64_b32 v2, v3, v3 offset1:1
                                        ; implicit-def: $vgpr2
                                        ; implicit-def: $vgpr80
; %bb.301:
	s_or_saveexec_b64 s[0:1], s[0:1]
	s_abs_i32 s3, s8
	s_add_i32 s12, s12, s13
	s_xor_b64 exec, exec, s[0:1]
	s_cbranch_execz .LBB29_303
; %bb.302:
	v_mul_lo_u32 v2, v2, s55
	v_mul_lo_u32 v3, v7, s74
	v_add3_u32 v2, v2, v3, v64
	v_ashrrev_i32_e32 v3, 31, v2
	v_lshl_add_u64 v[2:3], v[2:3], 3, s[6:7]
	global_load_dwordx2 v[4:5], v[2:3], off
	global_load_dwordx2 v[8:9], v[2:3], off offset:512
	v_mul_u32_u24_e32 v2, 0x210, v80
	v_lshlrev_b32_e32 v3, 2, v64
	v_add3_u32 v2, 0, v2, v3
	s_waitcnt vmcnt(1)
	v_cvt_pk_f16_f32 v3, v4, v5
	s_waitcnt vmcnt(0)
	v_cvt_pk_f16_f32 v4, v8, v9
	v_pk_mul_f16 v3, v3, v0
	v_pk_mul_f16 v4, v4, v0
	ds_write2st64_b32 v2, v3, v4 offset1:1
.LBB29_303:
	s_or_b64 exec, exec, s[0:1]
	v_lshrrev_b32_e32 v2, 2, v47
	v_add_u32_e32 v2, s10, v2
	v_cmp_le_i32_e32 vcc, s36, v2
	s_mul_hi_u32 s12, s3, s12
	s_or_b64 s[0:1], vcc, s[4:5]
	s_and_saveexec_b64 s[4:5], s[0:1]
	s_xor_b64 s[0:1], exec, s[4:5]
; %bb.304:
	s_movk_i32 s4, 0x210
	v_mad_u32_u24 v0, v47, s4, v1
	v_mov_b32_e32 v1, 0
	ds_write2st64_b32 v0, v1, v1 offset1:1
                                        ; implicit-def: $vgpr2
                                        ; implicit-def: $vgpr7
                                        ; implicit-def: $vgpr47
                                        ; implicit-def: $vgpr0
; %bb.305:
	s_or_saveexec_b64 s[0:1], s[0:1]
	s_ashr_i32 s13, s8, 31
	s_xor_b64 exec, exec, s[0:1]
	s_cbranch_execz .LBB29_307
; %bb.306:
	v_mul_lo_u32 v1, v2, s55
	v_mul_lo_u32 v2, v7, s74
	v_add3_u32 v2, v1, v2, v64
	v_ashrrev_i32_e32 v3, 31, v2
	v_lshl_add_u64 v[2:3], v[2:3], 3, s[6:7]
	global_load_dwordx2 v[4:5], v[2:3], off
	global_load_dwordx2 v[6:7], v[2:3], off offset:512
	v_mul_u32_u24_e32 v1, 0x210, v47
	v_lshlrev_b32_e32 v2, 2, v64
	v_add3_u32 v1, 0, v1, v2
	s_waitcnt vmcnt(1)
	v_cvt_pk_f16_f32 v2, v4, v5
	s_waitcnt vmcnt(0)
	v_cvt_pk_f16_f32 v3, v6, v7
	v_pk_mul_f16 v2, v2, v0
	v_pk_mul_f16 v0, v3, v0
	ds_write2st64_b32 v1, v2, v0 offset1:1
.LBB29_307:
	s_or_b64 exec, exec, s[0:1]
	s_mul_hi_u32 s0, s40, s8
	s_mul_i32 s1, s40, s13
	s_add_i32 s0, s0, s1
	s_mul_i32 s1, s41, s8
	s_add_i32 s0, s0, s1
	s_mul_i32 s1, s40, s8
	s_add_u32 s1, s18, s1
	s_mul_i32 s4, s9, s51
	s_addc_u32 s0, s19, s0
	s_ashr_i32 s5, s4, 31
	s_add_u32 s4, s1, s4
	s_mul_i32 s12, s12, s11
	s_addc_u32 s5, s0, s5
	s_sub_i32 s0, s3, s12
	s_sub_i32 s1, s0, s11
	s_cmp_ge_u32 s0, s11
	s_cselect_b32 s0, s1, s0
	s_sub_i32 s1, s0, s11
	s_cmp_ge_u32 s0, s11
	s_cselect_b32 s0, s1, s0
	s_xor_b32 s0, s0, s13
	s_sub_i32 s0, s0, s13
	s_ashr_i32 s1, s0, 31
	s_mul_i32 s1, s48, s1
	s_mul_hi_u32 s3, s48, s0
	s_add_i32 s1, s3, s1
	s_mul_i32 s3, s49, s0
	s_add_i32 s1, s1, s3
	s_mul_i32 s0, s48, s0
	s_add_u32 s6, s22, s0
	s_addc_u32 s7, s23, s1
	s_mul_hi_u32 s0, s46, s8
	s_mul_i32 s1, s46, s13
	s_add_i32 s0, s0, s1
	s_mul_i32 s1, s47, s8
	s_add_i32 s0, s0, s1
	s_mul_i32 s1, s46, s8
	s_add_u32 s1, s20, s1
	s_mul_i32 s9, s9, s43
	s_addc_u32 s3, s21, s0
	s_ashr_i32 s8, s9, 31
	s_add_u32 s0, s1, s9
	v_lshrrev_b32_e32 v1, 3, v64
	s_addc_u32 s1, s3, s8
	v_and_b32_e32 v43, 0x1ff0, v197
	s_movk_i32 s3, 0x210
	v_and_b32_e32 v66, 15, v64
	v_and_b32_e32 v1, 0x7e, v1
	v_mad_u32_u24 v0, v43, s3, 0
	v_mul_u32_u24_e32 v52, 0x210, v66
	v_lshlrev_b32_e32 v67, 2, v1
	v_add3_u32 v0, v0, v52, v67
	s_waitcnt lgkmcnt(0)
	s_barrier
	ds_read2_b64 v[188:191], v0 offset1:4
	ds_read2_b64 v[184:187], v0 offset0:8 offset1:12
	ds_read2_b64 v[180:183], v0 offset0:16 offset1:20
	;; [unrolled: 1-line block ×7, first 2 shown]
	v_lshrrev_b32_e32 v0, 5, v64
	v_lshl_add_u32 v42, v65, 1, v0
	v_add_u32_e32 v0, s10, v42
	v_mul_hi_u32 v1, s44, v0
	v_add_u32_e32 v1, v0, v1
	v_add_u32_e32 v75, -1, v134
	v_lshrrev_b32_e32 v1, s45, v1
	v_cmp_lt_i32_e32 vcc, s70, v75
	v_mul_lo_u32 v1, v1, s36
	v_sub_u32_e32 v44, v0, v1
	s_waitcnt lgkmcnt(0)
	s_barrier
	s_cbranch_vccnz .LBB29_312
; %bb.308:
	v_lshlrev_b32_e32 v0, 1, v64
	v_and_b32_e32 v16, 62, v0
	v_lshlrev_b32_e32 v0, 2, v64
	v_and_b32_e32 v18, 0x7c, v0
	v_mov_b32_e32 v0, 0x1080
	v_mad_u32_u24 v56, v42, s3, v0
	v_mov_b32_e32 v0, 0x2100
	v_mad_u32_u24 v58, v42, s3, v0
	;; [unrolled: 2-line block ×5, first 2 shown]
	v_mov_b32_e32 v0, 0x7380
	v_lshlrev_b32_e32 v68, 4, v65
	v_lshrrev_b32_e32 v39, 2, v64
	v_mad_u32_u24 v73, v42, s3, v0
	v_and_b32_e32 v0, 16, v68
	v_and_b32_e32 v40, 0xfc, v39
	v_mul_u32_u24_e32 v74, 0x210, v0
	v_add_u32_e32 v1, v40, v0
	v_add_u16_e32 v0, v40, v0
	v_lshrrev_b16_e32 v71, 1, v0
	v_add_u32_e32 v0, 32, v1
	v_lshrrev_b32_e32 v60, 1, v0
	v_add_u32_e32 v0, 34, v1
	v_lshrrev_b32_e32 v61, 1, v0
	v_mbcnt_lo_u32_b32 v0, -1, 0
	v_mbcnt_hi_u32_b32 v54, -1, v0
	v_mad_i64_i32 v[20:21], s[8:9], v44, s38, 0
	v_mov_b32_e32 v38, 0x4200
	v_and_or_b32 v2, v64, 12, v43
	v_and_b32_e32 v0, 64, v54
	v_mul_lo_u32 v22, s14, v42
	s_lshl_b32 s8, s14, 3
	v_mad_u32_u24 v62, v42, s3, v38
	v_lshrrev_b32_e32 v2, 2, v2
	v_add_u32_e32 v55, 64, v0
	v_mul_lo_u32 v0, s34, v42
	s_lshl_b32 s3, s34, 3
	v_add_u32_e32 v24, s8, v22
	v_mul_u32_u24_e32 v70, 0x90, v2
	v_add_u32_e32 v2, s3, v0
	v_add_u32_e32 v26, s8, v24
	;; [unrolled: 1-line block ×11, first 2 shown]
	v_mov_b32_e32 v17, 0
	s_ashr_i32 s15, s14, 31
	v_add_u32_e32 v36, s8, v34
	s_ashr_i32 s35, s34, 31
	v_add_u32_e32 v14, s3, v12
	v_and_b32_e32 v41, 8, v197
	v_or_b32_e32 v39, 3, v39
	s_movk_i32 s3, 0x420
	v_mul_u32_u24_e32 v53, 0x210, v42
	v_mov_b32_e32 v19, v17
	v_ashrrev_i32_e32 v23, 31, v22
	v_ashrrev_i32_e32 v25, 31, v24
	;; [unrolled: 1-line block ×8, first 2 shown]
	v_xor_b32_e32 v63, 32, v54
	v_xor_b32_e32 v57, 16, v54
	v_ashrrev_i32_e32 v1, 31, v0
	v_ashrrev_i32_e32 v3, 31, v2
	v_ashrrev_i32_e32 v5, 31, v4
	v_ashrrev_i32_e32 v7, 31, v6
	v_ashrrev_i32_e32 v9, 31, v8
	v_ashrrev_i32_e32 v11, 31, v10
	v_ashrrev_i32_e32 v13, 31, v12
	v_ashrrev_i32_e32 v15, 31, v14
	v_mul_u32_u24_e32 v48, 0x210, v40
	v_mul_u32_u24_e32 v49, 0x210, v39
	;; [unrolled: 1-line block ×3, first 2 shown]
	v_mad_u32_u24 v50, v41, s3, v38
	v_mov_b64_e32 v[38:39], s[34:35]
	v_mov_b64_e32 v[40:41], s[14:15]
	v_mul_u32_u24_e32 v76, 0x90, v42
	v_lshlrev_b32_e32 v46, 1, v66
	s_cbranch_execz .LBB29_313
; %bb.309:
	v_mov_b32_e32 v77, 0xfeffffff
	v_mov_b32_e32 v78, 0
	;; [unrolled: 1-line block ×34, first 2 shown]
	s_branch .LBB29_316
.LBB29_310:
                                        ; implicit-def: $sgpr54_sgpr55
	s_load_dwordx2 s[52:53], s[0:1], 0x74
	v_cvt_f32_u32_e32 v1, s33
	s_branch .LBB29_2
.LBB29_311:
                                        ; implicit-def: $sgpr6_sgpr7
	s_load_dwordx2 s[44:45], s[0:1], 0x5c
	v_mov_b64_e32 v[6:7], s[6:7]
	s_branch .LBB29_5
.LBB29_312:
                                        ; implicit-def: $vgpr16
                                        ; implicit-def: $vgpr20_vgpr21
                                        ; implicit-def: $vgpr40_vgpr41
                                        ; implicit-def: $vgpr53
                                        ; implicit-def: $vgpr18
                                        ; implicit-def: $vgpr22_vgpr23
                                        ; implicit-def: $vgpr56
                                        ; implicit-def: $vgpr24_vgpr25
                                        ; implicit-def: $vgpr58
                                        ; implicit-def: $vgpr26_vgpr27
                                        ; implicit-def: $vgpr59
                                        ; implicit-def: $vgpr28_vgpr29
                                        ; implicit-def: $vgpr62
                                        ; implicit-def: $vgpr30_vgpr31
                                        ; implicit-def: $vgpr69
                                        ; implicit-def: $vgpr32_vgpr33
                                        ; implicit-def: $vgpr72
                                        ; implicit-def: $vgpr34_vgpr35
                                        ; implicit-def: $vgpr73
                                        ; implicit-def: $vgpr36_vgpr37
                                        ; implicit-def: $vgpr68
                                        ; implicit-def: $vgpr74
                                        ; implicit-def: $vgpr70
                                        ; implicit-def: $vgpr71
                                        ; implicit-def: $vgpr60
                                        ; implicit-def: $vgpr61
                                        ; implicit-def: $vgpr54
                                        ; implicit-def: $vgpr55
                                        ; implicit-def: $vgpr63
                                        ; implicit-def: $vgpr57
                                        ; implicit-def: $vgpr38_vgpr39
                                        ; implicit-def: $vgpr0_vgpr1
                                        ; implicit-def: $vgpr2_vgpr3
                                        ; implicit-def: $vgpr4_vgpr5
                                        ; implicit-def: $vgpr6_vgpr7
                                        ; implicit-def: $vgpr8_vgpr9
                                        ; implicit-def: $vgpr10_vgpr11
                                        ; implicit-def: $vgpr12_vgpr13
                                        ; implicit-def: $vgpr14_vgpr15
                                        ; implicit-def: $vgpr48
                                        ; implicit-def: $vgpr49
                                        ; implicit-def: $vgpr51
                                        ; implicit-def: $vgpr50
	v_mul_u32_u24_e32 v76, 0x90, v42
	v_lshlrev_b32_e32 v46, 1, v66
.LBB29_313:
	v_lshlrev_b32_e32 v0, 1, v64
	v_and_b32_e32 v16, 62, v0
	v_mad_i64_i32 v[20:21], s[8:9], v44, s38, 0
	v_mov_b32_e32 v39, 0
	v_lshlrev_b32_e32 v38, 1, v16
	v_lshl_add_u64 v[0:1], v[20:21], 1, s[6:7]
	v_lshl_add_u64 v[40:41], v[0:1], 0, v[38:39]
	v_lshlrev_b32_e32 v1, 2, v64
	v_and_b32_e32 v18, 0x7c, v1
	v_add_u32_e32 v2, 0, v76
	v_mul_u32_u24_e32 v0, 0x180, v42
	v_lshlrev_b32_e32 v1, 2, v18
	s_movk_i32 s3, 0x210
	v_add3_u32 v80, v2, v0, v1
	v_mov_b32_e32 v0, 0x1080
	v_mad_u32_u24 v56, v42, s3, v0
	v_mov_b32_e32 v0, 0x2100
	v_mad_u32_u24 v58, v42, s3, v0
	;; [unrolled: 2-line block ×5, first 2 shown]
	v_mov_b32_e32 v0, 0x7380
	v_lshlrev_b32_e32 v68, 4, v65
	v_lshrrev_b32_e32 v45, 2, v64
	v_add_u32_e32 v79, v2, v38
	v_mov_b32_e32 v38, 0x4200
	v_mad_u32_u24 v73, v42, s3, v0
	v_and_b32_e32 v0, 16, v68
	v_and_b32_e32 v47, 0xfc, v45
	v_and_or_b32 v2, v64, 12, v43
	v_mad_u32_u24 v62, v42, s3, v38
	v_mul_u32_u24_e32 v74, 0x210, v0
	v_add_u32_e32 v1, v47, v0
	v_lshrrev_b32_e32 v2, 2, v2
	s_movk_i32 s3, 0x90
	v_add_u16_e32 v0, v47, v0
	v_mul_u32_u24_e32 v70, 0x90, v2
	v_mad_u32_u24 v2, v2, s3, 0
	v_lshrrev_b16_e32 v71, 1, v0
	v_add_u32_e32 v0, 32, v1
	v_lshrrev_b32_e32 v60, 1, v0
	v_lshl_add_u32 v88, v0, 1, v2
	v_add_u32_e32 v0, 34, v1
	v_lshrrev_b32_e32 v61, 1, v0
	v_lshl_add_u32 v89, v0, 1, v2
	v_mbcnt_lo_u32_b32 v0, -1, 0
	v_mbcnt_hi_u32_b32 v54, -1, v0
	v_and_b32_e32 v0, 64, v54
	v_add_u32_e32 v55, 64, v0
	v_xor_b32_e32 v63, 32, v54
	v_cmp_lt_i32_e32 vcc, v63, v55
	v_xor_b32_e32 v57, 16, v54
	s_lshl_b32 s3, s34, 3
	v_cndmask_b32_e32 v0, v54, v63, vcc
	v_cmp_lt_i32_e32 vcc, v57, v55
	v_lshlrev_b32_e32 v90, 2, v0
	v_mul_lo_u32 v22, s14, v42
	v_cndmask_b32_e32 v0, v54, v57, vcc
	v_lshlrev_b32_e32 v91, 2, v0
	v_mul_lo_u32 v0, s34, v42
	s_lshl_b32 s8, s14, 3
	v_lshl_add_u32 v43, v71, 2, v2
	v_add_u32_e32 v2, s3, v0
	v_add_u32_e32 v24, s8, v22
	;; [unrolled: 1-line block ×11, first 2 shown]
	v_mul_u32_u24_e32 v53, 0x210, v42
	v_add_u32_e32 v34, s8, v32
	v_add_u32_e32 v14, s3, v12
	v_and_b32_e32 v42, 8, v197
	v_or_b32_e32 v45, 3, v45
	s_movk_i32 s3, 0x420
	v_add_u32_e32 v36, s8, v34
	v_add3_u32 v44, 0, v52, v67
	v_mul_u32_u24_e32 v48, 0x210, v47
	v_mul_u32_u24_e32 v49, 0x210, v45
	v_mad_u32_u24 v45, v42, s3, 0
	v_mov_b32_e32 v17, v39
	s_ashr_i32 s15, s14, 31
	v_mov_b32_e32 v19, v39
	v_ashrrev_i32_e32 v23, 31, v22
	v_add_u32_e32 v81, 0x1080, v80
	v_ashrrev_i32_e32 v25, 31, v24
	v_add_u32_e32 v82, 0x2100, v80
	v_ashrrev_i32_e32 v27, 31, v26
	v_add_u32_e32 v83, 0x3180, v80
	v_ashrrev_i32_e32 v29, 31, v28
	v_add_u32_e32 v84, 0x4200, v80
	v_ashrrev_i32_e32 v31, 31, v30
	v_add_u32_e32 v85, 0x5280, v80
	v_ashrrev_i32_e32 v33, 31, v32
	v_add_u32_e32 v86, 0x6300, v80
	v_ashrrev_i32_e32 v35, 31, v34
	v_add_u32_e32 v87, 0x7380, v80
	v_ashrrev_i32_e32 v37, 31, v36
	s_ashr_i32 s35, s34, 31
	v_ashrrev_i32_e32 v1, 31, v0
	v_ashrrev_i32_e32 v3, 31, v2
	;; [unrolled: 1-line block ×8, first 2 shown]
	v_mul_u32_u24_e32 v51, 0x420, v42
	v_add3_u32 v92, v45, v48, v46
	v_add3_u32 v93, v45, v49, v46
	v_mad_u32_u24 v50, v42, s3, v38
	s_lshl_b32 s8, s70, 6
	v_mov_b32_e32 v77, 0xfeffffff
	v_lshlrev_b32_e32 v38, 2, v18
	v_add_u32_e32 v94, v44, v74
	v_add_u32_e32 v95, 0x8400, v43
	s_mov_b32 s3, 0x3fb8aa3b
	s_mov_b32 s10, 0xc2ce8ed0
	;; [unrolled: 1-line block ×5, first 2 shown]
	v_mov_b32_e32 v96, 0x7f800000
	v_mov_b32_e32 v78, v39
	;; [unrolled: 1-line block ×34, first 2 shown]
.LBB29_314:                             ; =>This Inner Loop Header: Depth=1
	s_mul_hi_i32 s17, s8, s14
	s_mul_i32 s16, s8, s14
	s_ashr_i32 s9, s8, 31
	s_lshl_b64 s[16:17], s[16:17], 2
	s_add_u32 s16, s4, s16
	s_addc_u32 s17, s5, s17
	v_lshl_add_u64 v[128:129], v[24:25], 2, s[16:17]
	v_lshl_add_u64 v[130:131], v[128:129], 0, v[38:39]
	;; [unrolled: 1-line block ×10, first 2 shown]
	global_load_dword v47, v[126:127], off
	v_lshl_add_u64 v[126:127], v[22:23], 2, s[16:17]
	v_lshl_add_u64 v[142:143], v[128:129], 0, v[38:39]
	;; [unrolled: 1-line block ×7, first 2 shown]
	global_load_dwordx4 v[126:129], v[126:127], off
	v_mov_b32_e32 v134, v77
	v_mov_b32_e32 v133, v78
	s_mul_hi_i32 s17, s8, s34
	s_mul_i32 s16, s8, s34
	s_lshl_b64 s[16:17], s[16:17], 2
	s_add_u32 s16, s0, s16
	s_addc_u32 s17, s1, s17
	s_add_i32 s70, s70, 1
	s_add_i32 s8, s8, 64
	s_waitcnt vmcnt(1)
	ds_write_b32 v79, v47 offset:33792
	v_add_u32_e32 v47, 0x4000, v94
	s_waitcnt vmcnt(0)
	ds_write_b128 v80, v[126:129]
	global_load_dwordx4 v[126:129], v[130:131], off
	s_waitcnt vmcnt(0)
	ds_write_b128 v81, v[126:129]
	global_load_dwordx4 v[126:129], v[136:137], off
	;; [unrolled: 3-line block ×7, first 2 shown]
	s_waitcnt vmcnt(0)
	ds_write_b128 v87, v[126:129]
	s_waitcnt lgkmcnt(0)
	s_barrier
	ds_read2_b64 v[126:129], v94 offset1:4
	s_waitcnt lgkmcnt(0)
	v_mfma_f32_16x16x16_f16 a[0:3], v[126:127], v[188:189], 0
	v_mfma_f32_16x16x16_f16 a[0:3], v[128:129], v[190:191], a[0:3]
	ds_read2_b64 v[126:129], v94 offset0:8 offset1:12
	s_waitcnt lgkmcnt(0)
	v_mfma_f32_16x16x16_f16 a[0:3], v[126:127], v[184:185], a[0:3]
	v_mfma_f32_16x16x16_f16 a[0:3], v[128:129], v[186:187], a[0:3]
	ds_read2_b64 v[126:129], v94 offset0:16 offset1:20
	;; [unrolled: 4-line block ×8, first 2 shown]
	s_waitcnt lgkmcnt(0)
	v_mfma_f32_16x16x16_f16 a[4:7], v[126:127], v[188:189], 0
	s_nop 4
	v_accvgpr_read_b32 v78, a0
	v_mfma_f32_16x16x16_f16 a[4:7], v[128:129], v[190:191], a[4:7]
	ds_read2_b64 v[126:129], v47 offset0:72 offset1:76
	s_waitcnt lgkmcnt(0)
	v_mfma_f32_16x16x16_f16 a[4:7], v[126:127], v[184:185], a[4:7]
	v_mfma_f32_16x16x16_f16 a[4:7], v[128:129], v[186:187], a[4:7]
	ds_read2_b64 v[126:129], v47 offset0:80 offset1:84
	s_waitcnt lgkmcnt(0)
	v_mfma_f32_16x16x16_f16 a[4:7], v[126:127], v[180:181], a[4:7]
	;; [unrolled: 4-line block ×6, first 2 shown]
	v_mfma_f32_16x16x16_f16 a[4:7], v[128:129], v[166:167], a[4:7]
	ds_read2_b64 v[126:129], v47 offset0:120 offset1:124
	s_waitcnt lgkmcnt(0)
	s_barrier
	v_mfma_f32_16x16x16_f16 a[4:7], v[126:127], v[160:161], a[4:7]
	ds_read2_b32 v[126:127], v95 offset1:1
	s_waitcnt lgkmcnt(0)
	v_cvt_f32_f16_e32 v47, v126
	v_cvt_f32_f16_sdwa v77, v126 dst_sel:DWORD dst_unused:UNUSED_PAD src0_sel:WORD_1
	v_cvt_f32_f16_sdwa v125, v127 dst_sel:DWORD dst_unused:UNUSED_PAD src0_sel:WORD_1
	v_accvgpr_read_b32 v126, a2
	v_add_f32_e32 v47, v78, v47
	v_accvgpr_read_b32 v78, a1
	v_add_f32_e32 v78, v78, v77
	v_cvt_f32_f16_e32 v77, v127
	v_mfma_f32_16x16x16_f16 a[4:7], v[128:129], v[162:163], a[4:7]
	v_add_f32_e32 v127, v126, v77
	v_accvgpr_read_b32 v77, a3
	v_add_f32_e32 v128, v77, v125
	ds_read_b32 v77, v88 offset:33792
	s_waitcnt lgkmcnt(0)
	v_cvt_f32_f16_e32 v125, v77
	v_cvt_f32_f16_sdwa v77, v77 dst_sel:DWORD dst_unused:UNUSED_PAD src0_sel:WORD_1
	s_nop 0
	v_accvgpr_read_b32 v126, a4
	v_add_f32_e32 v130, v126, v125
	v_accvgpr_read_b32 v125, a5
	v_add_f32_e32 v131, v125, v77
	ds_read_b32 v77, v89 offset:33792
	v_accvgpr_read_b32 v126, a6
	s_waitcnt lgkmcnt(0)
	v_cvt_f32_f16_e32 v125, v77
	v_cvt_f32_f16_sdwa v77, v77 dst_sel:DWORD dst_unused:UNUSED_PAD src0_sel:WORD_1
	v_add_f32_e32 v132, v126, v125
	v_accvgpr_read_b32 v125, a7
	v_add_f32_e32 v135, v125, v77
	v_add_f32_e32 v77, 0x40051340, v47
	;; [unrolled: 1-line block ×3, first 2 shown]
	v_max3_f32 v77, v134, v77, v125
	v_add_f32_e32 v125, 0x40051340, v127
	v_add_f32_e32 v126, 0x40051340, v128
	v_max3_f32 v77, v77, v125, v126
	v_add_f32_e32 v125, 0x40051340, v130
	v_add_f32_e32 v126, 0x40051340, v131
	;; [unrolled: 3-line block ×3, first 2 shown]
	v_max3_f32 v77, v77, v125, v126
	ds_bpermute_b32 v125, v90, v77
	s_waitcnt lgkmcnt(0)
	v_max_f32_e32 v125, v125, v125
	v_max_f32_e32 v77, v77, v125
	ds_bpermute_b32 v125, v91, v77
	s_waitcnt lgkmcnt(0)
	v_max_f32_e32 v125, v125, v125
	v_max_f32_e32 v77, v77, v125
	v_sub_f32_e32 v47, v47, v77
	v_mul_f32_e32 v125, 0x3fb8aa3b, v47
	v_fma_f32 v126, v47, s3, -v125
	v_rndne_f32_e32 v129, v125
	v_fmac_f32_e32 v126, 0x32a5705f, v47
	v_sub_f32_e32 v125, v125, v129
	v_add_f32_e32 v125, v125, v126
	v_exp_f32_e32 v125, v125
	v_cvt_i32_f32_e32 v126, v129
	v_cmp_ngt_f32_e32 vcc, s10, v47
	v_ldexp_f32 v125, v125, v126
	s_nop 0
	v_cndmask_b32_e32 v125, 0, v125, vcc
	v_cmp_nlt_f32_e32 vcc, s11, v47
	v_sub_f32_e32 v47, v78, v77
	v_mul_f32_e32 v78, 0x3fb8aa3b, v47
	v_fma_f32 v126, v47, s3, -v78
	v_rndne_f32_e32 v129, v78
	v_fmac_f32_e32 v126, 0x32a5705f, v47
	v_sub_f32_e32 v78, v78, v129
	v_add_f32_e32 v78, v78, v126
	v_exp_f32_e32 v78, v78
	v_cvt_i32_f32_e32 v126, v129
	v_cndmask_b32_e32 v125, v96, v125, vcc
	v_cmp_ngt_f32_e32 vcc, s10, v47
	v_ldexp_f32 v78, v78, v126
	s_nop 0
	v_cndmask_b32_e32 v78, 0, v78, vcc
	v_cmp_nlt_f32_e32 vcc, s11, v47
	s_nop 1
	v_cndmask_b32_e32 v126, v96, v78, vcc
	v_sub_f32_e32 v78, v127, v77
	v_mul_f32_e32 v127, 0x3fb8aa3b, v78
	v_fma_f32 v129, v78, s3, -v127
	v_rndne_f32_e32 v136, v127
	v_fmac_f32_e32 v129, 0x32a5705f, v78
	v_sub_f32_e32 v127, v127, v136
	v_add_f32_e32 v127, v127, v129
	v_exp_f32_e32 v127, v127
	v_cvt_i32_f32_e32 v129, v136
	v_cmp_ngt_f32_e32 vcc, s10, v78
	v_add_f32_e32 v47, v125, v126
	v_ldexp_f32 v127, v127, v129
	v_cndmask_b32_e32 v127, 0, v127, vcc
	v_cmp_nlt_f32_e32 vcc, s11, v78
	v_sub_f32_e32 v78, v128, v77
	v_mul_f32_e32 v128, 0x3fb8aa3b, v78
	v_fma_f32 v129, v78, s3, -v128
	v_rndne_f32_e32 v136, v128
	v_fmac_f32_e32 v129, 0x32a5705f, v78
	v_sub_f32_e32 v128, v128, v136
	v_add_f32_e32 v128, v128, v129
	v_exp_f32_e32 v128, v128
	v_cvt_i32_f32_e32 v129, v136
	v_cndmask_b32_e32 v127, v96, v127, vcc
	v_cmp_ngt_f32_e32 vcc, s10, v78
	v_add_f32_e32 v47, v127, v47
	v_ldexp_f32 v128, v128, v129
	v_cndmask_b32_e32 v128, 0, v128, vcc
	v_cmp_nlt_f32_e32 vcc, s11, v78
	v_sub_f32_e32 v78, v130, v77
	s_nop 0
	v_cndmask_b32_e32 v129, v96, v128, vcc
	v_mul_f32_e32 v128, 0x3fb8aa3b, v78
	v_fma_f32 v130, v78, s3, -v128
	v_rndne_f32_e32 v136, v128
	v_fmac_f32_e32 v130, 0x32a5705f, v78
	v_sub_f32_e32 v128, v128, v136
	v_add_f32_e32 v128, v128, v130
	v_exp_f32_e32 v128, v128
	v_cvt_i32_f32_e32 v130, v136
	v_cmp_ngt_f32_e32 vcc, s10, v78
	v_add_f32_e32 v47, v129, v47
	v_ldexp_f32 v128, v128, v130
	v_cndmask_b32_e32 v128, 0, v128, vcc
	v_cmp_nlt_f32_e32 vcc, s11, v78
	v_sub_f32_e32 v78, v131, v77
	v_mul_f32_e32 v130, 0x3fb8aa3b, v78
	v_fma_f32 v131, v78, s3, -v130
	v_rndne_f32_e32 v136, v130
	v_fmac_f32_e32 v131, 0x32a5705f, v78
	v_sub_f32_e32 v130, v130, v136
	v_add_f32_e32 v130, v130, v131
	v_exp_f32_e32 v130, v130
	v_cvt_i32_f32_e32 v131, v136
	v_cndmask_b32_e32 v128, v96, v128, vcc
	v_cmp_ngt_f32_e32 vcc, s10, v78
	v_add_f32_e32 v47, v128, v47
	v_ldexp_f32 v130, v130, v131
	v_cndmask_b32_e32 v130, 0, v130, vcc
	v_cmp_nlt_f32_e32 vcc, s11, v78
	v_sub_f32_e32 v78, v132, v77
	v_mul_f32_e32 v131, 0x3fb8aa3b, v78
	v_fma_f32 v132, v78, s3, -v131
	v_rndne_f32_e32 v136, v131
	v_fmac_f32_e32 v132, 0x32a5705f, v78
	v_sub_f32_e32 v131, v131, v136
	v_add_f32_e32 v131, v131, v132
	v_exp_f32_e32 v131, v131
	v_cvt_i32_f32_e32 v132, v136
	v_cndmask_b32_e32 v130, v96, v130, vcc
	;; [unrolled: 15-line block ×3, first 2 shown]
	v_cmp_ngt_f32_e32 vcc, s10, v78
	v_add_f32_e32 v47, v131, v47
	v_ldexp_f32 v132, v132, v135
	v_cndmask_b32_e32 v132, 0, v132, vcc
	v_cmp_nlt_f32_e32 vcc, s11, v78
	s_nop 1
	v_cndmask_b32_e32 v132, v96, v132, vcc
	v_add_f32_e32 v78, v132, v47
	v_sub_f32_e32 v47, v134, v77
	v_mul_f32_e32 v134, 0x3fb8aa3b, v47
	v_fma_f32 v135, v47, s3, -v134
	v_rndne_f32_e32 v136, v134
	v_fmac_f32_e32 v135, 0x32a5705f, v47
	v_sub_f32_e32 v134, v134, v136
	v_add_f32_e32 v134, v134, v135
	v_exp_f32_e32 v134, v134
	v_cvt_i32_f32_e32 v135, v136
	v_cmp_ngt_f32_e32 vcc, s10, v47
	v_ldexp_f32 v134, v134, v135
	s_nop 0
	v_cndmask_b32_e32 v134, 0, v134, vcc
	v_cmp_nlt_f32_e32 vcc, s11, v47
	s_nop 1
	v_cndmask_b32_e32 v134, v96, v134, vcc
	v_cmp_le_f32_e32 vcc, s12, v47
	s_nop 1
	v_cndmask_b32_e32 v47, 0, v134, vcc
	v_fmac_f32_e32 v78, v133, v47
	v_cvt_f16_f32_e32 v47, v47
	v_cmp_lt_i32_e32 vcc, s70, v75
	s_and_b64 vcc, exec, vcc
	v_mul_u32_u24_e32 v47, 0x10001, v47
	v_pk_mul_f16 v154, v45, v47
	v_pk_mul_f16 v153, v44, v47
	v_lshl_add_u64 v[44:45], v[2:3], 2, s[16:17]
	v_lshl_add_u64 v[134:135], v[44:45], 0, v[38:39]
	;; [unrolled: 1-line block ×9, first 2 shown]
	v_pk_mul_f16 v158, v43, v47
	v_pk_mul_f16 v157, v42, v47
	v_lshl_add_u64 v[42:43], v[0:1], 2, s[16:17]
	v_lshl_add_u64 v[142:143], v[44:45], 0, v[38:39]
	;; [unrolled: 1-line block ×7, first 2 shown]
	global_load_dwordx4 v[42:45], v[42:43], off
	v_pk_mul_f16 v124, v124, v47
	v_pk_mul_f16 v123, v123, v47
	;; [unrolled: 1-line block ×28, first 2 shown]
	v_cvt_f32_f16_e32 v47, v124
	v_cvt_f32_f16_sdwa v124, v124 dst_sel:DWORD dst_unused:UNUSED_PAD src0_sel:WORD_1
	v_cvt_f32_f16_e32 v133, v123
	v_cvt_f32_f16_sdwa v123, v123 dst_sel:DWORD dst_unused:UNUSED_PAD src0_sel:WORD_1
	v_accvgpr_write_b32 a0, v47
	v_accvgpr_write_b32 a1, v124
	;; [unrolled: 1-line block ×4, first 2 shown]
	v_cvt_f32_f16_e32 v148, v104
	v_cvt_f32_f16_sdwa v104, v104 dst_sel:DWORD dst_unused:UNUSED_PAD src0_sel:WORD_1
	v_cvt_f32_f16_e32 v149, v103
	v_cvt_f32_f16_sdwa v103, v103 dst_sel:DWORD dst_unused:UNUSED_PAD src0_sel:WORD_1
	v_cvt_f32_f16_e32 v150, v102
	v_cvt_f32_f16_sdwa v102, v102 dst_sel:DWORD dst_unused:UNUSED_PAD src0_sel:WORD_1
	v_cvt_f32_f16_e32 v151, v101
	v_cvt_f32_f16_sdwa v101, v101 dst_sel:DWORD dst_unused:UNUSED_PAD src0_sel:WORD_1
	v_cvt_f32_f16_e32 v152, v100
	v_cvt_f32_f16_sdwa v100, v100 dst_sel:DWORD dst_unused:UNUSED_PAD src0_sel:WORD_1
	v_cvt_f32_f16_e32 v155, v99
	v_cvt_f32_f16_sdwa v99, v99 dst_sel:DWORD dst_unused:UNUSED_PAD src0_sel:WORD_1
	v_cvt_f32_f16_e32 v156, v98
	v_cvt_f32_f16_sdwa v98, v98 dst_sel:DWORD dst_unused:UNUSED_PAD src0_sel:WORD_1
	v_cvt_f32_f16_e32 v159, v97
	v_cvt_f32_f16_sdwa v97, v97 dst_sel:DWORD dst_unused:UNUSED_PAD src0_sel:WORD_1
	v_cvt_f32_f16_e32 v194, v153
	v_cvt_f32_f16_sdwa v153, v153 dst_sel:DWORD dst_unused:UNUSED_PAD src0_sel:WORD_1
	v_cvt_f32_f16_e32 v196, v157
	v_cvt_f32_f16_sdwa v157, v157 dst_sel:DWORD dst_unused:UNUSED_PAD src0_sel:WORD_1
	s_waitcnt vmcnt(0)
	ds_write_b128 v80, v[42:45]
	global_load_dwordx4 v[42:45], v[134:135], off
	s_waitcnt vmcnt(0)
	ds_write_b128 v81, v[42:45]
	global_load_dwordx4 v[42:45], v[136:137], off
	v_cvt_f32_f16_e32 v136, v116
	v_cvt_f32_f16_sdwa v116, v116 dst_sel:DWORD dst_unused:UNUSED_PAD src0_sel:WORD_1
	v_cvt_f32_f16_e32 v137, v115
	v_cvt_f32_f16_sdwa v115, v115 dst_sel:DWORD dst_unused:UNUSED_PAD src0_sel:WORD_1
	s_waitcnt vmcnt(0)
	ds_write_b128 v82, v[42:45]
	global_load_dwordx4 v[42:45], v[138:139], off
	v_cvt_f32_f16_e32 v138, v114
	v_cvt_f32_f16_sdwa v114, v114 dst_sel:DWORD dst_unused:UNUSED_PAD src0_sel:WORD_1
	v_cvt_f32_f16_e32 v139, v113
	v_cvt_f32_f16_sdwa v113, v113 dst_sel:DWORD dst_unused:UNUSED_PAD src0_sel:WORD_1
	;; [unrolled: 7-line block ×6, first 2 shown]
	s_waitcnt vmcnt(0)
	ds_write_b128 v87, v[42:45]
	s_waitcnt lgkmcnt(0)
	s_barrier
	ds_read_u16 v42, v92 offset:528
	ds_read_u16 v43, v92 offset:1056
	ds_read_u16 v44, v93
	ds_read_u16 v134, v93 offset:32
	s_waitcnt lgkmcnt(1)
	v_perm_b32 v45, v44, v43, s13
	ds_read_u16 v43, v92
	ds_read_u16 v135, v92 offset:32
	s_waitcnt lgkmcnt(1)
	v_perm_b32 v44, v42, v43, s13
	v_cvt_pk_f16_f32 v43, v127, v129
	v_cvt_pk_f16_f32 v42, v125, v126
	ds_read_u16 v124, v92 offset:16896
	ds_read_u16 v126, v92 offset:17424
	;; [unrolled: 1-line block ×4, first 2 shown]
	v_mfma_f32_16x16x16_f16 a[0:3], v[44:45], v[42:43], a[0:3]
	s_waitcnt lgkmcnt(2)
	v_perm_b32 v124, v126, v124, s13
	s_waitcnt lgkmcnt(0)
	v_perm_b32 v125, v127, v125, s13
	s_nop 3
	v_accvgpr_read_b32 v47, a2
	v_cvt_f16_f32_e32 v47, v47
	v_accvgpr_read_b32 v44, a0
	v_accvgpr_read_b32 v45, a1
	;; [unrolled: 1-line block ×3, first 2 shown]
	v_cvt_f16_f32_e32 v44, v44
	v_cvt_f16_f32_e32 v45, v45
	;; [unrolled: 1-line block ×3, first 2 shown]
	v_cvt_f32_f16_e32 v47, v47
	v_cvt_f32_f16_e32 v129, v44
	;; [unrolled: 1-line block ×4, first 2 shown]
	v_accvgpr_write_b32 a2, v47
	ds_read_u16 v47, v92 offset:560
	ds_read_u16 v127, v92 offset:1088
	v_cvt_pk_f16_f32 v45, v131, v132
	v_cvt_pk_f16_f32 v44, v128, v130
	v_accvgpr_write_b32 a0, v129
	v_accvgpr_write_b32 a1, v133
	;; [unrolled: 1-line block ×3, first 2 shown]
	v_cvt_f32_f16_e32 v130, v122
	v_cvt_f32_f16_sdwa v122, v122 dst_sel:DWORD dst_unused:UNUSED_PAD src0_sel:WORD_1
	v_mfma_f32_16x16x16_f16 a[0:3], v[124:125], v[44:45], a[0:3]
	v_cvt_f32_f16_e32 v131, v121
	v_cvt_f32_f16_sdwa v121, v121 dst_sel:DWORD dst_unused:UNUSED_PAD src0_sel:WORD_1
	s_waitcnt lgkmcnt(0)
	v_perm_b32 v129, v134, v127, s13
	v_perm_b32 v128, v47, v135, s13
	v_cvt_f32_f16_e32 v132, v120
	v_cvt_f32_f16_sdwa v120, v120 dst_sel:DWORD dst_unused:UNUSED_PAD src0_sel:WORD_1
	v_cvt_f32_f16_e32 v133, v119
	v_cvt_f32_f16_sdwa v119, v119 dst_sel:DWORD dst_unused:UNUSED_PAD src0_sel:WORD_1
	v_accvgpr_read_b32 v123, a0
	v_accvgpr_read_b32 v124, a1
	;; [unrolled: 1-line block ×4, first 2 shown]
	v_accvgpr_write_b32 a0, v130
	v_accvgpr_write_b32 a1, v122
	v_accvgpr_write_b32 a2, v131
	v_accvgpr_write_b32 a3, v121
	v_cvt_f32_f16_e32 v134, v118
	v_cvt_f32_f16_sdwa v118, v118 dst_sel:DWORD dst_unused:UNUSED_PAD src0_sel:WORD_1
	v_mfma_f32_16x16x16_f16 a[0:3], v[128:129], v[42:43], a[0:3]
	ds_read_u16 v128, v92 offset:16928
	ds_read_u16 v130, v92 offset:17456
	;; [unrolled: 1-line block ×4, first 2 shown]
	v_cvt_f32_f16_e32 v135, v117
	v_cvt_f32_f16_sdwa v117, v117 dst_sel:DWORD dst_unused:UNUSED_PAD src0_sel:WORD_1
	s_waitcnt lgkmcnt(2)
	v_perm_b32 v128, v130, v128, s13
	v_cvt_pk_f16_f32 v124, v123, v124
	v_accvgpr_read_b32 v47, a0
	v_accvgpr_read_b32 v121, a1
	;; [unrolled: 1-line block ×4, first 2 shown]
	v_cvt_f16_f32_e32 v47, v47
	v_cvt_f16_f32_e32 v121, v121
	;; [unrolled: 1-line block ×4, first 2 shown]
	v_cvt_f32_f16_e32 v47, v47
	v_cvt_f32_f16_e32 v121, v121
	;; [unrolled: 1-line block ×4, first 2 shown]
	s_waitcnt lgkmcnt(0)
	v_perm_b32 v129, v131, v129, s13
	v_accvgpr_write_b32 a0, v47
	v_accvgpr_write_b32 a1, v121
	;; [unrolled: 1-line block ×4, first 2 shown]
	v_cvt_pk_f16_f32 v123, v125, v126
	s_nop 0
	v_mfma_f32_16x16x16_f16 a[0:3], v[128:129], v[44:45], a[0:3]
	ds_read_u16 v47, v92 offset:64
	ds_read_u16 v129, v92 offset:592
	ds_read_u16 v130, v92 offset:1120
	ds_read_u16 v131, v93 offset:64
	s_waitcnt lgkmcnt(0)
	v_perm_b32 v131, v131, v130, s13
	v_perm_b32 v130, v129, v47, s13
	s_nop 0
	v_accvgpr_read_b32 v121, a0
	v_accvgpr_read_b32 v122, a1
	v_accvgpr_read_b32 v127, a2
	v_accvgpr_read_b32 v128, a3
	v_accvgpr_write_b32 a0, v132
	v_accvgpr_write_b32 a1, v120
	v_accvgpr_write_b32 a2, v133
	v_accvgpr_write_b32 a3, v119
	v_cvt_pk_f16_f32 v122, v121, v122
	v_cvt_pk_f16_f32 v121, v127, v128
	v_mfma_f32_16x16x16_f16 a[0:3], v[130:131], v[42:43], a[0:3]
	ds_read_u16 v130, v92 offset:16960
	ds_read_u16 v132, v92 offset:17488
	ds_read_u16 v131, v92 offset:18016
	ds_read_u16 v133, v93 offset:16960
	s_waitcnt lgkmcnt(2)
	v_perm_b32 v130, v132, v130, s13
	s_waitcnt lgkmcnt(0)
	v_perm_b32 v131, v133, v131, s13
	v_accvgpr_read_b32 v47, a0
	v_accvgpr_read_b32 v119, a1
	v_accvgpr_read_b32 v120, a2
	v_accvgpr_read_b32 v129, a3
	v_cvt_f16_f32_e32 v47, v47
	v_cvt_f16_f32_e32 v119, v119
	v_cvt_f16_f32_e32 v120, v120
	v_cvt_f16_f32_e32 v129, v129
	v_cvt_f32_f16_e32 v47, v47
	v_cvt_f32_f16_e32 v119, v119
	v_cvt_f32_f16_e32 v120, v120
	v_cvt_f32_f16_e32 v129, v129
	v_accvgpr_write_b32 a0, v47
	v_accvgpr_write_b32 a1, v119
	v_accvgpr_write_b32 a2, v120
	v_accvgpr_write_b32 a3, v129
	s_nop 1
	v_mfma_f32_16x16x16_f16 a[0:3], v[130:131], v[44:45], a[0:3]
	ds_read_u16 v47, v92 offset:96
	ds_read_u16 v131, v92 offset:624
	ds_read_u16 v132, v92 offset:1152
	ds_read_u16 v133, v93 offset:96
	s_waitcnt lgkmcnt(0)
	v_perm_b32 v133, v133, v132, s13
	v_perm_b32 v132, v131, v47, s13
	s_nop 0
	v_accvgpr_read_b32 v119, a0
	v_accvgpr_read_b32 v120, a1
	v_accvgpr_read_b32 v129, a2
	v_accvgpr_read_b32 v130, a3
	v_accvgpr_write_b32 a0, v134
	v_accvgpr_write_b32 a1, v118
	v_accvgpr_write_b32 a2, v135
	v_accvgpr_write_b32 a3, v117
	v_cvt_pk_f16_f32 v120, v119, v120
	v_cvt_pk_f16_f32 v119, v129, v130
	v_mfma_f32_16x16x16_f16 a[0:3], v[132:133], v[42:43], a[0:3]
	ds_read_u16 v132, v92 offset:16992
	ds_read_u16 v134, v92 offset:17520
	ds_read_u16 v133, v92 offset:18048
	ds_read_u16 v135, v93 offset:16992
	s_waitcnt lgkmcnt(2)
	v_perm_b32 v132, v134, v132, s13
	s_waitcnt lgkmcnt(0)
	v_perm_b32 v133, v135, v133, s13
	v_accvgpr_read_b32 v47, a0
	v_accvgpr_read_b32 v117, a1
	v_accvgpr_read_b32 v118, a2
	v_accvgpr_read_b32 v131, a3
	v_cvt_f16_f32_e32 v47, v47
	v_cvt_f16_f32_e32 v117, v117
	v_cvt_f16_f32_e32 v118, v118
	v_cvt_f16_f32_e32 v131, v131
	v_cvt_f32_f16_e32 v47, v47
	v_cvt_f32_f16_e32 v117, v117
	v_cvt_f32_f16_e32 v118, v118
	v_cvt_f32_f16_e32 v131, v131
	v_accvgpr_write_b32 a0, v47
	v_accvgpr_write_b32 a1, v117
	v_accvgpr_write_b32 a2, v118
	v_accvgpr_write_b32 a3, v131
	;; [unrolled: 45-line block ×11, first 2 shown]
	s_nop 1
	v_mfma_f32_16x16x16_f16 a[0:3], v[150:151], v[44:45], a[0:3]
	ds_read_u16 v47, v92 offset:416
	ds_read_u16 v151, v92 offset:944
	;; [unrolled: 1-line block ×4, first 2 shown]
	s_waitcnt lgkmcnt(2)
	v_perm_b32 v192, v151, v47, s13
	s_waitcnt lgkmcnt(0)
	v_perm_b32 v193, v155, v152, s13
	v_accvgpr_read_b32 v99, a0
	v_accvgpr_read_b32 v100, a1
	;; [unrolled: 1-line block ×4, first 2 shown]
	v_accvgpr_write_b32 a0, v156
	v_accvgpr_write_b32 a1, v98
	;; [unrolled: 1-line block ×4, first 2 shown]
	ds_read_u16 v152, v92 offset:17312
	ds_read_u16 v155, v92 offset:17840
	ds_read_u16 v156, v92 offset:18368
	ds_read_u16 v159, v93 offset:17312
	v_mfma_f32_16x16x16_f16 a[0:3], v[192:193], v[42:43], a[0:3]
	v_cvt_pk_f16_f32 v100, v99, v100
	s_waitcnt lgkmcnt(2)
	v_perm_b32 v192, v155, v152, s13
	v_cvt_pk_f16_f32 v99, v149, v150
	s_waitcnt lgkmcnt(0)
	v_perm_b32 v193, v159, v156, s13
	s_nop 1
	v_accvgpr_read_b32 v47, a0
	v_cvt_f16_f32_e32 v47, v47
	v_accvgpr_read_b32 v97, a1
	v_accvgpr_read_b32 v98, a2
	;; [unrolled: 1-line block ×3, first 2 shown]
	v_cvt_f16_f32_e32 v97, v97
	v_cvt_f16_f32_e32 v98, v98
	;; [unrolled: 1-line block ×3, first 2 shown]
	v_cvt_f32_f16_e32 v47, v47
	v_cvt_f32_f16_e32 v97, v97
	;; [unrolled: 1-line block ×4, first 2 shown]
	v_accvgpr_write_b32 a0, v47
	ds_read_u16 v47, v92 offset:448
	ds_read_u16 v156, v92 offset:976
	ds_read_u16 v155, v92 offset:1504
	ds_read_u16 v159, v93 offset:448
	v_accvgpr_write_b32 a1, v97
	v_accvgpr_write_b32 a2, v98
	;; [unrolled: 1-line block ×3, first 2 shown]
	s_waitcnt lgkmcnt(0)
	v_perm_b32 v155, v159, v155, s13
	v_mfma_f32_16x16x16_f16 a[0:3], v[192:193], v[44:45], a[0:3]
	v_cvt_f32_f16_e32 v192, v154
	v_cvt_f32_f16_sdwa v193, v154 dst_sel:DWORD dst_unused:UNUSED_PAD src0_sel:WORD_1
	v_perm_b32 v154, v156, v47, s13
	s_nop 4
	v_accvgpr_read_b32 v97, a0
	v_accvgpr_read_b32 v98, a1
	v_accvgpr_read_b32 v151, a2
	v_accvgpr_read_b32 v152, a3
	v_accvgpr_write_b32 a0, v192
	v_accvgpr_write_b32 a1, v193
	;; [unrolled: 1-line block ×4, first 2 shown]
	ds_read_u16 v156, v92 offset:17344
	ds_read_u16 v159, v92 offset:17872
	;; [unrolled: 1-line block ×4, first 2 shown]
	v_mfma_f32_16x16x16_f16 a[0:3], v[154:155], v[42:43], a[0:3]
	v_cvt_pk_f16_f32 v98, v97, v98
	v_cvt_pk_f16_f32 v97, v151, v152
	s_nop 5
	v_accvgpr_read_b32 v47, a0
	v_cvt_f16_f32_e32 v47, v47
	v_accvgpr_read_b32 v153, a1
	v_accvgpr_read_b32 v154, a2
	v_accvgpr_read_b32 v155, a3
	v_cvt_f16_f32_e32 v153, v153
	v_cvt_f16_f32_e32 v154, v154
	;; [unrolled: 1-line block ×3, first 2 shown]
	v_cvt_f32_f16_e32 v47, v47
	v_cvt_f32_f16_e32 v153, v153
	;; [unrolled: 1-line block ×4, first 2 shown]
	s_waitcnt lgkmcnt(0)
	v_perm_b32 v155, v193, v192, s13
	v_perm_b32 v154, v159, v156, s13
	v_accvgpr_write_b32 a0, v47
	ds_read_u16 v47, v92 offset:480
	ds_read_u16 v192, v92 offset:1008
	;; [unrolled: 1-line block ×4, first 2 shown]
	v_accvgpr_write_b32 a1, v153
	v_accvgpr_write_b32 a2, v194
	;; [unrolled: 1-line block ×3, first 2 shown]
	v_cvt_f32_f16_e32 v194, v158
	v_cvt_f32_f16_sdwa v195, v158 dst_sel:DWORD dst_unused:UNUSED_PAD src0_sel:WORD_1
	v_mfma_f32_16x16x16_f16 a[0:3], v[154:155], v[44:45], a[0:3]
	s_waitcnt lgkmcnt(0)
	v_perm_b32 v159, v193, v159, s13
	v_perm_b32 v158, v192, v47, s13
	s_nop 4
	v_accvgpr_read_b32 v153, a0
	v_accvgpr_read_b32 v154, a1
	;; [unrolled: 1-line block ×4, first 2 shown]
	v_accvgpr_write_b32 a0, v194
	v_accvgpr_write_b32 a1, v195
	;; [unrolled: 1-line block ×4, first 2 shown]
	s_nop 1
	v_mfma_f32_16x16x16_f16 a[0:3], v[158:159], v[42:43], a[0:3]
	ds_read_u16 v158, v92 offset:17376
	ds_read_u16 v159, v92 offset:17904
	;; [unrolled: 1-line block ×4, first 2 shown]
	s_waitcnt lgkmcnt(0)
	s_barrier
	s_nop 1
	v_accvgpr_read_b32 v42, a0
	v_accvgpr_read_b32 v43, a1
	;; [unrolled: 1-line block ×4, first 2 shown]
	v_cvt_f16_f32_e32 v42, v42
	v_cvt_f16_f32_e32 v43, v43
	;; [unrolled: 1-line block ×4, first 2 shown]
	v_cvt_f32_f16_e32 v194, v42
	v_cvt_f32_f16_e32 v195, v43
	v_cvt_f32_f16_e32 v47, v47
	v_cvt_f32_f16_e32 v157, v157
	v_perm_b32 v43, v193, v192, s13
	v_perm_b32 v42, v159, v158, s13
	v_accvgpr_write_b32 a0, v194
	v_accvgpr_write_b32 a1, v195
	;; [unrolled: 1-line block ×4, first 2 shown]
	s_nop 1
	v_mfma_f32_16x16x16_f16 a[0:3], v[42:43], v[44:45], a[0:3]
	s_nop 7
	v_accvgpr_read_b32 v42, a0
	v_accvgpr_read_b32 v43, a1
	;; [unrolled: 1-line block ×4, first 2 shown]
	v_cvt_pk_f16_f32 v43, v42, v43
	v_cvt_pk_f16_f32 v42, v44, v45
	;; [unrolled: 1-line block ×4, first 2 shown]
	s_cbranch_vccnz .LBB29_314
; %bb.315:
	v_mov_b64_e32 v[38:39], s[34:35]
	v_mov_b64_e32 v[40:41], s[14:15]
.LBB29_316:
	s_lshl_b32 s8, s70, 6
	s_ashr_i32 s9, s8, 31
	s_lshl_b64 s[10:11], s[8:9], 1
	s_add_u32 s6, s6, s10
	s_addc_u32 s7, s7, s11
	v_lshl_add_u64 v[20:21], v[20:21], 1, s[6:7]
	v_lshl_add_u64 v[20:21], v[16:17], 1, v[20:21]
	global_load_dword v17, v[20:21], off
	v_mul_lo_u32 v20, v40, s9
	v_mul_hi_u32 v21, v40, s8
	v_add_u32_e32 v20, v21, v20
	v_mul_lo_u32 v21, v41, s8
	v_add_u32_e32 v21, v20, v21
	v_mul_lo_u32 v20, v40, s8
	v_lshlrev_b64 v[20:21], 2, v[20:21]
	v_lshl_add_u64 v[40:41], s[4:5], 0, v[20:21]
	v_lshlrev_b64 v[20:21], 2, v[18:19]
	v_lshl_add_u64 v[24:25], v[24:25], 2, v[40:41]
	v_lshl_add_u64 v[80:81], v[24:25], 0, v[20:21]
	;; [unrolled: 1-line block ×16, first 2 shown]
	global_load_dwordx4 v[24:27], v[22:23], off
	global_load_dwordx4 v[28:31], v[80:81], off
	;; [unrolled: 1-line block ×3, first 2 shown]
	s_nop 0
	global_load_dwordx4 v[80:83], v[84:85], off
	s_nop 0
	global_load_dwordx4 v[84:87], v[86:87], off
	;; [unrolled: 2-line block ×5, first 2 shown]
	v_lshlrev_b32_e32 v16, 1, v16
	v_add_u32_e32 v19, 0, v52
	v_lshlrev_b32_e32 v18, 2, v18
	v_add3_u32 v16, 0, v76, v16
	v_add3_u32 v36, v19, v67, v74
	;; [unrolled: 1-line block ×10, first 2 shown]
	s_mov_b32 s3, 0x8400
	v_cmp_lt_i32_e32 vcc, v63, v55
	s_mov_b32 s4, 0x3fb8aa3b
	s_mov_b32 s5, 0xc2ce8ed0
	s_waitcnt vmcnt(8)
	ds_write_b32 v16, v17 offset:33792
	s_waitcnt vmcnt(7)
	ds_write_b128 v22, v[24:27]
	s_waitcnt vmcnt(6)
	ds_write_b128 v23, v[28:31]
	s_waitcnt vmcnt(5)
	ds_write_b128 v40, v[32:35]
	s_waitcnt vmcnt(4)
	ds_write_b128 v41, v[80:83]
	s_waitcnt vmcnt(3)
	ds_write_b128 v52, v[84:87]
	s_waitcnt vmcnt(2)
	ds_write_b128 v53, v[88:91]
	s_waitcnt vmcnt(1)
	ds_write_b128 v56, v[92:95]
	s_waitcnt vmcnt(0)
	ds_write_b128 v58, v[126:129]
	s_waitcnt lgkmcnt(0)
	s_barrier
	ds_read2_b64 v[16:19], v36 offset1:4
	v_add_u32_e32 v32, 0x4000, v36
	ds_read2_b64 v[24:27], v32 offset0:64 offset1:68
	s_waitcnt lgkmcnt(1)
	v_mfma_f32_16x16x16_f16 a[0:3], v[16:17], v[188:189], 0
	s_waitcnt lgkmcnt(0)
	v_mfma_f32_16x16x16_f16 a[4:7], v[24:25], v[188:189], 0
	v_mfma_f32_16x16x16_f16 a[0:3], v[18:19], v[190:191], a[0:3]
	ds_read2_b64 v[16:19], v36 offset0:8 offset1:12
	v_mfma_f32_16x16x16_f16 a[4:7], v[26:27], v[190:191], a[4:7]
	ds_read2_b64 v[24:27], v32 offset0:72 offset1:76
	s_waitcnt lgkmcnt(1)
	v_mfma_f32_16x16x16_f16 a[0:3], v[16:17], v[184:185], a[0:3]
	s_waitcnt lgkmcnt(0)
	v_mfma_f32_16x16x16_f16 a[4:7], v[24:25], v[184:185], a[4:7]
	v_mfma_f32_16x16x16_f16 a[0:3], v[18:19], v[186:187], a[0:3]
	ds_read2_b64 v[16:19], v36 offset0:16 offset1:20
	v_mfma_f32_16x16x16_f16 a[4:7], v[26:27], v[186:187], a[4:7]
	;; [unrolled: 8-line block ×5, first 2 shown]
	ds_read2_b64 v[24:27], v32 offset0:104 offset1:108
	s_waitcnt lgkmcnt(1)
	v_mfma_f32_16x16x16_f16 a[0:3], v[16:17], v[168:169], a[0:3]
	s_waitcnt lgkmcnt(0)
	v_mfma_f32_16x16x16_f16 a[4:7], v[24:25], v[168:169], a[4:7]
	v_add_u32_e32 v24, 0, v70
	v_lshlrev_b32_e32 v25, 2, v71
	v_mfma_f32_16x16x16_f16 a[0:3], v[18:19], v[170:171], a[0:3]
	ds_read2_b64 v[16:19], v36 offset0:48 offset1:52
	ds_read2_b64 v[28:31], v32 offset0:112 offset1:116
	;; [unrolled: 1-line block ×3, first 2 shown]
	v_mfma_f32_16x16x16_f16 a[4:7], v[26:27], v[170:171], a[4:7]
	s_waitcnt lgkmcnt(2)
	v_mfma_f32_16x16x16_f16 a[0:3], v[16:17], v[164:165], a[0:3]
	v_add3_u32 v17, v24, v25, s3
	v_cndmask_b32_e32 v16, v54, v63, vcc
	v_cmp_lt_i32_e32 vcc, v57, v55
	s_waitcnt lgkmcnt(1)
	v_mfma_f32_16x16x16_f16 a[4:7], v[28:29], v[164:165], a[4:7]
	v_lshl_add_u32 v28, v60, 2, v24
	v_lshl_add_u32 v29, v61, 2, v24
	ds_read2_b64 v[24:27], v36 offset0:56 offset1:60
	v_mfma_f32_16x16x16_f16 a[0:3], v[18:19], v[166:167], a[0:3]
	s_waitcnt lgkmcnt(0)
	s_barrier
	v_mfma_f32_16x16x16_f16 a[4:7], v[30:31], v[166:167], a[4:7]
	ds_read2_b32 v[18:19], v17 offset1:1
	v_lshlrev_b32_e32 v17, 2, v16
	s_mov_b32 s3, 0x42b17218
	v_mfma_f32_16x16x16_f16 a[0:3], v[24:25], v[160:161], a[0:3]
	ds_read_b32 v16, v28 offset:33792
	ds_read_b32 v24, v29 offset:33792
	s_waitcnt lgkmcnt(2)
	v_cvt_f32_f16_e32 v25, v18
	v_cvt_f32_f16_sdwa v18, v18 dst_sel:DWORD dst_unused:UNUSED_PAD src0_sel:WORD_1
	v_mfma_f32_16x16x16_f16 a[4:7], v[32:33], v[160:161], a[4:7]
	v_cvt_f32_f16_e32 v28, v19
	v_cvt_f32_f16_sdwa v19, v19 dst_sel:DWORD dst_unused:UNUSED_PAD src0_sel:WORD_1
	s_waitcnt lgkmcnt(1)
	v_cvt_f32_f16_e32 v29, v16
	v_mfma_f32_16x16x16_f16 a[0:3], v[26:27], v[162:163], a[0:3]
	v_cvt_f32_f16_sdwa v16, v16 dst_sel:DWORD dst_unused:UNUSED_PAD src0_sel:WORD_1
	s_waitcnt lgkmcnt(0)
	v_cvt_f32_f16_e32 v26, v24
	v_cvt_f32_f16_sdwa v24, v24 dst_sel:DWORD dst_unused:UNUSED_PAD src0_sel:WORD_1
	v_mfma_f32_16x16x16_f16 a[4:7], v[34:35], v[162:163], a[4:7]
	s_nop 2
	v_accvgpr_read_b32 v27, a0
	v_accvgpr_read_b32 v30, a1
	;; [unrolled: 1-line block ×4, first 2 shown]
	s_nop 0
	v_accvgpr_read_b32 v34, a5
	v_add_f32_e32 v25, v27, v25
	v_add_f32_e32 v27, v30, v18
	v_accvgpr_read_b32 v33, a4
	v_accvgpr_read_b32 v36, a7
	v_add_f32_e32 v28, v31, v28
	v_add_f32_e32 v19, v32, v19
	;; [unrolled: 1-line block ×5, first 2 shown]
	v_accvgpr_read_b32 v35, a6
	v_add_f32_e32 v29, v33, v29
	v_add_f32_e32 v47, v36, v24
	;; [unrolled: 1-line block ×4, first 2 shown]
	v_max3_f32 v16, v77, v16, v18
	v_add_f32_e32 v26, v35, v26
	v_add_f32_e32 v32, 0x40051340, v29
	;; [unrolled: 1-line block ×3, first 2 shown]
	v_max3_f32 v16, v16, v24, v31
	v_add_f32_e32 v34, 0x40051340, v26
	v_add_f32_e32 v35, 0x40051340, v47
	v_max3_f32 v16, v16, v32, v33
	v_max3_f32 v18, v16, v34, v35
	ds_bpermute_b32 v24, v17, v18
	v_cndmask_b32_e32 v16, v54, v57, vcc
	v_lshlrev_b32_e32 v16, 2, v16
	v_mov_b32_e32 v54, 0x7f800000
	s_waitcnt lgkmcnt(0)
	v_max_f32_e32 v24, v24, v24
	v_max_f32_e32 v18, v18, v24
	ds_bpermute_b32 v24, v16, v18
	s_waitcnt lgkmcnt(0)
	v_max_f32_e32 v24, v24, v24
	v_max_f32_e32 v18, v18, v24
	v_sub_f32_e32 v24, v25, v18
	v_sub_f32_e32 v25, v27, v18
	v_mul_f32_e32 v27, 0x3fb8aa3b, v24
	v_fma_f32 v31, v24, s4, -v27
	v_rndne_f32_e32 v32, v27
	v_fmac_f32_e32 v31, 0x32a5705f, v24
	v_sub_f32_e32 v27, v27, v32
	v_add_f32_e32 v27, v27, v31
	v_cvt_i32_f32_e32 v32, v32
	v_exp_f32_e32 v27, v27
	v_mul_f32_e32 v31, 0x3fb8aa3b, v25
	v_fma_f32 v33, v25, s4, -v31
	v_fmac_f32_e32 v33, 0x32a5705f, v25
	v_ldexp_f32 v27, v27, v32
	v_rndne_f32_e32 v32, v31
	v_sub_f32_e32 v31, v31, v32
	v_add_f32_e32 v31, v31, v33
	v_exp_f32_e32 v31, v31
	v_cvt_i32_f32_e32 v32, v32
	v_cmp_ngt_f32_e32 vcc, s5, v24
	v_sub_f32_e32 v28, v28, v18
	v_sub_f32_e32 v19, v19, v18
	v_cndmask_b32_e32 v27, 0, v27, vcc
	v_cmp_nlt_f32_e32 vcc, s3, v24
	v_sub_f32_e32 v29, v29, v18
	v_sub_f32_e32 v30, v30, v18
	v_cndmask_b32_e32 v24, v54, v27, vcc
	v_ldexp_f32 v27, v31, v32
	v_mul_f32_e32 v31, 0x3fb8aa3b, v28
	v_fma_f32 v32, v28, s4, -v31
	v_rndne_f32_e32 v33, v31
	v_fmac_f32_e32 v32, 0x32a5705f, v28
	v_sub_f32_e32 v31, v31, v33
	v_add_f32_e32 v31, v31, v32
	v_exp_f32_e32 v31, v31
	v_cvt_i32_f32_e32 v32, v33
	v_cmp_ngt_f32_e32 vcc, s5, v25
	v_sub_f32_e32 v26, v26, v18
	v_ldexp_f32 v31, v31, v32
	v_mul_f32_e32 v32, 0x3fb8aa3b, v19
	v_fma_f32 v33, v19, s4, -v32
	v_rndne_f32_e32 v34, v32
	v_fmac_f32_e32 v33, 0x32a5705f, v19
	v_sub_f32_e32 v32, v32, v34
	v_add_f32_e32 v32, v32, v33
	v_cndmask_b32_e32 v27, 0, v27, vcc
	v_cmp_nlt_f32_e32 vcc, s3, v25
	v_exp_f32_e32 v32, v32
	v_cvt_i32_f32_e32 v33, v34
	v_cndmask_b32_e32 v27, v54, v27, vcc
	v_cmp_ngt_f32_e32 vcc, s5, v28
	v_add_f32_e32 v25, v24, v27
	s_nop 0
	v_cndmask_b32_e32 v31, 0, v31, vcc
	v_cmp_nlt_f32_e32 vcc, s3, v28
	v_ldexp_f32 v28, v32, v33
	s_nop 0
	v_cndmask_b32_e32 v34, v54, v31, vcc
	v_mul_f32_e32 v31, 0x3fb8aa3b, v29
	v_fma_f32 v32, v29, s4, -v31
	v_rndne_f32_e32 v33, v31
	v_fmac_f32_e32 v32, 0x32a5705f, v29
	v_sub_f32_e32 v31, v31, v33
	v_add_f32_e32 v31, v31, v32
	v_exp_f32_e32 v31, v31
	v_cvt_i32_f32_e32 v32, v33
	v_cmp_ngt_f32_e32 vcc, s5, v19
	v_add_f32_e32 v25, v34, v25
	s_nop 0
	v_cndmask_b32_e32 v28, 0, v28, vcc
	v_cmp_nlt_f32_e32 vcc, s3, v19
	s_nop 1
	v_cndmask_b32_e32 v35, v54, v28, vcc
	v_mul_f32_e32 v28, 0x3fb8aa3b, v30
	v_add_f32_e32 v19, v35, v25
	v_ldexp_f32 v25, v31, v32
	v_fma_f32 v31, v30, s4, -v28
	v_rndne_f32_e32 v32, v28
	v_fmac_f32_e32 v31, 0x32a5705f, v30
	v_sub_f32_e32 v28, v28, v32
	v_add_f32_e32 v28, v28, v31
	v_exp_f32_e32 v31, v28
	v_cvt_i32_f32_e32 v32, v32
	v_cmp_ngt_f32_e32 vcc, s5, v29
	s_nop 1
	v_cndmask_b32_e32 v25, 0, v25, vcc
	v_cmp_nlt_f32_e32 vcc, s3, v29
	v_mul_f32_e32 v29, 0x3fb8aa3b, v26
	s_nop 0
	v_cndmask_b32_e32 v28, v54, v25, vcc
	v_ldexp_f32 v25, v31, v32
	v_fma_f32 v31, v26, s4, -v29
	v_rndne_f32_e32 v32, v29
	v_fmac_f32_e32 v31, 0x32a5705f, v26
	v_sub_f32_e32 v29, v29, v32
	v_add_f32_e32 v29, v29, v31
	v_exp_f32_e32 v29, v29
	v_cvt_i32_f32_e32 v32, v32
	v_cmp_ngt_f32_e32 vcc, s5, v30
	v_add_f32_e32 v19, v28, v19
	s_nop 0
	v_cndmask_b32_e32 v25, 0, v25, vcc
	v_cmp_nlt_f32_e32 vcc, s3, v30
	v_mul_hi_u32 v30, v38, s8
	s_nop 0
	v_cndmask_b32_e32 v31, v54, v25, vcc
	v_ldexp_f32 v25, v29, v32
	v_mul_lo_u32 v29, v38, s9
	v_add_u32_e32 v29, v30, v29
	v_mul_lo_u32 v30, v39, s8
	v_add_u32_e32 v33, v29, v30
	v_mul_lo_u32 v32, v38, s8
	v_lshlrev_b64 v[32:33], 2, v[32:33]
	v_lshl_add_u64 v[32:33], s[0:1], 0, v[32:33]
	v_lshl_add_u64 v[2:3], v[2:3], 2, v[32:33]
	;; [unrolled: 1-line block ×17, first 2 shown]
	global_load_dwordx4 v[0:3], v[0:1], off
	s_nop 0
	global_load_dwordx4 v[60:63], v[36:37], off
	global_load_dwordx4 v[70:73], v[4:5], off
	global_load_dwordx4 v[80:83], v[6:7], off
	global_load_dwordx4 v[84:87], v[8:9], off
	global_load_dwordx4 v[88:91], v[10:11], off
	global_load_dwordx4 v[92:95], v[12:13], off
	global_load_dwordx4 v[126:129], v[14:15], off
	v_sub_f32_e32 v5, v47, v18
	v_mul_f32_e32 v6, 0x3fb8aa3b, v5
	v_fma_f32 v7, v5, s4, -v6
	v_rndne_f32_e32 v8, v6
	v_fmac_f32_e32 v7, 0x32a5705f, v5
	v_sub_f32_e32 v6, v6, v8
	v_add_f32_e32 v6, v6, v7
	v_cvt_i32_f32_e32 v7, v8
	v_sub_f32_e32 v8, v77, v18
	v_mul_f32_e32 v9, 0x3fb8aa3b, v8
	v_fma_f32 v10, v8, s4, -v9
	v_rndne_f32_e32 v11, v9
	v_fmac_f32_e32 v10, 0x32a5705f, v8
	v_sub_f32_e32 v9, v9, v11
	v_exp_f32_e32 v6, v6
	v_add_f32_e32 v9, v9, v10
	v_exp_f32_e32 v9, v9
	v_cvt_i32_f32_e32 v10, v11
	v_cmp_ngt_f32_e32 vcc, s5, v26
	v_ldexp_f32 v6, v6, v7
	s_mov_b32 s0, 0xc1a00000
	v_cndmask_b32_e32 v4, 0, v25, vcc
	v_cmp_nlt_f32_e32 vcc, s3, v26
	v_ldexp_f32 v7, v9, v10
	v_add_f32_e32 v19, v31, v19
	v_cndmask_b32_e32 v57, v54, v4, vcc
	v_cmp_ngt_f32_e32 vcc, s5, v5
	v_add_f32_e32 v4, v57, v19
	s_waitcnt vmcnt(7)
	ds_write_b128 v22, v[0:3]
	s_waitcnt vmcnt(6)
	ds_write_b128 v23, v[60:63]
	;; [unrolled: 2-line block ×8, first 2 shown]
	v_cndmask_b32_e32 v6, 0, v6, vcc
	v_cmp_ngt_f32_e32 vcc, s5, v8
	v_add_u32_e32 v0, 0, v51
	v_add3_u32 v22, v0, v48, v46
	v_cndmask_b32_e32 v7, 0, v7, vcc
	v_cmp_nlt_f32_e32 vcc, s3, v8
	s_waitcnt lgkmcnt(0)
	s_barrier
	v_cndmask_b32_e32 v7, v54, v7, vcc
	v_cmp_le_f32_e32 vcc, s0, v8
	v_add3_u32 v23, v0, v49, v46
	s_nop 0
	v_cndmask_b32_e32 v7, 0, v7, vcc
	v_cvt_f16_f32_e32 v8, v7
	v_cmp_nlt_f32_e32 vcc, s3, v5
	s_mov_b32 s0, 0x5040100
	v_mul_u32_u24_e32 v5, 0x10001, v8
	v_cndmask_b32_e32 v47, v54, v6, vcc
	v_add_f32_e32 v4, v47, v4
	v_pk_mul_f16 v59, v124, v5
	v_pk_mul_f16 v69, v123, v5
	v_fmac_f32_e32 v4, v78, v7
	v_pk_mul_f16 v74, v122, v5
	v_pk_mul_f16 v75, v121, v5
	;; [unrolled: 1-line block ×30, first 2 shown]
	v_cvt_f32_f16_e32 v40, v59
	v_cvt_f32_f16_sdwa v41, v59 dst_sel:DWORD dst_unused:UNUSED_PAD src0_sel:WORD_1
	v_cvt_f32_f16_e32 v42, v69
	v_cvt_f32_f16_sdwa v43, v69 dst_sel:DWORD dst_unused:UNUSED_PAD src0_sel:WORD_1
	ds_read_u16 v0, v22 offset:1056
	ds_read_u16 v44, v22 offset:1088
	;; [unrolled: 1-line block ×8, first 2 shown]
	ds_read_u16 v1, v23
	ds_read_u16 v59, v23 offset:32
	ds_read_u16 v60, v23 offset:64
	;; [unrolled: 1-line block ×7, first 2 shown]
	s_waitcnt lgkmcnt(7)
	v_perm_b32 v3, v1, v0, s0
	ds_read_u16 v0, v22
	ds_read_u16 v71, v22 offset:32
	ds_read_u16 v72, v22 offset:64
	ds_read_u16 v73, v22 offset:96
	ds_read_u16 v78, v22 offset:128
	ds_read_u16 v79, v22 offset:160
	ds_read_u16 v80, v22 offset:192
	ds_read_u16 v81, v22 offset:224
	ds_read_u16 v1, v22 offset:528
	ds_read_u16 v82, v22 offset:560
	ds_read_u16 v83, v22 offset:592
	ds_read_u16 v84, v22 offset:624
	ds_read_u16 v85, v22 offset:656
	ds_read_u16 v86, v22 offset:688
	ds_read_u16 v87, v22 offset:720
	ds_read_u16 v88, v22 offset:752
	s_waitcnt lgkmcnt(7)
	v_perm_b32 v2, v1, v0, s0
	v_cvt_pk_f16_f32 v1, v34, v35
	v_cvt_pk_f16_f32 v0, v24, v27
	v_accvgpr_write_b32 a0, v40
	v_accvgpr_write_b32 a1, v41
	;; [unrolled: 1-line block ×4, first 2 shown]
	v_add_u32_e32 v27, 0, v50
	s_nop 0
	v_mfma_f32_16x16x16_f16 a[0:3], v[2:3], v[0:1], a[0:3]
	s_nop 7
	v_accvgpr_read_b32 v2, a0
	v_accvgpr_read_b32 v3, a1
	;; [unrolled: 1-line block ×3, first 2 shown]
	v_cvt_f16_f32_e32 v2, v2
	v_cvt_f16_f32_e32 v3, v3
	;; [unrolled: 1-line block ×3, first 2 shown]
	v_accvgpr_read_b32 v24, a3
	v_cvt_f16_f32_e32 v35, v24
	v_add3_u32 v24, v27, v48, v46
	v_add3_u32 v27, v27, v49, v46
	v_cvt_f32_f16_e32 v40, v2
	v_cvt_f32_f16_e32 v41, v3
	ds_read_u16 v2, v24 offset:1056
	ds_read_u16 v46, v24 offset:1088
	;; [unrolled: 1-line block ×8, first 2 shown]
	ds_read_u16 v3, v27
	ds_read_u16 v92, v27 offset:32
	ds_read_u16 v93, v27 offset:64
	;; [unrolled: 1-line block ×7, first 2 shown]
	v_cvt_f32_f16_e32 v42, v34
	v_cvt_f32_f16_e32 v43, v35
	s_waitcnt lgkmcnt(7)
	v_perm_b32 v35, v3, v2, s0
	ds_read_u16 v2, v24
	ds_read_u16 v99, v24 offset:32
	ds_read_u16 v100, v24 offset:64
	;; [unrolled: 1-line block ×15, first 2 shown]
	s_waitcnt lgkmcnt(7)
	v_perm_b32 v34, v3, v2, s0
	v_cvt_pk_f16_f32 v3, v57, v47
	v_cvt_pk_f16_f32 v2, v28, v31
	v_accvgpr_write_b32 a0, v40
	v_accvgpr_write_b32 a1, v41
	v_accvgpr_write_b32 a2, v42
	v_accvgpr_write_b32 a3, v43
	v_cvt_f32_f16_e32 v28, v74
	v_cvt_f32_f16_sdwa v31, v74 dst_sel:DWORD dst_unused:UNUSED_PAD src0_sel:WORD_1
	v_mfma_f32_16x16x16_f16 a[0:3], v[34:35], v[2:3], a[0:3]
	v_cvt_f32_f16_e32 v40, v75
	v_cvt_f32_f16_sdwa v41, v75 dst_sel:DWORD dst_unused:UNUSED_PAD src0_sel:WORD_1
	v_perm_b32 v35, v59, v44, s0
	v_perm_b32 v34, v82, v71, s0
	v_accvgpr_write_b32 a4, v28
	v_accvgpr_write_b32 a5, v31
	v_accvgpr_write_b32 a6, v40
	v_accvgpr_write_b32 a7, v41
	s_nop 1
	v_mfma_f32_16x16x16_f16 a[4:7], v[34:35], v[0:1], a[4:7]
	s_nop 7
	v_accvgpr_read_b32 v28, a4
	v_accvgpr_read_b32 v31, a5
	v_accvgpr_read_b32 v34, a6
	v_accvgpr_read_b32 v35, a7
	v_cvt_f16_f32_e32 v28, v28
	v_cvt_f16_f32_e32 v31, v31
	v_cvt_f16_f32_e32 v34, v34
	v_cvt_f16_f32_e32 v35, v35
	v_cvt_f32_f16_e32 v28, v28
	v_cvt_f32_f16_e32 v31, v31
	v_cvt_f32_f16_e32 v40, v34
	v_cvt_f32_f16_e32 v41, v35
	v_perm_b32 v35, v92, v46, s0
	s_waitcnt lgkmcnt(6)
	v_perm_b32 v34, v106, v99, s0
	v_accvgpr_write_b32 a4, v28
	v_accvgpr_write_b32 a5, v31
	v_accvgpr_write_b32 a6, v40
	v_accvgpr_write_b32 a7, v41
	v_cvt_f32_f16_e32 v28, v76
	v_cvt_f32_f16_sdwa v31, v76 dst_sel:DWORD dst_unused:UNUSED_PAD src0_sel:WORD_1
	v_mfma_f32_16x16x16_f16 a[4:7], v[34:35], v[2:3], a[4:7]
	v_cvt_f32_f16_e32 v40, v77
	v_cvt_f32_f16_sdwa v41, v77 dst_sel:DWORD dst_unused:UNUSED_PAD src0_sel:WORD_1
	v_perm_b32 v35, v60, v45, s0
	v_perm_b32 v34, v83, v72, s0
	v_accvgpr_write_b32 a8, v28
	v_accvgpr_write_b32 a9, v31
	v_accvgpr_write_b32 a10, v40
	v_accvgpr_write_b32 a11, v41
	s_nop 1
	v_mfma_f32_16x16x16_f16 a[8:11], v[34:35], v[0:1], a[8:11]
	s_nop 7
	v_accvgpr_read_b32 v28, a8
	v_accvgpr_read_b32 v31, a9
	v_accvgpr_read_b32 v34, a10
	v_accvgpr_read_b32 v35, a11
	v_cvt_f16_f32_e32 v28, v28
	v_cvt_f16_f32_e32 v31, v31
	v_cvt_f16_f32_e32 v34, v34
	v_cvt_f16_f32_e32 v35, v35
	v_cvt_f32_f16_e32 v28, v28
	v_cvt_f32_f16_e32 v31, v31
	v_cvt_f32_f16_e32 v40, v34
	v_cvt_f32_f16_e32 v41, v35
	v_perm_b32 v35, v93, v48, s0
	s_waitcnt lgkmcnt(5)
	v_perm_b32 v34, v107, v100, s0
	;; [unrolled: 33-line block ×7, first 2 shown]
	v_accvgpr_write_b32 a28, v32
	v_accvgpr_write_b32 a29, v33
	;; [unrolled: 1-line block ×4, first 2 shown]
	ds_read_u16 v30, v22 offset:1312
	ds_read_u16 v31, v22 offset:1344
	;; [unrolled: 1-line block ×16, first 2 shown]
	v_mfma_f32_16x16x16_f16 a[28:31], v[28:29], v[2:3], a[28:31]
	v_cvt_f32_f16_e32 v28, v26
	v_cvt_f32_f16_sdwa v26, v26 dst_sel:DWORD dst_unused:UNUSED_PAD src0_sel:WORD_1
	v_cvt_f32_f16_e32 v29, v25
	v_cvt_f32_f16_sdwa v25, v25 dst_sel:DWORD dst_unused:UNUSED_PAD src0_sel:WORD_1
	s_waitcnt lgkmcnt(7)
	v_perm_b32 v23, v38, v30, s0
	ds_read_u16 v30, v22 offset:256
	ds_read_u16 v38, v22 offset:288
	;; [unrolled: 1-line block ×16, first 2 shown]
	s_waitcnt lgkmcnt(7)
	v_perm_b32 v22, v52, v30, s0
	v_accvgpr_write_b32 a32, v28
	v_accvgpr_write_b32 a33, v26
	;; [unrolled: 1-line block ×4, first 2 shown]
	s_nop 1
	v_mfma_f32_16x16x16_f16 a[32:35], v[22:23], v[0:1], a[32:35]
	s_nop 7
	v_accvgpr_read_b32 v22, a32
	v_accvgpr_read_b32 v23, a33
	v_cvt_f16_f32_e32 v22, v22
	v_cvt_f16_f32_e32 v23, v23
	v_accvgpr_read_b32 v25, a34
	v_accvgpr_read_b32 v26, a35
	v_cvt_f16_f32_e32 v25, v25
	v_cvt_f16_f32_e32 v26, v26
	v_cvt_f32_f16_e32 v28, v22
	v_cvt_f32_f16_e32 v29, v23
	ds_read_u16 v22, v24 offset:1312
	ds_read_u16 v30, v24 offset:1344
	;; [unrolled: 1-line block ×16, first 2 shown]
	s_waitcnt lgkmcnt(7)
	v_perm_b32 v23, v23, v22, s0
	ds_read_u16 v22, v24 offset:256
	ds_read_u16 v76, v24 offset:288
	;; [unrolled: 1-line block ×16, first 2 shown]
	v_cvt_f32_f16_e32 v25, v25
	v_cvt_f32_f16_e32 v26, v26
	s_waitcnt lgkmcnt(7)
	v_perm_b32 v22, v83, v22, s0
	v_accvgpr_write_b32 a32, v28
	v_accvgpr_write_b32 a33, v29
	;; [unrolled: 1-line block ×4, first 2 shown]
	v_cvt_f32_f16_e32 v25, v20
	v_cvt_f32_f16_sdwa v26, v20 dst_sel:DWORD dst_unused:UNUSED_PAD src0_sel:WORD_1
	v_mfma_f32_16x16x16_f16 a[32:35], v[22:23], v[2:3], a[32:35]
	v_cvt_f32_f16_e32 v22, v21
	v_cvt_f32_f16_sdwa v23, v21 dst_sel:DWORD dst_unused:UNUSED_PAD src0_sel:WORD_1
	v_perm_b32 v21, v39, v31, s0
	v_perm_b32 v20, v53, v38, s0
	v_accvgpr_write_b32 a36, v22
	v_accvgpr_write_b32 a37, v23
	;; [unrolled: 1-line block ×4, first 2 shown]
	s_waitcnt lgkmcnt(0)
	s_barrier
	v_mfma_f32_16x16x16_f16 a[36:39], v[20:21], v[0:1], a[36:39]
	s_nop 7
	v_accvgpr_read_b32 v20, a36
	v_accvgpr_read_b32 v21, a37
	;; [unrolled: 1-line block ×4, first 2 shown]
	v_cvt_f16_f32_e32 v20, v20
	v_cvt_f16_f32_e32 v21, v21
	;; [unrolled: 1-line block ×4, first 2 shown]
	v_cvt_f32_f16_e32 v25, v20
	v_cvt_f32_f16_e32 v26, v21
	;; [unrolled: 1-line block ×4, first 2 shown]
	v_perm_b32 v21, v70, v30, s0
	v_perm_b32 v20, v84, v76, s0
	v_accvgpr_write_b32 a36, v25
	v_accvgpr_write_b32 a37, v26
	;; [unrolled: 1-line block ×4, first 2 shown]
	v_cvt_f32_f16_e32 v22, v19
	v_cvt_f32_f16_sdwa v19, v19 dst_sel:DWORD dst_unused:UNUSED_PAD src0_sel:WORD_1
	v_mfma_f32_16x16x16_f16 a[36:39], v[20:21], v[2:3], a[36:39]
	v_cvt_f32_f16_e32 v23, v15
	v_cvt_f32_f16_sdwa v15, v15 dst_sel:DWORD dst_unused:UNUSED_PAD src0_sel:WORD_1
	v_perm_b32 v21, v40, v32, s0
	v_perm_b32 v20, v54, v46, s0
	v_accvgpr_write_b32 a40, v22
	v_accvgpr_write_b32 a41, v19
	;; [unrolled: 1-line block ×4, first 2 shown]
	s_nop 1
	v_mfma_f32_16x16x16_f16 a[40:43], v[20:21], v[0:1], a[40:43]
	s_nop 7
	v_accvgpr_read_b32 v15, a40
	v_accvgpr_read_b32 v19, a41
	;; [unrolled: 1-line block ×4, first 2 shown]
	v_cvt_f16_f32_e32 v15, v15
	v_cvt_f16_f32_e32 v19, v19
	;; [unrolled: 1-line block ×4, first 2 shown]
	v_cvt_f32_f16_e32 v15, v15
	v_cvt_f32_f16_e32 v19, v19
	;; [unrolled: 1-line block ×4, first 2 shown]
	v_perm_b32 v21, v71, v52, s0
	v_perm_b32 v20, v85, v77, s0
	v_accvgpr_write_b32 a40, v15
	v_accvgpr_write_b32 a41, v19
	;; [unrolled: 1-line block ×4, first 2 shown]
	v_cvt_f32_f16_e32 v19, v14
	v_perm_b32 v15, v41, v33, s0
	v_mfma_f32_16x16x16_f16 a[40:43], v[20:21], v[2:3], a[40:43]
	v_cvt_f32_f16_sdwa v20, v14 dst_sel:DWORD dst_unused:UNUSED_PAD src0_sel:WORD_1
	v_cvt_f32_f16_e32 v21, v13
	v_cvt_f32_f16_sdwa v13, v13 dst_sel:DWORD dst_unused:UNUSED_PAD src0_sel:WORD_1
	v_perm_b32 v14, v55, v47, s0
	v_accvgpr_write_b32 a44, v19
	v_accvgpr_write_b32 a45, v20
	v_accvgpr_write_b32 a46, v21
	v_accvgpr_write_b32 a47, v13
	s_nop 1
	v_mfma_f32_16x16x16_f16 a[44:47], v[14:15], v[0:1], a[44:47]
	s_nop 7
	v_accvgpr_read_b32 v13, a44
	v_accvgpr_read_b32 v14, a45
	v_accvgpr_read_b32 v15, a46
	v_accvgpr_read_b32 v19, a47
	v_cvt_f16_f32_e32 v13, v13
	v_cvt_f16_f32_e32 v14, v14
	v_cvt_f16_f32_e32 v15, v15
	v_cvt_f16_f32_e32 v19, v19
	v_cvt_f32_f16_e32 v13, v13
	v_cvt_f32_f16_e32 v20, v14
	v_cvt_f32_f16_e32 v21, v15
	v_cvt_f32_f16_e32 v19, v19
	v_perm_b32 v15, v72, v60, s0
	v_perm_b32 v14, v86, v78, s0
	v_accvgpr_write_b32 a44, v13
	v_accvgpr_write_b32 a45, v20
	v_accvgpr_write_b32 a46, v21
	v_accvgpr_write_b32 a47, v19
	v_cvt_f32_f16_e32 v19, v11
	v_cvt_f32_f16_sdwa v11, v11 dst_sel:DWORD dst_unused:UNUSED_PAD src0_sel:WORD_1
	v_mfma_f32_16x16x16_f16 a[44:47], v[14:15], v[2:3], a[44:47]
	v_cvt_f32_f16_e32 v14, v12
	v_cvt_f32_f16_sdwa v15, v12 dst_sel:DWORD dst_unused:UNUSED_PAD src0_sel:WORD_1
	v_perm_b32 v13, v42, v34, s0
	v_perm_b32 v12, v56, v48, s0
	v_accvgpr_write_b32 a48, v14
	v_accvgpr_write_b32 a49, v15
	v_accvgpr_write_b32 a50, v19
	v_accvgpr_write_b32 a51, v11
	s_nop 1
	v_mfma_f32_16x16x16_f16 a[48:51], v[12:13], v[0:1], a[48:51]
	s_nop 7
	v_accvgpr_read_b32 v11, a48
	v_accvgpr_read_b32 v12, a49
	v_accvgpr_read_b32 v13, a50
	v_accvgpr_read_b32 v14, a51
	v_cvt_f16_f32_e32 v11, v11
	v_cvt_f16_f32_e32 v12, v12
	v_cvt_f16_f32_e32 v13, v13
	v_cvt_f16_f32_e32 v14, v14
	v_cvt_f32_f16_e32 v11, v11
	v_cvt_f32_f16_e32 v15, v12
	v_cvt_f32_f16_e32 v19, v13
	v_cvt_f32_f16_e32 v14, v14
	v_perm_b32 v13, v73, v61, s0
	v_perm_b32 v12, v87, v79, s0
	v_accvgpr_write_b32 a48, v11
	v_accvgpr_write_b32 a49, v15
	v_accvgpr_write_b32 a50, v19
	v_accvgpr_write_b32 a51, v14
	v_cvt_f32_f16_e32 v14, v9
	v_cvt_f32_f16_sdwa v9, v9 dst_sel:DWORD dst_unused:UNUSED_PAD src0_sel:WORD_1
	v_mfma_f32_16x16x16_f16 a[48:51], v[12:13], v[2:3], a[48:51]
	v_cvt_f32_f16_e32 v12, v10
	v_cvt_f32_f16_sdwa v13, v10 dst_sel:DWORD dst_unused:UNUSED_PAD src0_sel:WORD_1
	v_perm_b32 v11, v43, v35, s0
	;; [unrolled: 32-line block ×4, first 2 shown]
	v_perm_b32 v6, v59, v51, s0
	v_accvgpr_write_b32 a60, v8
	v_accvgpr_write_b32 a61, v9
	;; [unrolled: 1-line block ×4, first 2 shown]
	s_nop 1
	v_mfma_f32_16x16x16_f16 a[60:63], v[6:7], v[0:1], a[60:63]
	s_nop 7
	v_accvgpr_read_b32 v0, a60
	v_cvt_f16_f32_e32 v0, v0
	v_accvgpr_read_b32 v1, a61
	v_accvgpr_read_b32 v5, a62
	;; [unrolled: 1-line block ×3, first 2 shown]
	v_cvt_f16_f32_e32 v1, v1
	v_cvt_f16_f32_e32 v5, v5
	;; [unrolled: 1-line block ×3, first 2 shown]
	v_cvt_f32_f16_e32 v7, v0
	v_cvt_f32_f16_e32 v8, v1
	v_cvt_f32_f16_e32 v5, v5
	v_cvt_f32_f16_e32 v6, v6
	v_perm_b32 v1, v27, v69, s0
	v_perm_b32 v0, v24, v82, s0
	v_accvgpr_write_b32 a60, v7
	ds_bpermute_b32 v7, v17, v4
	v_accvgpr_write_b32 a61, v8
	v_accvgpr_write_b32 a62, v5
	v_accvgpr_write_b32 a63, v6
	v_cmp_gt_u32_e64 s[0:1], 16, v64
	s_nop 0
	v_mfma_f32_16x16x16_f16 a[60:63], v[0:1], v[2:3], a[60:63]
	s_waitcnt lgkmcnt(0)
	v_add_f32_e32 v0, v4, v7
	ds_bpermute_b32 v1, v16, v0
	s_and_saveexec_b64 s[4:5], s[0:1]
	s_cbranch_execz .LBB29_318
; %bb.317:
	s_waitcnt lgkmcnt(0)
	v_add_f32_e32 v0, v0, v1
	v_or_b32_e32 v1, v68, v64
	s_movk_i32 s3, 0x210
	v_mad_i32_i24 v1, v1, s3, 0
	ds_write2_b32 v1, v18, v0 offset0:128 offset1:129
.LBB29_318:
	s_or_b64 exec, exec, s[4:5]
	v_and_b32_e32 v0, 1, v65
	v_cmp_eq_u32_e32 vcc, 0, v0
	v_cmp_eq_u32_e64 s[4:5], 1, v0
	s_waitcnt lgkmcnt(0)
	s_barrier
	s_and_saveexec_b64 s[6:7], s[4:5]
	s_xor_b64 s[4:5], exec, s[6:7]
	s_cbranch_execz .LBB29_320
; %bb.319:
	s_barrier
                                        ; implicit-def: $vgpr197
                                        ; implicit-def: $vgpr16
.LBB29_320:
	s_andn2_saveexec_b64 s[6:7], s[4:5]
	s_cbranch_execz .LBB29_326
; %bb.321:
	v_and_b32_e32 v0, 31, v64
	v_add_u32_e32 v1, v68, v0
	s_movk_i32 s3, 0x210
	v_mad_i32_i24 v0, v1, s3, 0
	ds_read_b64 v[4:5], v0 offset:512
	s_mov_b32 s3, 0x3fb8aa3b
	s_mov_b32 s8, 0x42b17218
	s_waitcnt lgkmcnt(0)
	s_barrier
	ds_bpermute_b32 v0, v16, v4
	v_max_f32_e32 v2, v4, v4
	s_waitcnt lgkmcnt(0)
	v_max_f32_e32 v0, v0, v0
	v_max_f32_e32 v0, v2, v0
	v_sub_f32_e32 v2, v4, v0
	v_mul_f32_e32 v3, 0x3fb8aa3b, v2
	v_fma_f32 v4, v2, s3, -v3
	v_rndne_f32_e32 v6, v3
	v_fmamk_f32 v4, v2, 0x32a5705f, v4
	v_sub_f32_e32 v3, v3, v6
	v_add_f32_e32 v3, v3, v4
	v_cvt_i32_f32_e32 v6, v6
	v_exp_f32_e32 v3, v3
	s_mov_b32 s3, 0xc2ce8ed0
	v_cmp_ngt_f32_e64 s[4:5], s3, v2
	v_mov_b32_e32 v4, 0x7f800000
	v_ldexp_f32 v3, v3, v6
	v_cndmask_b32_e64 v3, 0, v3, s[4:5]
	v_cmp_nlt_f32_e64 s[4:5], s8, v2
	s_nop 1
	v_cndmask_b32_e64 v2, v4, v3, s[4:5]
	v_mul_f32_e32 v3, v5, v2
	ds_bpermute_b32 v3, v16, v3
	v_cmp_gt_u32_e64 s[4:5], 32, v64
	s_waitcnt lgkmcnt(0)
	v_fmac_f32_e32 v3, v5, v2
	s_and_saveexec_b64 s[8:9], s[4:5]
; %bb.322:
	v_mul_i32_i24_e32 v1, 0x210, v1
	v_add_u32_e32 v1, 0, v1
	ds_write_b64 v1, v[2:3] offset:512
; %bb.323:
	s_or_b64 exec, exec, s[8:9]
	s_and_saveexec_b64 s[4:5], s[0:1]
	s_cbranch_execz .LBB29_325
; %bb.324:
	s_add_i32 s0, s33, s2
	s_lshl_b32 s0, s0, 5
	s_mov_b32 s1, 0
	s_lshl_b64 s[0:1], s[0:1], 3
	s_add_u32 s0, s30, s0
	v_or_b32_e32 v1, v197, v64
	s_addc_u32 s1, s31, s1
	v_lshlrev_b32_e32 v2, 3, v1
	v_mov_b32_e32 v1, v3
	global_store_dwordx2 v2, v[0:1], s[0:1]
.LBB29_325:
	s_or_b64 exec, exec, s[4:5]
.LBB29_326:
	s_or_b64 exec, exec, s[6:7]
	v_accvgpr_read_b32 v0, a60
	v_accvgpr_read_b32 v1, a61
	;; [unrolled: 1-line block ×3, first 2 shown]
	v_cvt_pk_f16_f32 v0, v0, v1
	v_or_b32_e32 v1, v68, v66
	v_accvgpr_read_b32 v62, a2
	v_accvgpr_read_b32 v61, a1
	;; [unrolled: 1-line block ×17, first 2 shown]
	v_mul_i32_i24_e32 v1, 0x210, v1
	v_accvgpr_read_b32 v58, a6
	v_accvgpr_read_b32 v57, a5
	;; [unrolled: 1-line block ×44, first 2 shown]
	v_cvt_pk_f16_f32 v62, v62, v63
	v_cvt_pk_f16_f32 v60, v60, v61
	s_mov_b32 s3, 0
	s_movk_i32 s4, 0x210
	v_add3_u32 v1, 0, v67, v1
	v_cvt_pk_f16_f32 v58, v58, v59
	v_cvt_pk_f16_f32 v56, v56, v57
	;; [unrolled: 1-line block ×29, first 2 shown]
	ds_write2_b32 v1, v60, v62 offset1:1
	ds_write2_b32 v1, v56, v58 offset0:8 offset1:9
	ds_write2_b32 v1, v52, v54 offset0:16 offset1:17
	;; [unrolled: 1-line block ×15, first 2 shown]
	s_waitcnt lgkmcnt(0)
	s_barrier
	s_and_saveexec_b64 s[0:1], vcc
	s_cbranch_execz .LBB29_328
; %bb.327:
	s_lshl_b32 s2, s2, 12
	s_lshl_b64 s[6:7], s[2:3], 3
	s_add_u32 s5, s30, s6
	s_addc_u32 s6, s31, s7
	s_lshl_b32 s2, s33, 6
	s_lshl_b64 s[2:3], s[2:3], 3
	s_add_u32 s2, s5, s2
	v_bfe_u32 v14, v65, 1, 4
	s_movk_i32 s5, 0x3e0
	v_and_or_b32 v1, v65, s5, v14
	v_mad_u32_u24 v6, v1, s4, 0
	v_lshlrev_b32_e32 v1, 2, v64
	v_add_u32_e32 v4, v6, v1
	ds_read2st64_b32 v[2:3], v4 offset1:1
	ds_read2st64_b32 v[4:5], v4 offset0:33 offset1:34
	ds_read2st64_b32 v[6:7], v6 offset0:2 offset1:35
	v_lshrrev_b32_e32 v0, 1, v65
	v_lshlrev_b32_e32 v12, 6, v65
	s_waitcnt lgkmcnt(2)
	v_cvt_f32_f16_e32 v8, v2
	v_cvt_f32_f16_sdwa v9, v2 dst_sel:DWORD dst_unused:UNUSED_PAD src0_sel:WORD_1
	s_waitcnt lgkmcnt(1)
	v_cvt_f32_f16_e32 v10, v4
	v_cvt_f32_f16_sdwa v11, v4 dst_sel:DWORD dst_unused:UNUSED_PAD src0_sel:WORD_1
	s_waitcnt lgkmcnt(0)
	v_mov_b32_e32 v2, v7
	v_pk_fma_f32 v[8:9], v[6:7], v[8:9], 0 op_sel_hi:[0,1,0]
	s_addc_u32 s3, s6, s3
	v_add_lshl_u32 v12, v64, v12, 3
	v_pk_fma_f32 v[8:9], v[2:3], v[10:11], v[8:9] op_sel_hi:[0,1,1]
	v_add_u32_e32 v13, 2, v0
	global_store_dwordx2 v12, v[8:9], s[2:3]
	v_cvt_f32_f16_e32 v8, v3
	v_cvt_f32_f16_sdwa v9, v3 dst_sel:DWORD dst_unused:UNUSED_PAD src0_sel:WORD_1
	v_lshlrev_b32_e32 v3, 1, v13
	v_and_b32_e32 v7, 15, v13
	s_movk_i32 s5, 0x7e0
	v_and_or_b32 v3, v3, s5, v7
	v_mad_u32_u24 v15, v3, s4, 0
	v_add_u32_e32 v16, v15, v1
	v_cvt_f32_f16_e32 v4, v5
	v_cvt_f32_f16_sdwa v5, v5 dst_sel:DWORD dst_unused:UNUSED_PAD src0_sel:WORD_1
	ds_read2st64_b32 v[10:11], v16 offset1:1
	v_pk_fma_f32 v[6:7], v[6:7], v[8:9], 0 op_sel_hi:[0,1,0]
	v_pk_fma_f32 v[2:3], v[2:3], v[4:5], v[6:7] op_sel_hi:[0,1,1]
	ds_read2st64_b32 v[4:5], v15 offset0:2 offset1:35
	ds_read2st64_b32 v[6:7], v16 offset0:33 offset1:34
	s_waitcnt lgkmcnt(2)
	v_cvt_f32_f16_e32 v8, v10
	v_cvt_f32_f16_sdwa v9, v10 dst_sel:DWORD dst_unused:UNUSED_PAD src0_sel:WORD_1
	global_store_dwordx2 v12, v[2:3], s[2:3] offset:512
	v_lshlrev_b32_e32 v2, 7, v13
	v_add_lshl_u32 v15, v64, v2, 3
	s_waitcnt lgkmcnt(1)
	v_pk_fma_f32 v[2:3], v[4:5], v[8:9], 0 op_sel_hi:[0,1,0]
	s_waitcnt lgkmcnt(0)
	v_cvt_f32_f16_e32 v8, v6
	v_cvt_f32_f16_sdwa v9, v6 dst_sel:DWORD dst_unused:UNUSED_PAD src0_sel:WORD_1
	v_cvt_f32_f16_e32 v10, v11
	v_cvt_f32_f16_sdwa v11, v11 dst_sel:DWORD dst_unused:UNUSED_PAD src0_sel:WORD_1
	v_cvt_f32_f16_e32 v12, v7
	v_cvt_f32_f16_sdwa v13, v7 dst_sel:DWORD dst_unused:UNUSED_PAD src0_sel:WORD_1
	v_mov_b32_e32 v6, v5
	v_pk_fma_f32 v[2:3], v[6:7], v[8:9], v[2:3] op_sel_hi:[0,1,1]
	global_store_dwordx2 v15, v[2:3], s[2:3]
	v_pk_fma_f32 v[2:3], v[4:5], v[10:11], 0 op_sel_hi:[0,1,0]
	v_pk_fma_f32 v[2:3], v[6:7], v[12:13], v[2:3] op_sel_hi:[0,1,1]
	v_add_u32_e32 v6, 4, v0
	v_lshlrev_b32_e32 v4, 1, v6
	v_and_b32_e32 v5, 15, v6
	v_and_or_b32 v4, v4, s5, v5
	v_mad_u32_u24 v7, v4, s4, 0
	v_add_u32_e32 v8, v7, v1
	ds_read2st64_b32 v[4:5], v8 offset1:1
	global_store_dwordx2 v15, v[2:3], s[2:3] offset:512
	ds_read2st64_b32 v[2:3], v8 offset0:33 offset1:34
	v_lshlrev_b32_e32 v12, 7, v6
	ds_read2st64_b32 v[6:7], v7 offset0:2 offset1:35
	s_waitcnt lgkmcnt(2)
	v_cvt_f32_f16_e32 v8, v4
	v_cvt_f32_f16_sdwa v9, v4 dst_sel:DWORD dst_unused:UNUSED_PAD src0_sel:WORD_1
	s_waitcnt lgkmcnt(1)
	v_cvt_f32_f16_e32 v10, v2
	v_cvt_f32_f16_sdwa v11, v2 dst_sel:DWORD dst_unused:UNUSED_PAD src0_sel:WORD_1
	s_waitcnt lgkmcnt(0)
	v_mov_b32_e32 v2, v7
	v_pk_fma_f32 v[8:9], v[6:7], v[8:9], 0 op_sel_hi:[0,1,0]
	v_add_lshl_u32 v12, v64, v12, 3
	v_pk_fma_f32 v[8:9], v[2:3], v[10:11], v[8:9] op_sel_hi:[0,1,1]
	v_add_u32_e32 v13, 6, v0
	global_store_dwordx2 v12, v[8:9], s[2:3]
	v_cvt_f32_f16_e32 v8, v3
	v_cvt_f32_f16_sdwa v9, v3 dst_sel:DWORD dst_unused:UNUSED_PAD src0_sel:WORD_1
	v_lshlrev_b32_e32 v3, 1, v13
	v_and_b32_e32 v7, 15, v13
	v_and_or_b32 v3, v3, s5, v7
	v_mad_u32_u24 v7, v3, s4, 0
	v_cvt_f32_f16_e32 v4, v5
	v_cvt_f32_f16_sdwa v5, v5 dst_sel:DWORD dst_unused:UNUSED_PAD src0_sel:WORD_1
	v_add_u32_e32 v15, v7, v1
	ds_read2st64_b32 v[10:11], v15 offset1:1
	v_pk_fma_f32 v[4:5], v[6:7], v[4:5], 0 op_sel_hi:[0,1,0]
	v_pk_fma_f32 v[2:3], v[2:3], v[8:9], v[4:5] op_sel_hi:[0,1,1]
	ds_read2st64_b32 v[4:5], v7 offset0:2 offset1:35
	ds_read2st64_b32 v[6:7], v15 offset0:33 offset1:34
	s_waitcnt lgkmcnt(2)
	v_cvt_f32_f16_e32 v8, v10
	v_cvt_f32_f16_sdwa v9, v10 dst_sel:DWORD dst_unused:UNUSED_PAD src0_sel:WORD_1
	global_store_dwordx2 v12, v[2:3], s[2:3] offset:512
	v_lshlrev_b32_e32 v2, 7, v13
	v_add_lshl_u32 v15, v64, v2, 3
	s_waitcnt lgkmcnt(1)
	v_pk_fma_f32 v[2:3], v[4:5], v[8:9], 0 op_sel_hi:[0,1,0]
	s_waitcnt lgkmcnt(0)
	v_cvt_f32_f16_e32 v8, v6
	v_cvt_f32_f16_sdwa v9, v6 dst_sel:DWORD dst_unused:UNUSED_PAD src0_sel:WORD_1
	v_cvt_f32_f16_e32 v10, v11
	v_cvt_f32_f16_sdwa v11, v11 dst_sel:DWORD dst_unused:UNUSED_PAD src0_sel:WORD_1
	v_cvt_f32_f16_e32 v12, v7
	v_cvt_f32_f16_sdwa v13, v7 dst_sel:DWORD dst_unused:UNUSED_PAD src0_sel:WORD_1
	v_mov_b32_e32 v6, v5
	v_pk_fma_f32 v[2:3], v[6:7], v[8:9], v[2:3] op_sel_hi:[0,1,1]
	global_store_dwordx2 v15, v[2:3], s[2:3]
	v_pk_fma_f32 v[2:3], v[4:5], v[10:11], 0 op_sel_hi:[0,1,0]
	v_pk_fma_f32 v[2:3], v[6:7], v[12:13], v[2:3] op_sel_hi:[0,1,1]
	v_add_u32_e32 v6, 8, v0
	v_lshlrev_b32_e32 v4, 1, v6
	v_and_b32_e32 v5, 15, v6
	v_and_or_b32 v4, v4, s5, v5
	v_mad_u32_u24 v7, v4, s4, 0
	v_add_u32_e32 v8, v7, v1
	ds_read2st64_b32 v[4:5], v8 offset1:1
	global_store_dwordx2 v15, v[2:3], s[2:3] offset:512
	ds_read2st64_b32 v[2:3], v8 offset0:33 offset1:34
	v_lshlrev_b32_e32 v12, 7, v6
	ds_read2st64_b32 v[6:7], v7 offset0:2 offset1:35
	s_waitcnt lgkmcnt(2)
	v_cvt_f32_f16_e32 v8, v4
	v_cvt_f32_f16_sdwa v9, v4 dst_sel:DWORD dst_unused:UNUSED_PAD src0_sel:WORD_1
	s_waitcnt lgkmcnt(1)
	v_cvt_f32_f16_e32 v10, v2
	v_cvt_f32_f16_sdwa v11, v2 dst_sel:DWORD dst_unused:UNUSED_PAD src0_sel:WORD_1
	s_waitcnt lgkmcnt(0)
	v_mov_b32_e32 v2, v7
	v_pk_fma_f32 v[8:9], v[6:7], v[8:9], 0 op_sel_hi:[0,1,0]
	v_add_lshl_u32 v12, v64, v12, 3
	v_pk_fma_f32 v[8:9], v[2:3], v[10:11], v[8:9] op_sel_hi:[0,1,1]
	v_add_u32_e32 v13, 10, v0
	global_store_dwordx2 v12, v[8:9], s[2:3]
	v_cvt_f32_f16_e32 v8, v3
	v_cvt_f32_f16_sdwa v9, v3 dst_sel:DWORD dst_unused:UNUSED_PAD src0_sel:WORD_1
	v_lshlrev_b32_e32 v3, 1, v13
	v_and_b32_e32 v7, 15, v13
	v_and_or_b32 v3, v3, s5, v7
	v_mad_u32_u24 v7, v3, s4, 0
	v_cvt_f32_f16_e32 v4, v5
	v_cvt_f32_f16_sdwa v5, v5 dst_sel:DWORD dst_unused:UNUSED_PAD src0_sel:WORD_1
	v_add_u32_e32 v15, v7, v1
	;; [unrolled: 58-line block ×3, first 2 shown]
	ds_read2st64_b32 v[10:11], v15 offset1:1
	v_pk_fma_f32 v[4:5], v[6:7], v[4:5], 0 op_sel_hi:[0,1,0]
	v_pk_fma_f32 v[2:3], v[2:3], v[8:9], v[4:5] op_sel_hi:[0,1,1]
	ds_read2st64_b32 v[4:5], v7 offset0:2 offset1:35
	ds_read2st64_b32 v[6:7], v15 offset0:33 offset1:34
	s_waitcnt lgkmcnt(2)
	v_cvt_f32_f16_e32 v8, v10
	v_cvt_f32_f16_sdwa v9, v10 dst_sel:DWORD dst_unused:UNUSED_PAD src0_sel:WORD_1
	global_store_dwordx2 v12, v[2:3], s[2:3] offset:512
	v_lshlrev_b32_e32 v2, 7, v13
	v_add_lshl_u32 v15, v64, v2, 3
	s_waitcnt lgkmcnt(1)
	v_pk_fma_f32 v[2:3], v[4:5], v[8:9], 0 op_sel_hi:[0,1,0]
	s_waitcnt lgkmcnt(0)
	v_cvt_f32_f16_e32 v8, v6
	v_cvt_f32_f16_sdwa v9, v6 dst_sel:DWORD dst_unused:UNUSED_PAD src0_sel:WORD_1
	v_cvt_f32_f16_e32 v10, v11
	v_cvt_f32_f16_sdwa v11, v11 dst_sel:DWORD dst_unused:UNUSED_PAD src0_sel:WORD_1
	;; [unrolled: 2-line block ×3, first 2 shown]
	v_mov_b32_e32 v6, v5
	v_pk_fma_f32 v[2:3], v[6:7], v[8:9], v[2:3] op_sel_hi:[0,1,1]
	global_store_dwordx2 v15, v[2:3], s[2:3]
	v_pk_fma_f32 v[2:3], v[4:5], v[10:11], 0 op_sel_hi:[0,1,0]
	v_pk_fma_f32 v[2:3], v[6:7], v[12:13], v[2:3] op_sel_hi:[0,1,1]
	v_add_u32_e32 v6, 16, v0
	v_lshlrev_b32_e32 v4, 1, v6
	v_and_or_b32 v4, v4, s5, v14
	v_mad_u32_u24 v7, v4, s4, 0
	v_add_u32_e32 v8, v7, v1
	ds_read2st64_b32 v[4:5], v8 offset1:1
	global_store_dwordx2 v15, v[2:3], s[2:3] offset:512
	ds_read2st64_b32 v[2:3], v8 offset0:33 offset1:34
	v_lshlrev_b32_e32 v12, 7, v6
	ds_read2st64_b32 v[6:7], v7 offset0:2 offset1:35
	s_waitcnt lgkmcnt(2)
	v_cvt_f32_f16_e32 v8, v4
	v_cvt_f32_f16_sdwa v9, v4 dst_sel:DWORD dst_unused:UNUSED_PAD src0_sel:WORD_1
	s_waitcnt lgkmcnt(1)
	v_cvt_f32_f16_e32 v10, v2
	v_cvt_f32_f16_sdwa v11, v2 dst_sel:DWORD dst_unused:UNUSED_PAD src0_sel:WORD_1
	s_waitcnt lgkmcnt(0)
	v_mov_b32_e32 v2, v7
	v_pk_fma_f32 v[8:9], v[6:7], v[8:9], 0 op_sel_hi:[0,1,0]
	v_add_lshl_u32 v12, v64, v12, 3
	v_pk_fma_f32 v[8:9], v[2:3], v[10:11], v[8:9] op_sel_hi:[0,1,1]
	v_add_u32_e32 v13, 18, v0
	global_store_dwordx2 v12, v[8:9], s[2:3]
	v_cvt_f32_f16_e32 v8, v3
	v_cvt_f32_f16_sdwa v9, v3 dst_sel:DWORD dst_unused:UNUSED_PAD src0_sel:WORD_1
	v_lshlrev_b32_e32 v3, 1, v13
	v_and_b32_e32 v7, 15, v13
	v_and_or_b32 v3, v3, s5, v7
	v_mad_u32_u24 v7, v3, s4, 0
	v_cvt_f32_f16_e32 v4, v5
	v_cvt_f32_f16_sdwa v5, v5 dst_sel:DWORD dst_unused:UNUSED_PAD src0_sel:WORD_1
	v_add_u32_e32 v14, v7, v1
	ds_read2st64_b32 v[10:11], v14 offset1:1
	v_pk_fma_f32 v[4:5], v[6:7], v[4:5], 0 op_sel_hi:[0,1,0]
	v_pk_fma_f32 v[2:3], v[2:3], v[8:9], v[4:5] op_sel_hi:[0,1,1]
	ds_read2st64_b32 v[4:5], v7 offset0:2 offset1:35
	ds_read2st64_b32 v[6:7], v14 offset0:33 offset1:34
	s_waitcnt lgkmcnt(2)
	v_cvt_f32_f16_e32 v8, v10
	v_cvt_f32_f16_sdwa v9, v10 dst_sel:DWORD dst_unused:UNUSED_PAD src0_sel:WORD_1
	global_store_dwordx2 v12, v[2:3], s[2:3] offset:512
	v_lshlrev_b32_e32 v2, 7, v13
	v_add_lshl_u32 v14, v64, v2, 3
	s_waitcnt lgkmcnt(1)
	v_pk_fma_f32 v[2:3], v[4:5], v[8:9], 0 op_sel_hi:[0,1,0]
	s_waitcnt lgkmcnt(0)
	v_cvt_f32_f16_e32 v8, v6
	v_cvt_f32_f16_sdwa v9, v6 dst_sel:DWORD dst_unused:UNUSED_PAD src0_sel:WORD_1
	v_cvt_f32_f16_e32 v10, v11
	v_cvt_f32_f16_sdwa v11, v11 dst_sel:DWORD dst_unused:UNUSED_PAD src0_sel:WORD_1
	v_cvt_f32_f16_e32 v12, v7
	v_cvt_f32_f16_sdwa v13, v7 dst_sel:DWORD dst_unused:UNUSED_PAD src0_sel:WORD_1
	v_mov_b32_e32 v6, v5
	v_pk_fma_f32 v[2:3], v[6:7], v[8:9], v[2:3] op_sel_hi:[0,1,1]
	global_store_dwordx2 v14, v[2:3], s[2:3]
	v_pk_fma_f32 v[2:3], v[4:5], v[10:11], 0 op_sel_hi:[0,1,0]
	v_pk_fma_f32 v[2:3], v[6:7], v[12:13], v[2:3] op_sel_hi:[0,1,1]
	v_add_u32_e32 v6, 20, v0
	v_lshlrev_b32_e32 v4, 1, v6
	v_and_b32_e32 v5, 15, v6
	v_and_or_b32 v4, v4, s5, v5
	v_mad_u32_u24 v7, v4, s4, 0
	v_add_u32_e32 v8, v7, v1
	ds_read2st64_b32 v[4:5], v8 offset1:1
	global_store_dwordx2 v14, v[2:3], s[2:3] offset:512
	ds_read2st64_b32 v[2:3], v8 offset0:33 offset1:34
	v_lshlrev_b32_e32 v12, 7, v6
	ds_read2st64_b32 v[6:7], v7 offset0:2 offset1:35
	s_waitcnt lgkmcnt(2)
	v_cvt_f32_f16_e32 v8, v4
	v_cvt_f32_f16_sdwa v9, v4 dst_sel:DWORD dst_unused:UNUSED_PAD src0_sel:WORD_1
	s_waitcnt lgkmcnt(1)
	v_cvt_f32_f16_e32 v10, v2
	v_cvt_f32_f16_sdwa v11, v2 dst_sel:DWORD dst_unused:UNUSED_PAD src0_sel:WORD_1
	s_waitcnt lgkmcnt(0)
	v_mov_b32_e32 v2, v7
	v_pk_fma_f32 v[8:9], v[6:7], v[8:9], 0 op_sel_hi:[0,1,0]
	v_add_lshl_u32 v12, v64, v12, 3
	v_pk_fma_f32 v[8:9], v[2:3], v[10:11], v[8:9] op_sel_hi:[0,1,1]
	v_add_u32_e32 v13, 22, v0
	global_store_dwordx2 v12, v[8:9], s[2:3]
	v_cvt_f32_f16_e32 v8, v3
	v_cvt_f32_f16_sdwa v9, v3 dst_sel:DWORD dst_unused:UNUSED_PAD src0_sel:WORD_1
	v_lshlrev_b32_e32 v3, 1, v13
	v_and_b32_e32 v7, 15, v13
	v_and_or_b32 v3, v3, s5, v7
	v_mad_u32_u24 v7, v3, s4, 0
	v_cvt_f32_f16_e32 v4, v5
	v_cvt_f32_f16_sdwa v5, v5 dst_sel:DWORD dst_unused:UNUSED_PAD src0_sel:WORD_1
	v_add_u32_e32 v14, v7, v1
	ds_read2st64_b32 v[10:11], v14 offset1:1
	v_pk_fma_f32 v[4:5], v[6:7], v[4:5], 0 op_sel_hi:[0,1,0]
	v_pk_fma_f32 v[2:3], v[2:3], v[8:9], v[4:5] op_sel_hi:[0,1,1]
	ds_read2st64_b32 v[4:5], v7 offset0:2 offset1:35
	ds_read2st64_b32 v[6:7], v14 offset0:33 offset1:34
	s_waitcnt lgkmcnt(2)
	v_cvt_f32_f16_e32 v8, v10
	v_cvt_f32_f16_sdwa v9, v10 dst_sel:DWORD dst_unused:UNUSED_PAD src0_sel:WORD_1
	global_store_dwordx2 v12, v[2:3], s[2:3] offset:512
	v_lshlrev_b32_e32 v2, 7, v13
	v_add_lshl_u32 v14, v64, v2, 3
	s_waitcnt lgkmcnt(1)
	v_pk_fma_f32 v[2:3], v[4:5], v[8:9], 0 op_sel_hi:[0,1,0]
	s_waitcnt lgkmcnt(0)
	v_cvt_f32_f16_e32 v8, v6
	v_cvt_f32_f16_sdwa v9, v6 dst_sel:DWORD dst_unused:UNUSED_PAD src0_sel:WORD_1
	v_cvt_f32_f16_e32 v10, v11
	v_cvt_f32_f16_sdwa v11, v11 dst_sel:DWORD dst_unused:UNUSED_PAD src0_sel:WORD_1
	v_cvt_f32_f16_e32 v12, v7
	v_cvt_f32_f16_sdwa v13, v7 dst_sel:DWORD dst_unused:UNUSED_PAD src0_sel:WORD_1
	v_mov_b32_e32 v6, v5
	v_pk_fma_f32 v[2:3], v[6:7], v[8:9], v[2:3] op_sel_hi:[0,1,1]
	global_store_dwordx2 v14, v[2:3], s[2:3]
	v_pk_fma_f32 v[2:3], v[4:5], v[10:11], 0 op_sel_hi:[0,1,0]
	v_pk_fma_f32 v[2:3], v[6:7], v[12:13], v[2:3] op_sel_hi:[0,1,1]
	v_add_u32_e32 v6, 24, v0
	v_lshlrev_b32_e32 v4, 1, v6
	v_and_b32_e32 v5, 15, v6
	;; [unrolled: 58-line block ×3, first 2 shown]
	v_and_or_b32 v4, v4, s5, v5
	v_mad_u32_u24 v7, v4, s4, 0
	v_add_u32_e32 v8, v7, v1
	ds_read2st64_b32 v[4:5], v8 offset1:1
	global_store_dwordx2 v14, v[2:3], s[2:3] offset:512
	ds_read2st64_b32 v[2:3], v8 offset0:33 offset1:34
	v_lshlrev_b32_e32 v12, 7, v6
	ds_read2st64_b32 v[6:7], v7 offset0:2 offset1:35
	s_waitcnt lgkmcnt(2)
	v_cvt_f32_f16_e32 v8, v4
	v_cvt_f32_f16_sdwa v9, v4 dst_sel:DWORD dst_unused:UNUSED_PAD src0_sel:WORD_1
	s_waitcnt lgkmcnt(1)
	v_cvt_f32_f16_e32 v10, v2
	v_cvt_f32_f16_sdwa v11, v2 dst_sel:DWORD dst_unused:UNUSED_PAD src0_sel:WORD_1
	s_waitcnt lgkmcnt(0)
	v_mov_b32_e32 v2, v7
	v_pk_fma_f32 v[8:9], v[6:7], v[8:9], 0 op_sel_hi:[0,1,0]
	v_add_lshl_u32 v12, v64, v12, 3
	v_pk_fma_f32 v[8:9], v[2:3], v[10:11], v[8:9] op_sel_hi:[0,1,1]
	v_add_u32_e32 v10, 30, v0
	global_store_dwordx2 v12, v[8:9], s[2:3]
	v_cvt_f32_f16_e32 v8, v3
	v_cvt_f32_f16_sdwa v9, v3 dst_sel:DWORD dst_unused:UNUSED_PAD src0_sel:WORD_1
	v_lshlrev_b32_e32 v0, 1, v10
	v_and_b32_e32 v3, 15, v10
	v_and_or_b32 v0, v0, s5, v3
	v_mad_u32_u24 v7, v0, s4, 0
	v_cvt_f32_f16_e32 v4, v5
	v_cvt_f32_f16_sdwa v5, v5 dst_sel:DWORD dst_unused:UNUSED_PAD src0_sel:WORD_1
	v_add_u32_e32 v11, v7, v1
	ds_read2st64_b32 v[0:1], v11 offset1:1
	v_pk_fma_f32 v[4:5], v[6:7], v[4:5], 0 op_sel_hi:[0,1,0]
	v_pk_fma_f32 v[2:3], v[2:3], v[8:9], v[4:5] op_sel_hi:[0,1,1]
	ds_read2st64_b32 v[4:5], v7 offset0:2 offset1:35
	ds_read2st64_b32 v[6:7], v11 offset0:33 offset1:34
	s_waitcnt lgkmcnt(2)
	v_cvt_f32_f16_e32 v8, v0
	v_cvt_f32_f16_sdwa v9, v0 dst_sel:DWORD dst_unused:UNUSED_PAD src0_sel:WORD_1
	global_store_dwordx2 v12, v[2:3], s[2:3] offset:512
	v_lshlrev_b32_e32 v0, 7, v10
	v_cvt_f32_f16_e32 v10, v1
	s_waitcnt lgkmcnt(1)
	v_pk_fma_f32 v[2:3], v[4:5], v[8:9], 0 op_sel_hi:[0,1,0]
	s_waitcnt lgkmcnt(0)
	v_cvt_f32_f16_e32 v8, v6
	v_cvt_f32_f16_sdwa v9, v6 dst_sel:DWORD dst_unused:UNUSED_PAD src0_sel:WORD_1
	v_cvt_f32_f16_sdwa v11, v1 dst_sel:DWORD dst_unused:UNUSED_PAD src0_sel:WORD_1
	v_cvt_f32_f16_e32 v6, v7
	v_cvt_f32_f16_sdwa v7, v7 dst_sel:DWORD dst_unused:UNUSED_PAD src0_sel:WORD_1
	v_add_lshl_u32 v12, v64, v0, 3
	v_mov_b32_e32 v0, v5
	v_pk_fma_f32 v[2:3], v[0:1], v[8:9], v[2:3] op_sel_hi:[0,1,1]
	global_store_dwordx2 v12, v[2:3], s[2:3]
	v_pk_fma_f32 v[2:3], v[4:5], v[10:11], 0 op_sel_hi:[0,1,0]
	v_pk_fma_f32 v[0:1], v[0:1], v[6:7], v[2:3] op_sel_hi:[0,1,1]
	global_store_dwordx2 v12, v[0:1], s[2:3] offset:512
.LBB29_328:
	s_or_b64 exec, exec, s[0:1]
	s_barrier
	s_endpgm
	.section	.rodata,"a",@progbits
	.p2align	6, 0x0
	.amdhsa_kernel _ZL18flash_attn_ext_f16ILi256ELi256ELi8ELi4ELb0ELb0EEvPKcS1_S1_S1_S1_PKiPfP15HIP_vector_typeIfLj2EEffffjfiS5_IjLj3EEiiiiiiiiiiiliiliiiiil
		.amdhsa_group_segment_fixed_size 0
		.amdhsa_private_segment_fixed_size 0
		.amdhsa_kernarg_size 464
		.amdhsa_user_sgpr_count 2
		.amdhsa_user_sgpr_dispatch_ptr 0
		.amdhsa_user_sgpr_queue_ptr 0
		.amdhsa_user_sgpr_kernarg_segment_ptr 1
		.amdhsa_user_sgpr_dispatch_id 0
		.amdhsa_user_sgpr_kernarg_preload_length 0
		.amdhsa_user_sgpr_kernarg_preload_offset 0
		.amdhsa_user_sgpr_private_segment_size 0
		.amdhsa_uses_dynamic_stack 0
		.amdhsa_enable_private_segment 0
		.amdhsa_system_sgpr_workgroup_id_x 1
		.amdhsa_system_sgpr_workgroup_id_y 0
		.amdhsa_system_sgpr_workgroup_id_z 0
		.amdhsa_system_sgpr_workgroup_info 0
		.amdhsa_system_vgpr_workitem_id 1
		.amdhsa_next_free_vgpr 362
		.amdhsa_next_free_sgpr 93
		.amdhsa_accum_offset 256
		.amdhsa_reserve_vcc 1
		.amdhsa_float_round_mode_32 0
		.amdhsa_float_round_mode_16_64 0
		.amdhsa_float_denorm_mode_32 3
		.amdhsa_float_denorm_mode_16_64 3
		.amdhsa_dx10_clamp 1
		.amdhsa_ieee_mode 1
		.amdhsa_fp16_overflow 0
		.amdhsa_tg_split 0
		.amdhsa_exception_fp_ieee_invalid_op 0
		.amdhsa_exception_fp_denorm_src 0
		.amdhsa_exception_fp_ieee_div_zero 0
		.amdhsa_exception_fp_ieee_overflow 0
		.amdhsa_exception_fp_ieee_underflow 0
		.amdhsa_exception_fp_ieee_inexact 0
		.amdhsa_exception_int_div_zero 0
	.end_amdhsa_kernel
	.section	.text._ZL18flash_attn_ext_f16ILi256ELi256ELi8ELi4ELb0ELb0EEvPKcS1_S1_S1_S1_PKiPfP15HIP_vector_typeIfLj2EEffffjfiS5_IjLj3EEiiiiiiiiiiiliiliiiiil,"axG",@progbits,_ZL18flash_attn_ext_f16ILi256ELi256ELi8ELi4ELb0ELb0EEvPKcS1_S1_S1_S1_PKiPfP15HIP_vector_typeIfLj2EEffffjfiS5_IjLj3EEiiiiiiiiiiiliiliiiiil,comdat
.Lfunc_end29:
	.size	_ZL18flash_attn_ext_f16ILi256ELi256ELi8ELi4ELb0ELb0EEvPKcS1_S1_S1_S1_PKiPfP15HIP_vector_typeIfLj2EEffffjfiS5_IjLj3EEiiiiiiiiiiiliiliiiiil, .Lfunc_end29-_ZL18flash_attn_ext_f16ILi256ELi256ELi8ELi4ELb0ELb0EEvPKcS1_S1_S1_S1_PKiPfP15HIP_vector_typeIfLj2EEffffjfiS5_IjLj3EEiiiiiiiiiiiliiliiiiil
                                        ; -- End function
	.set _ZL18flash_attn_ext_f16ILi256ELi256ELi8ELi4ELb0ELb0EEvPKcS1_S1_S1_S1_PKiPfP15HIP_vector_typeIfLj2EEffffjfiS5_IjLj3EEiiiiiiiiiiiliiliiiiil.num_vgpr, 256
	.set _ZL18flash_attn_ext_f16ILi256ELi256ELi8ELi4ELb0ELb0EEvPKcS1_S1_S1_S1_PKiPfP15HIP_vector_typeIfLj2EEffffjfiS5_IjLj3EEiiiiiiiiiiiliiliiiiil.num_agpr, 106
	.set _ZL18flash_attn_ext_f16ILi256ELi256ELi8ELi4ELb0ELb0EEvPKcS1_S1_S1_S1_PKiPfP15HIP_vector_typeIfLj2EEffffjfiS5_IjLj3EEiiiiiiiiiiiliiliiiiil.numbered_sgpr, 93
	.set _ZL18flash_attn_ext_f16ILi256ELi256ELi8ELi4ELb0ELb0EEvPKcS1_S1_S1_S1_PKiPfP15HIP_vector_typeIfLj2EEffffjfiS5_IjLj3EEiiiiiiiiiiiliiliiiiil.num_named_barrier, 0
	.set _ZL18flash_attn_ext_f16ILi256ELi256ELi8ELi4ELb0ELb0EEvPKcS1_S1_S1_S1_PKiPfP15HIP_vector_typeIfLj2EEffffjfiS5_IjLj3EEiiiiiiiiiiiliiliiiiil.private_seg_size, 0
	.set _ZL18flash_attn_ext_f16ILi256ELi256ELi8ELi4ELb0ELb0EEvPKcS1_S1_S1_S1_PKiPfP15HIP_vector_typeIfLj2EEffffjfiS5_IjLj3EEiiiiiiiiiiiliiliiiiil.uses_vcc, 1
	.set _ZL18flash_attn_ext_f16ILi256ELi256ELi8ELi4ELb0ELb0EEvPKcS1_S1_S1_S1_PKiPfP15HIP_vector_typeIfLj2EEffffjfiS5_IjLj3EEiiiiiiiiiiiliiliiiiil.uses_flat_scratch, 0
	.set _ZL18flash_attn_ext_f16ILi256ELi256ELi8ELi4ELb0ELb0EEvPKcS1_S1_S1_S1_PKiPfP15HIP_vector_typeIfLj2EEffffjfiS5_IjLj3EEiiiiiiiiiiiliiliiiiil.has_dyn_sized_stack, 0
	.set _ZL18flash_attn_ext_f16ILi256ELi256ELi8ELi4ELb0ELb0EEvPKcS1_S1_S1_S1_PKiPfP15HIP_vector_typeIfLj2EEffffjfiS5_IjLj3EEiiiiiiiiiiiliiliiiiil.has_recursion, 0
	.set _ZL18flash_attn_ext_f16ILi256ELi256ELi8ELi4ELb0ELb0EEvPKcS1_S1_S1_S1_PKiPfP15HIP_vector_typeIfLj2EEffffjfiS5_IjLj3EEiiiiiiiiiiiliiliiiiil.has_indirect_call, 0
	.section	.AMDGPU.csdata,"",@progbits
; Kernel info:
; codeLenInByte = 79328
; TotalNumSgprs: 99
; NumVgprs: 256
; NumAgprs: 106
; TotalNumVgprs: 362
; ScratchSize: 0
; MemoryBound: 0
; FloatMode: 240
; IeeeMode: 1
; LDSByteSize: 0 bytes/workgroup (compile time only)
; SGPRBlocks: 12
; VGPRBlocks: 45
; NumSGPRsForWavesPerEU: 99
; NumVGPRsForWavesPerEU: 362
; AccumOffset: 256
; Occupancy: 1
; WaveLimiterHint : 1
; COMPUTE_PGM_RSRC2:SCRATCH_EN: 0
; COMPUTE_PGM_RSRC2:USER_SGPR: 2
; COMPUTE_PGM_RSRC2:TRAP_HANDLER: 0
; COMPUTE_PGM_RSRC2:TGID_X_EN: 1
; COMPUTE_PGM_RSRC2:TGID_Y_EN: 0
; COMPUTE_PGM_RSRC2:TGID_Z_EN: 0
; COMPUTE_PGM_RSRC2:TIDIG_COMP_CNT: 1
; COMPUTE_PGM_RSRC3_GFX90A:ACCUM_OFFSET: 63
; COMPUTE_PGM_RSRC3_GFX90A:TG_SPLIT: 0
	.section	.text._ZL18flash_attn_ext_f16ILi256ELi256ELi8ELi4ELb1ELb0EEvPKcS1_S1_S1_S1_PKiPfP15HIP_vector_typeIfLj2EEffffjfiS5_IjLj3EEiiiiiiiiiiiliiliiiiil,"axG",@progbits,_ZL18flash_attn_ext_f16ILi256ELi256ELi8ELi4ELb1ELb0EEvPKcS1_S1_S1_S1_PKiPfP15HIP_vector_typeIfLj2EEffffjfiS5_IjLj3EEiiiiiiiiiiiliiliiiiil,comdat
	.globl	_ZL18flash_attn_ext_f16ILi256ELi256ELi8ELi4ELb1ELb0EEvPKcS1_S1_S1_S1_PKiPfP15HIP_vector_typeIfLj2EEffffjfiS5_IjLj3EEiiiiiiiiiiiliiliiiiil ; -- Begin function _ZL18flash_attn_ext_f16ILi256ELi256ELi8ELi4ELb1ELb0EEvPKcS1_S1_S1_S1_PKiPfP15HIP_vector_typeIfLj2EEffffjfiS5_IjLj3EEiiiiiiiiiiiliiliiiiil
	.p2align	8
	.type	_ZL18flash_attn_ext_f16ILi256ELi256ELi8ELi4ELb1ELb0EEvPKcS1_S1_S1_S1_PKiPfP15HIP_vector_typeIfLj2EEffffjfiS5_IjLj3EEiiiiiiiiiiiliiliiiiil,@function
_ZL18flash_attn_ext_f16ILi256ELi256ELi8ELi4ELb1ELb0EEvPKcS1_S1_S1_S1_PKiPfP15HIP_vector_typeIfLj2EEffffjfiS5_IjLj3EEiiiiiiiiiiiliiliiiiil: ; @_ZL18flash_attn_ext_f16ILi256ELi256ELi8ELi4ELb1ELb0EEvPKcS1_S1_S1_S1_PKiPfP15HIP_vector_typeIfLj2EEffffjfiS5_IjLj3EEiiiiiiiiiiiliiliiiiil
; %bb.0:
	s_load_dwordx2 s[4:5], s[0:1], 0x80
	s_load_dwordx4 s[36:39], s[0:1], 0x64
	s_load_dword s33, s[0:1], 0xd0
	s_mov_b32 s6, 0
	s_waitcnt lgkmcnt(0)
	s_abs_i32 s3, s5
	v_cvt_f32_u32_e32 v1, s3
	s_sub_i32 s9, 0, s3
	s_abs_i32 s8, s37
	s_xor_b32 s7, s37, s5
	v_rcp_iflag_f32_e32 v1, v1
	s_ashr_i32 s7, s7, 31
	v_mul_f32_e32 v1, 0x4f7ffffe, v1
	v_cvt_u32_f32_e32 v1, v1
	s_nop 0
	v_readfirstlane_b32 s10, v1
	s_mul_i32 s9, s9, s10
	s_mul_hi_u32 s9, s10, s9
	s_add_i32 s10, s10, s9
	s_mul_hi_u32 s9, s8, s10
	s_mul_i32 s10, s9, s3
	s_sub_i32 s8, s8, s10
	s_add_i32 s11, s9, 1
	s_sub_i32 s10, s8, s3
	s_cmp_ge_u32 s8, s3
	s_cselect_b32 s9, s11, s9
	s_cselect_b32 s8, s10, s8
	s_add_i32 s10, s9, 1
	s_cmp_ge_u32 s8, s3
	s_cselect_b32 s3, s10, s9
	s_add_i32 s4, s4, 63
	s_xor_b32 s3, s3, s7
	s_ashr_i32 s8, s4, 31
	s_sub_i32 s74, s3, s7
	s_lshr_b32 s3, s8, 26
	s_add_i32 s4, s4, s3
	s_add_i32 s3, s36, 7
	s_lshr_b32 s76, s3, 3
	s_add_i32 s3, s74, 3
	s_ashr_i32 s80, s4, 6
	s_ashr_i32 s4, s3, 31
	s_lshr_b32 s4, s4, 30
	s_add_i32 s3, s3, s4
	s_ashr_i32 s3, s3, 2
	s_mul_i32 s77, s76, s80
	s_mul_i32 s78, s77, s3
	;; [unrolled: 1-line block ×4, first 2 shown]
	s_ashr_i32 s10, s3, 31
	s_mul_i32 s4, s10, s2
	s_mul_hi_u32 s5, s3, s2
	s_add_i32 s7, s5, s4
	s_cmp_lg_u64 s[6:7], 0
	s_mul_i32 s6, s3, s2
	s_cbranch_scc0 .LBB30_439
; %bb.1:
	s_add_u32 s4, s33, 0
	s_addc_u32 s5, 0, 0
	s_xor_b64 s[8:9], s[4:5], 0
	v_cvt_f32_u32_e32 v1, s8
	v_cvt_f32_u32_e32 v2, s9
	s_sub_u32 s11, 0, s8
	s_subb_u32 s14, 0, s9
	v_fmamk_f32 v1, v2, 0x4f800000, v1
	v_rcp_f32_e32 v1, v1
	s_nop 0
	v_mul_f32_e32 v1, 0x5f7ffffc, v1
	v_mul_f32_e32 v2, 0x2f800000, v1
	v_trunc_f32_e32 v2, v2
	v_fmamk_f32 v1, v2, 0xcf800000, v1
	v_cvt_u32_f32_e32 v2, v2
	v_cvt_u32_f32_e32 v1, v1
	v_readfirstlane_b32 s15, v2
	v_readfirstlane_b32 s12, v1
	s_mul_i32 s13, s11, s15
	s_mul_hi_u32 s17, s11, s12
	s_mul_i32 s16, s14, s12
	s_add_i32 s13, s17, s13
	s_add_i32 s13, s13, s16
	s_mul_i32 s18, s11, s12
	s_mul_i32 s17, s12, s13
	s_mul_hi_u32 s19, s12, s18
	s_mul_hi_u32 s16, s12, s13
	s_add_u32 s17, s19, s17
	s_addc_u32 s16, 0, s16
	s_mul_hi_u32 s20, s15, s18
	s_mul_i32 s18, s15, s18
	s_add_u32 s17, s17, s18
	s_mul_hi_u32 s19, s15, s13
	s_addc_u32 s16, s16, s20
	s_addc_u32 s17, s19, 0
	s_mul_i32 s13, s15, s13
	s_add_u32 s13, s16, s13
	s_addc_u32 s16, 0, s17
	s_add_u32 s17, s12, s13
	s_cselect_b64 s[12:13], -1, 0
	s_cmp_lg_u64 s[12:13], 0
	s_addc_u32 s15, s15, s16
	s_mul_i32 s12, s11, s15
	s_mul_hi_u32 s13, s11, s17
	s_add_i32 s12, s13, s12
	s_mul_i32 s14, s14, s17
	s_add_i32 s12, s12, s14
	s_mul_i32 s11, s11, s17
	s_mul_hi_u32 s14, s15, s11
	s_mul_i32 s16, s15, s11
	s_mul_i32 s19, s17, s12
	s_mul_hi_u32 s11, s17, s11
	s_mul_hi_u32 s18, s17, s12
	s_add_u32 s11, s11, s19
	s_addc_u32 s18, 0, s18
	s_add_u32 s11, s11, s16
	s_mul_hi_u32 s13, s15, s12
	s_addc_u32 s11, s18, s14
	s_addc_u32 s13, s13, 0
	s_mul_i32 s12, s15, s12
	s_add_u32 s11, s11, s12
	s_addc_u32 s14, 0, s13
	s_add_u32 s11, s17, s11
	s_cselect_b64 s[12:13], -1, 0
	s_cmp_lg_u64 s[12:13], 0
	s_addc_u32 s16, s15, s14
	s_ashr_i32 s12, s7, 31
	s_add_u32 s14, s6, s12
	s_mov_b32 s13, s12
	s_addc_u32 s15, s7, s12
	s_xor_b64 s[14:15], s[14:15], s[12:13]
	s_mul_i32 s17, s14, s16
	s_mul_hi_u32 s18, s14, s11
	s_mul_hi_u32 s7, s14, s16
	s_add_u32 s17, s18, s17
	s_addc_u32 s7, 0, s7
	s_mul_hi_u32 s19, s15, s11
	s_mul_i32 s11, s15, s11
	s_add_u32 s11, s17, s11
	s_mul_hi_u32 s18, s15, s16
	s_addc_u32 s7, s7, s19
	s_addc_u32 s11, s18, 0
	s_mul_i32 s16, s15, s16
	s_add_u32 s7, s7, s16
	s_addc_u32 s11, 0, s11
	s_mul_i32 s16, s8, s11
	s_mul_hi_u32 s17, s8, s7
	s_add_i32 s16, s17, s16
	s_mul_i32 s17, s9, s7
	s_add_i32 s20, s16, s17
	s_sub_i32 s18, s15, s20
	s_mul_i32 s16, s8, s7
	s_sub_u32 s14, s14, s16
	s_cselect_b64 s[16:17], -1, 0
	s_cmp_lg_u64 s[16:17], 0
	s_subb_u32 s21, s18, s9
	s_sub_u32 s22, s14, s8
	s_cselect_b64 s[18:19], -1, 0
	s_cmp_lg_u64 s[18:19], 0
	s_subb_u32 s18, s21, 0
	s_cmp_ge_u32 s18, s9
	s_cselect_b32 s19, -1, 0
	s_cmp_ge_u32 s22, s8
	s_cselect_b32 s21, -1, 0
	s_cmp_eq_u32 s18, s9
	s_cselect_b32 s18, s21, s19
	s_add_u32 s19, s7, 1
	s_addc_u32 s21, s11, 0
	s_add_u32 s22, s7, 2
	s_addc_u32 s23, s11, 0
	s_cmp_lg_u32 s18, 0
	s_cselect_b32 s18, s22, s19
	s_cselect_b32 s19, s23, s21
	s_cmp_lg_u64 s[16:17], 0
	s_subb_u32 s15, s15, s20
	s_cmp_ge_u32 s15, s9
	s_cselect_b32 s16, -1, 0
	s_cmp_ge_u32 s14, s8
	s_cselect_b32 s8, -1, 0
	s_cmp_eq_u32 s15, s9
	s_cselect_b32 s8, s8, s16
	s_cmp_lg_u32 s8, 0
	s_cselect_b32 s9, s19, s11
	s_cselect_b32 s8, s18, s7
	s_xor_b64 s[12:13], s[12:13], 0
	s_xor_b64 s[8:9], s[8:9], s[12:13]
	s_sub_u32 s54, s8, s12
	s_load_dwordx2 s[52:53], s[0:1], 0x74
	v_cvt_f32_u32_e32 v1, s33
	s_cbranch_execnz .LBB30_3
.LBB30_2:
	v_rcp_iflag_f32_e32 v2, v1
	s_sub_i32 s4, 0, s33
	v_mul_f32_e32 v2, 0x4f7ffffe, v2
	v_cvt_u32_f32_e32 v2, v2
	s_nop 0
	v_readfirstlane_b32 s5, v2
	s_mul_i32 s4, s4, s5
	s_mul_hi_u32 s4, s5, s4
	s_add_i32 s5, s5, s4
	s_mul_hi_u32 s4, s6, s5
	s_mul_i32 s7, s4, s33
	s_sub_i32 s6, s6, s7
	s_add_i32 s5, s4, 1
	s_sub_i32 s7, s6, s33
	s_cmp_ge_u32 s6, s33
	s_cselect_b32 s4, s5, s4
	s_cselect_b32 s6, s7, s6
	s_add_i32 s5, s4, 1
	s_cmp_ge_u32 s6, s33
	s_cselect_b32 s54, s5, s4
.LBB30_3:
	s_add_i32 s4, s2, 1
	s_mul_i32 s5, s10, s4
	s_mul_hi_u32 s6, s3, s4
	s_add_i32 s9, s6, s5
	s_mov_b32 s8, 0
	s_cmp_lg_u64 s[8:9], 0
	s_mul_i32 s3, s3, s4
	s_cbranch_scc0 .LBB30_440
; %bb.4:
	s_add_u32 s4, s33, 0
	s_addc_u32 s5, 0, 0
	s_xor_b64 s[6:7], s[4:5], 0
	v_cvt_f32_u32_e32 v2, s6
	v_cvt_f32_u32_e32 v3, s7
	s_sub_u32 s8, 0, s6
	s_subb_u32 s12, 0, s7
	v_fmamk_f32 v2, v3, 0x4f800000, v2
	v_rcp_f32_e32 v2, v2
	s_nop 0
	v_mul_f32_e32 v2, 0x5f7ffffc, v2
	v_mul_f32_e32 v3, 0x2f800000, v2
	v_trunc_f32_e32 v3, v3
	v_fmamk_f32 v2, v3, 0xcf800000, v2
	v_cvt_u32_f32_e32 v3, v3
	v_cvt_u32_f32_e32 v2, v2
	v_readfirstlane_b32 s13, v3
	v_readfirstlane_b32 s10, v2
	s_mul_i32 s11, s8, s13
	s_mul_hi_u32 s15, s8, s10
	s_mul_i32 s14, s12, s10
	s_add_i32 s11, s15, s11
	s_add_i32 s11, s11, s14
	s_mul_i32 s16, s8, s10
	s_mul_i32 s15, s10, s11
	s_mul_hi_u32 s17, s10, s16
	s_mul_hi_u32 s14, s10, s11
	s_add_u32 s15, s17, s15
	s_addc_u32 s14, 0, s14
	s_mul_hi_u32 s18, s13, s16
	s_mul_i32 s16, s13, s16
	s_add_u32 s15, s15, s16
	s_mul_hi_u32 s17, s13, s11
	s_addc_u32 s14, s14, s18
	s_addc_u32 s15, s17, 0
	s_mul_i32 s11, s13, s11
	s_add_u32 s11, s14, s11
	s_addc_u32 s14, 0, s15
	s_add_u32 s15, s10, s11
	s_cselect_b64 s[10:11], -1, 0
	s_cmp_lg_u64 s[10:11], 0
	s_addc_u32 s13, s13, s14
	s_mul_i32 s10, s8, s13
	s_mul_hi_u32 s11, s8, s15
	s_add_i32 s10, s11, s10
	s_mul_i32 s12, s12, s15
	s_add_i32 s10, s10, s12
	s_mul_i32 s8, s8, s15
	s_mul_hi_u32 s12, s13, s8
	s_mul_i32 s14, s13, s8
	s_mul_i32 s17, s15, s10
	s_mul_hi_u32 s8, s15, s8
	s_mul_hi_u32 s16, s15, s10
	s_add_u32 s8, s8, s17
	s_addc_u32 s16, 0, s16
	s_add_u32 s8, s8, s14
	s_mul_hi_u32 s11, s13, s10
	s_addc_u32 s8, s16, s12
	s_addc_u32 s11, s11, 0
	s_mul_i32 s10, s13, s10
	s_add_u32 s8, s8, s10
	s_addc_u32 s12, 0, s11
	s_add_u32 s14, s15, s8
	s_cselect_b64 s[10:11], -1, 0
	s_cmp_lg_u64 s[10:11], 0
	s_addc_u32 s12, s13, s12
	s_ashr_i32 s10, s9, 31
	s_add_u32 s8, s3, s10
	s_mov_b32 s11, s10
	s_addc_u32 s9, s9, s10
	s_xor_b64 s[8:9], s[8:9], s[10:11]
	s_mul_i32 s15, s8, s12
	s_mul_hi_u32 s16, s8, s14
	s_mul_hi_u32 s13, s8, s12
	s_add_u32 s15, s16, s15
	s_addc_u32 s13, 0, s13
	s_mul_hi_u32 s17, s9, s14
	s_mul_i32 s14, s9, s14
	s_add_u32 s14, s15, s14
	s_mul_hi_u32 s16, s9, s12
	s_addc_u32 s13, s13, s17
	s_addc_u32 s14, s16, 0
	s_mul_i32 s12, s9, s12
	s_add_u32 s16, s13, s12
	s_addc_u32 s17, 0, s14
	s_mul_i32 s12, s6, s17
	s_mul_hi_u32 s13, s6, s16
	s_add_i32 s12, s13, s12
	s_mul_i32 s13, s7, s16
	s_add_i32 s18, s12, s13
	s_sub_i32 s14, s9, s18
	s_mul_i32 s12, s6, s16
	s_sub_u32 s8, s8, s12
	s_cselect_b64 s[12:13], -1, 0
	s_cmp_lg_u64 s[12:13], 0
	s_subb_u32 s19, s14, s7
	s_sub_u32 s20, s8, s6
	s_cselect_b64 s[14:15], -1, 0
	s_cmp_lg_u64 s[14:15], 0
	s_subb_u32 s14, s19, 0
	s_cmp_ge_u32 s14, s7
	s_cselect_b32 s15, -1, 0
	s_cmp_ge_u32 s20, s6
	s_cselect_b32 s19, -1, 0
	s_cmp_eq_u32 s14, s7
	s_cselect_b32 s14, s19, s15
	s_add_u32 s15, s16, 1
	s_addc_u32 s19, s17, 0
	s_add_u32 s20, s16, 2
	s_addc_u32 s21, s17, 0
	s_cmp_lg_u32 s14, 0
	s_cselect_b32 s14, s20, s15
	s_cselect_b32 s15, s21, s19
	s_cmp_lg_u64 s[12:13], 0
	s_subb_u32 s9, s9, s18
	s_cmp_ge_u32 s9, s7
	s_cselect_b32 s12, -1, 0
	s_cmp_ge_u32 s8, s6
	s_cselect_b32 s6, -1, 0
	s_cmp_eq_u32 s9, s7
	s_cselect_b32 s6, s6, s12
	s_cmp_lg_u32 s6, 0
	s_cselect_b32 s7, s15, s17
	s_cselect_b32 s6, s14, s16
	s_xor_b64 s[8:9], s[10:11], 0
	s_xor_b64 s[6:7], s[6:7], s[8:9]
	s_sub_u32 s6, s6, s8
	s_subb_u32 s7, s7, s9
	s_load_dwordx2 s[44:45], s[0:1], 0x5c
	v_mov_b64_e32 v[10:11], s[6:7]
	s_cbranch_execnz .LBB30_6
.LBB30_5:
	v_rcp_iflag_f32_e32 v1, v1
	s_sub_i32 s4, 0, s33
	v_mul_f32_e32 v1, 0x4f7ffffe, v1
	v_cvt_u32_f32_e32 v1, v1
	v_mul_lo_u32 v2, s4, v1
	v_mul_hi_u32 v2, v1, v2
	v_add_u32_e32 v1, v1, v2
	v_mul_hi_u32 v1, s3, v1
	v_mul_lo_u32 v3, v1, s33
	v_sub_u32_e32 v3, s3, v3
	v_add_u32_e32 v2, 1, v1
	v_subrev_u32_e32 v4, s33, v3
	v_cmp_le_u32_e32 vcc, s33, v3
	s_nop 1
	v_cndmask_b32_e32 v3, v3, v4, vcc
	v_cndmask_b32_e32 v1, v1, v2, vcc
	v_add_u32_e32 v2, 1, v1
	v_cmp_le_u32_e32 vcc, s33, v3
	s_nop 1
	v_cndmask_b32_e32 v10, v1, v2, vcc
.LBB30_6:
	s_abs_i32 s81, s80
	v_cvt_f32_u32_e32 v1, s81
	s_load_dwordx16 s[16:31], s[0:1], 0x0
	s_load_dword s4, s[0:1], 0x40
	s_load_dword s3, s[0:1], 0x54
	s_load_dwordx2 s[50:51], s[0:1], 0x8c
	s_load_dwordx4 s[40:43], s[0:1], 0x98
	s_load_dwordx2 s[46:47], s[0:1], 0xa8
	s_load_dwordx2 s[56:57], s[0:1], 0xb8
	;; [unrolled: 1-line block ×3, first 2 shown]
	s_waitcnt lgkmcnt(0)
	s_ashr_i32 s34, s50, 2
	s_sub_i32 s6, 0, s81
	v_rcp_iflag_f32_e32 v1, v1
	s_abs_i32 s1, s54
	s_ashr_i32 s55, s39, 3
	s_ashr_i32 s75, s52, 3
	v_mul_f32_e32 v1, 0x4f7ffffe, v1
	v_cvt_u32_f32_e32 v1, v1
	s_ashr_i32 s38, s57, 1
	s_ashr_i32 s14, s42, 2
	;; [unrolled: 1-line block ×3, first 2 shown]
	v_readfirstlane_b32 s50, v1
	s_mul_i32 s6, s6, s50
	s_mul_hi_u32 s6, s50, s6
	s_add_i32 s50, s50, s6
	s_mul_hi_u32 s6, s1, s50
	s_mul_i32 s6, s6, s81
	s_sub_i32 s1, s1, s6
	s_ashr_i32 s42, s80, 31
	s_sub_i32 s6, s1, s81
	s_cmp_ge_u32 s1, s81
	s_cselect_b32 s1, s6, s1
	s_sub_i32 s6, s1, s81
	s_cmp_ge_u32 s1, s81
	s_cselect_b32 s1, s6, s1
	s_xor_b32 s1, s1, s0
	s_sub_i32 s70, s1, s0
	v_subrev_u32_e32 v1, s54, v10
	v_add_u32_e32 v1, s70, v1
	v_cvt_f16_f32_e32 v87, s4
	v_cmp_ge_i32_e32 vcc, s54, v10
	v_cmp_gt_i32_e64 s[0:1], s80, v1
	s_or_b64 s[0:1], s[0:1], vcc
	v_bfe_u32 v65, v0, 10, 10
	s_mov_b32 s5, 0
	v_min_i32_e32 v138, s80, v1
	v_cmp_lt_i32_e64 s[8:9], s54, v10
	s_and_b64 vcc, exec, s[0:1]
	v_bfe_u32 v11, v0, 10, 2
	v_lshlrev_b32_e32 v55, 3, v65
	v_lshrrev_b32_e32 v69, 10, v0
	v_add_u32_e32 v86, 4, v65
	v_add_u32_e32 v85, 8, v65
	;; [unrolled: 1-line block ×7, first 2 shown]
	s_cbranch_vccz .LBB30_9
; %bb.7:
	s_andn2_b64 vcc, exec, s[8:9]
	s_cbranch_vccz .LBB30_403
.LBB30_8:
	s_endpgm
.LBB30_9:
	v_and_b32_e32 v2, 0x7f0, v55
	s_movk_i32 s12, 0x210
	v_and_b32_e32 v4, 15, v0
	v_lshrrev_b32_e32 v6, 1, v0
	v_mad_u32_u24 v3, v2, s12, 0
	v_mul_u32_u24_e32 v5, 0x210, v4
	v_and_b32_e32 v6, 0x78, v6
	v_add3_u32 v71, v3, v5, v6
	v_bfe_u32 v3, v0, 5, 5
	v_lshl_add_u32 v75, v65, 1, v3
	v_lshlrev_b32_e32 v3, 4, v65
	v_and_b32_e32 v7, 16, v3
	v_mul_u32_u24_e32 v8, 0x210, v7
	v_add_u32_e32 v157, 0, v6
	v_add3_u32 v158, v157, v5, v8
	v_bfe_u32 v5, v0, 2, 8
	v_and_b32_e32 v6, 60, v5
	v_and_or_b32 v2, v0, 12, v2
	s_movk_i32 s0, 0x90
	v_add_u32_e32 v8, v6, v7
	v_lshrrev_b32_e32 v2, 2, v2
	v_add_u16_e32 v7, v6, v7
	v_mad_u32_u24 v2, v2, s0, 0
	v_lshrrev_b16_e32 v7, 1, v7
	v_mad_u32_u24 v9, v75, s0, 0
	v_lshl_add_u32 v159, v7, 2, v2
	v_and_b32_e32 v7, 8, v55
	v_or_b32_e32 v5, 3, v5
	s_movk_i32 s0, 0x420
	v_lshl_add_u32 v2, v8, 1, v2
	v_mul_u32_u24_e32 v5, 0x210, v5
	v_mad_u32_u24 v7, v7, s0, 0
	v_lshlrev_b32_e32 v8, 1, v4
	v_add3_u32 v161, v7, v5, v8
	v_bfe_u32 v5, v0, 10, 1
	v_cmp_eq_u32_e64 s[0:1], 0, v5
	v_and_b32_e32 v5, 0x400, v0
	v_and_b32_e32 v12, 0x3ff, v0
	v_mul_u32_u24_e32 v6, 0x210, v6
	v_cmp_ne_u32_e64 s[10:11], 0, v5
	v_bfe_u32 v5, v69, 1, 9
	v_lshlrev_b32_e32 v1, 2, v12
	v_add3_u32 v160, v7, v6, v8
	v_add_u32_e32 v6, 2, v5
	v_and_b32_e32 v14, 0x7c, v1
	v_lshlrev_b32_e32 v7, 1, v6
	v_and_b32_e32 v8, 15, v6
	s_movk_i32 s13, 0x1e0
	v_mul_u32_u24_e32 v13, 0x180, v75
	v_lshlrev_b32_e32 v15, 2, v14
	v_and_or_b32 v7, v7, s13, v8
	v_add_u32_e32 v8, 4, v5
	v_add3_u32 v156, v9, v13, v15
	v_lshlrev_b32_e32 v13, 1, v8
	v_and_b32_e32 v15, 15, v8
	v_add_u32_e32 v35, 6, v5
	v_and_or_b32 v13, v13, s13, v15
	v_lshlrev_b32_e32 v15, 1, v35
	v_and_b32_e32 v16, 15, v35
	v_add_u32_e32 v53, 8, v5
	v_and_or_b32 v52, v15, s13, v16
	;; [unrolled: 4-line block ×4, first 2 shown]
	v_lshlrev_b32_e32 v15, 1, v58
	v_and_b32_e32 v16, 15, v58
	v_add_u32_e32 v60, 14, v5
	s_cmp_eq_u64 s[24:25], 0
	v_and_or_b32 v59, v15, s13, v16
	v_lshlrev_b32_e32 v15, 1, v60
	v_and_b32_e32 v16, 15, v60
	v_add_u32_e32 v62, 18, v5
	s_cselect_b64 s[58:59], -1, 0
	s_cmp_lg_u64 s[26:27], 0
	v_and_or_b32 v61, v15, s13, v16
	v_lshlrev_b32_e32 v15, 1, v62
	v_and_b32_e32 v16, 15, v62
	v_add_u32_e32 v64, 20, v5
	s_cselect_b64 s[60:61], -1, 0
	s_lshl_b32 s4, s2, 5
	v_and_or_b32 v63, v15, s13, v16
	v_lshlrev_b32_e32 v15, 1, v64
	v_and_b32_e32 v16, 15, v64
	v_add_u32_e32 v67, 22, v5
	s_ashr_i32 s39, s38, 31
	s_ashr_i32 s35, s34, 31
	s_lshl_b32 s6, s34, 3
	s_ashr_i32 s15, s14, 31
	s_lshl_b32 s7, s14, 3
	s_lshl_b64 s[4:5], s[4:5], 3
	v_and_or_b32 v66, v15, s13, v16
	v_lshlrev_b32_e32 v15, 1, v67
	v_and_b32_e32 v16, 15, v67
	v_add_u32_e32 v70, 24, v5
	s_add_u32 s8, s30, s4
	v_and_or_b32 v68, v15, s13, v16
	v_lshlrev_b32_e32 v15, 1, v70
	v_and_b32_e32 v16, 15, v70
	v_add_u32_e32 v73, 26, v5
	s_addc_u32 s9, s31, s5
	v_and_or_b32 v72, v15, s13, v16
	v_lshlrev_b32_e32 v15, 1, v73
	v_and_b32_e32 v16, 15, v73
	s_abs_i32 s57, s79
	v_and_or_b32 v74, v15, s13, v16
	v_cvt_f32_u32_e32 v15, s57
	s_abs_i32 s82, s78
	v_add_u32_e32 v76, 28, v5
	v_cvt_f32_u32_e32 v18, s82
	v_rcp_iflag_f32_e32 v15, v15
	v_lshlrev_b32_e32 v16, 1, v76
	v_and_b32_e32 v17, 15, v76
	v_add_u32_e32 v78, 30, v5
	v_mul_f32_e32 v15, 0x4f7ffffe, v15
	v_cvt_u32_f32_e32 v15, v15
	v_and_or_b32 v77, v16, s13, v17
	v_lshlrev_b32_e32 v16, 1, v78
	v_and_b32_e32 v17, 15, v78
	s_sub_i32 s4, 0, s57
	v_add_u32_e32 v166, 64, v2
	v_add_u32_e32 v167, 0x44, v2
	v_or_b32_e32 v2, v3, v12
	v_and_or_b32 v79, v16, s13, v17
	v_mul_lo_u32 v17, s4, v15
	v_mul_u32_u24_e32 v168, 0x210, v2
	v_or_b32_e32 v2, v3, v4
	v_and_b32_e32 v4, 31, v0
	v_rcp_iflag_f32_e32 v16, v18
	v_mul_hi_u32 v17, v15, v17
	s_abs_i32 s84, s56
	v_or_b32_e32 v3, v3, v4
	v_mul_u32_u24_e32 v170, 0x210, v2
	v_add_u32_e32 v2, 16, v5
	v_add_u32_e32 v162, v15, v17
	v_cvt_f32_u32_e32 v17, s84
	v_mul_u32_u24_e32 v169, 0x210, v3
	v_bfe_u32 v3, v65, 1, 4
	v_lshlrev_b32_e32 v5, 1, v2
	s_movk_i32 s63, 0xe0
	v_and_or_b32 v5, v5, s13, v3
	v_lshrrev_b32_e32 v2, 2, v2
	s_abs_i32 s83, s77
	v_and_or_b32 v3, v69, s63, v3
	v_accvgpr_write_b32 a57, v2
	v_mad_u32_u24 v2, v5, s12, 0
	v_mul_f32_e32 v15, 0x4f7ffffe, v16
	v_cvt_f32_u32_e32 v16, s83
	v_lshlrev_b32_e32 v34, 1, v12
	v_mad_u32_u24 v171, v3, s12, 0
	v_lshrrev_b32_e32 v3, 2, v8
	v_lshrrev_b32_e32 v8, 2, v53
	v_mad_u32_u24 v5, v63, s12, 0
	v_lshrrev_b32_e32 v53, 2, v64
	v_accvgpr_write_b32 a58, v2
	v_add_u32_e32 v2, v2, v1
	v_rcp_iflag_f32_e32 v17, v17
	v_and_b32_e32 v34, 62, v34
	v_accvgpr_write_b32 a60, v53
	v_mad_u32_u24 v53, v66, s12, 0
	v_accvgpr_write_b32 a75, v2
	v_add_u32_e32 v2, v5, v1
	v_lshl_add_u32 v165, v34, 1, v9
	v_accvgpr_write_b32 a51, v8
	v_mad_u32_u24 v8, v54, s12, 0
	v_mad_u32_u24 v9, v57, s12, 0
	;; [unrolled: 1-line block ×3, first 2 shown]
	v_lshrrev_b32_e32 v57, 2, v70
	v_accvgpr_write_b32 a76, v2
	v_add_u32_e32 v2, v53, v1
	v_accvgpr_write_b32 a48, v3
	v_mad_u32_u24 v3, v13, s12, 0
	v_lshrrev_b32_e32 v13, 2, v58
	v_accvgpr_write_b32 a63, v57
	v_mad_u32_u24 v57, v72, s12, 0
	v_accvgpr_write_b32 a77, v2
	v_add_u32_e32 v2, v54, v1
	v_cvt_u32_f32_e32 v15, v15
	v_rcp_iflag_f32_e32 v16, v16
	v_accvgpr_write_b32 a54, v13
	v_mad_u32_u24 v13, v59, s12, 0
	v_mad_u32_u24 v58, v74, s12, 0
	v_lshrrev_b32_e32 v59, 2, v76
	v_accvgpr_write_b32 a78, v2
	v_add_u32_e32 v2, v57, v1
	v_mul_f32_e32 v17, 0x4f7ffffe, v17
	v_mad_u32_u24 v172, v7, s12, 0
	v_mad_u32_u24 v7, v52, s12, 0
	v_accvgpr_write_b32 a66, v59
	v_mad_u32_u24 v59, v77, s12, 0
	v_accvgpr_write_b32 a49, v3
	v_add_u32_e32 v3, v3, v1
	v_accvgpr_write_b32 a79, v2
	v_add_u32_e32 v2, v58, v1
	v_cvt_u32_f32_e32 v17, v17
	v_accvgpr_write_b32 a69, v3
	v_add_u32_e32 v3, v7, v1
	v_accvgpr_write_b32 a80, v2
	v_add_u32_e32 v2, v59, v1
	s_sub_i32 s4, 0, s82
	v_accvgpr_write_b32 a70, v3
	v_add_u32_e32 v3, v8, v1
	v_accvgpr_write_b32 a81, v2
	v_and_b32_e32 v2, 3, v35
	v_mul_lo_u32 v18, s4, v15
	v_mul_f32_e32 v16, 0x4f7ffffe, v16
	v_accvgpr_write_b32 a71, v3
	v_add_u32_e32 v3, v9, v1
	v_accvgpr_write_b32 a84, v2
	v_and_b32_e32 v2, 3, v56
	v_mul_hi_u32 v18, v15, v18
	v_cvt_u32_f32_e32 v16, v16
	s_sub_i32 s4, 0, s84
	v_mad_u32_u24 v52, v61, s12, 0
	v_mad_u32_u24 v61, v79, s12, 0
	v_accvgpr_write_b32 a72, v3
	v_add_u32_e32 v3, v13, v1
	v_accvgpr_write_b32 a86, v2
	v_and_b32_e32 v2, 3, v60
	v_add_u32_e32 v163, v15, v18
	v_mul_lo_u32 v15, s4, v17
	v_add_u32_e32 v194, 0, v1
	v_add_u32_e32 v195, v171, v1
	;; [unrolled: 1-line block ×3, first 2 shown]
	v_accvgpr_write_b32 a73, v3
	v_add_u32_e32 v3, v52, v1
	v_add_u32_e32 v1, v61, v1
	v_accvgpr_write_b32 a88, v2
	v_and_b32_e32 v2, 3, v62
	v_mul_hi_u32 v15, v17, v15
	v_mul_lo_u32 v18, s34, v75
	v_mul_lo_u32 v36, s14, v75
	v_accvgpr_write_b32 a82, v1
                                        ; implicit-def: $vgpr1
                                        ; implicit-def: $vgpr1
	;; [unrolled: 1-line block ×3, first 2 shown]
	v_accvgpr_write_b32 a90, v2
	v_and_b32_e32 v2, 3, v67
	v_add_u32_e32 v164, v17, v15
	v_or_b32_e32 v15, v55, v12
	v_add_u32_e32 v20, s6, v18
	v_add_u32_e32 v38, s7, v36
	v_mbcnt_lo_u32_b32 v1, -1, 0
	v_accvgpr_write_b32 a92, v2
	v_and_b32_e32 v2, 3, v73
	v_readfirstlane_b32 s62, v16
	v_lshlrev_b32_e32 v16, 3, v15
	v_mov_b32_e32 v17, 0
	v_add_u32_e32 v22, s6, v20
	v_add_u32_e32 v40, s7, v38
	v_mbcnt_hi_u32_b32 v211, -1, v1
	v_lshrrev_b32_e32 v1, 2, v35
	v_accvgpr_write_b32 a94, v2
	v_and_b32_e32 v2, 3, v78
	v_add_u32_e32 v24, s6, v22
	v_add_u32_e32 v42, s7, v40
	v_accvgpr_write_b32 a74, v3
	v_accvgpr_write_b32 a83, v1
	v_lshrrev_b32_e32 v1, 2, v56
	v_accvgpr_write_b32 a96, v2
	v_lshl_add_u64 v[2:3], s[8:9], 0, v[16:17]
	v_mov_b32_e32 v15, v17
	v_add_u32_e32 v26, s6, v24
	v_add_u32_e32 v44, s7, v42
	v_accvgpr_write_b32 a85, v1
	v_lshrrev_b32_e32 v1, 2, v60
	v_accvgpr_write_b32 a99, v3
	v_add_u32_e32 v28, s6, v26
	v_add_u32_e32 v46, s7, v44
	s_sub_i32 s13, 0, s83
	v_accvgpr_write_b32 a87, v1
	v_lshrrev_b32_e32 v1, 2, v62
	v_accvgpr_write_b32 a98, v2
	v_lshl_add_u64 v[2:3], s[22:23], 0, v[14:15]
	v_add_u32_e32 v30, s6, v28
	v_ashrrev_i32_e32 v37, 31, v36
	v_add_u32_e32 v48, s7, v46
	s_mul_i32 s13, s13, s62
	v_accvgpr_write_b32 a89, v1
	v_lshrrev_b32_e32 v1, 2, v67
	v_accvgpr_write_b32 a101, v3
	v_add_u32_e32 v32, s6, v30
	v_add_u32_e32 v50, s7, v48
	s_mul_hi_u32 s13, s62, s13
	v_accvgpr_write_b32 a91, v1
	v_lshrrev_b32_e32 v1, 2, v73
	v_accvgpr_write_b32 a100, v2
	v_lshl_add_u64 v[2:3], v[36:37], 2, s[20:21]
	s_mov_b32 s71, 0x10001
	v_ashrrev_i32_e32 v19, 31, v18
	v_ashrrev_i32_e32 v21, 31, v20
	;; [unrolled: 1-line block ×15, first 2 shown]
	s_add_i32 s89, s62, s13
	s_lshl_b64 s[62:63], s[38:39], 1
	v_mad_u32_u24 v221, v65, s12, v194
	v_accvgpr_write_b32 a93, v1
	v_lshrrev_b32_e32 v1, 2, v78
	v_accvgpr_write_b32 a103, v3
	s_mul_i32 s85, s36, s37
	v_cmp_gt_u32_e64 s[4:5], 16, v12
	v_cmp_gt_u32_e64 s[6:7], 32, v12
	v_accvgpr_write_b32 a50, v7
	v_accvgpr_write_b32 a52, v8
	;; [unrolled: 1-line block ×12, first 2 shown]
	s_ashr_i32 s86, s79, 31
	s_ashr_i32 s87, s78, 31
	;; [unrolled: 1-line block ×3, first 2 shown]
	v_lshlrev_b32_e32 v52, 4, v4
	v_mov_b32_e32 v53, v17
	s_lshl_b64 s[64:65], s[14:15], 8
	s_lshl_b64 s[66:67], s[34:35], 8
	s_mov_b32 s39, 0x3f200000
	s_mov_b32 s63, 0x3fb8aa3b
	;; [unrolled: 1-line block ×4, first 2 shown]
	s_brev_b32 s92, -2
	s_mov_b32 s93, 0xc1a00000
	s_mov_b32 s94, 0x5040100
	s_movk_i32 s95, 0x47
	s_mov_b64 s[68:69], 0x80
	v_accvgpr_write_b32 a47, v87
	v_mul_lo_u32 v212, v87, s71
	v_add_u32_e32 v213, 0x1080, v156
	v_add_u32_e32 v214, 0x2100, v156
	;; [unrolled: 1-line block ×7, first 2 shown]
	v_mul_u32_u24_e32 v220, 0x210, v65
	v_accvgpr_write_b32 a46, v86
	v_lshrrev_b32_e32 v222, 2, v86
	v_add_u32_e32 v223, 0x840, v221
	v_accvgpr_write_b32 a45, v85
	v_lshrrev_b32_e32 v224, 2, v85
	v_add_u32_e32 v225, 0x1080, v221
	;; [unrolled: 3-line block ×7, first 2 shown]
	v_bfe_u32 v236, v69, 3, 7
	v_lshrrev_b32_e32 v237, 2, v6
	v_and_b32_e32 v54, 3, v6
	v_accvgpr_write_b32 a95, v1
	v_mov_b32_e32 v245, 0x3ca908c9
	v_mov_b32_e32 v246, 0x7f800000
	v_and_b32_e32 v70, 3, v0
	v_bfe_u32 v74, v65, 1, 2
	v_mad_u64_u32 v[76:77], s[8:9], v11, s75, v[12:13]
	v_accvgpr_write_b32 a102, v2
	v_lshl_add_u64 v[82:83], v[38:39], 2, s[20:21]
	v_lshl_add_u64 v[84:85], v[40:41], 2, s[20:21]
	;; [unrolled: 1-line block ×15, first 2 shown]
	s_branch .LBB30_12
.LBB30_10:                              ;   in Loop: Header=BB30_12 Depth=1
	s_or_b64 exec, exec, s[70:71]
	s_barrier
.LBB30_11:                              ;   in Loop: Header=BB30_12 Depth=1
	s_add_i32 s8, s54, s80
	s_abs_i32 s12, s8
	s_mul_hi_u32 s13, s12, s50
	s_mul_i32 s13, s13, s81
	s_sub_i32 s12, s12, s13
	s_ashr_i32 s9, s8, 31
	s_sub_i32 s13, s12, s81
	s_cmp_ge_u32 s12, s81
	s_cselect_b32 s12, s13, s12
	s_sub_i32 s13, s12, s81
	s_cmp_ge_u32 s12, s81
	s_cselect_b32 s12, s13, s12
	s_xor_b32 s12, s12, s9
	s_sub_i32 s9, s9, s12
	s_add_i32 s54, s8, s9
	v_subrev_u32_e32 v1, s54, v10
	v_cmp_lt_i32_e64 s[8:9], s54, v10
	v_cmp_le_i32_e32 vcc, s80, v1
	s_and_b64 s[12:13], vcc, s[8:9]
	v_min_i32_e32 v138, s80, v1
	s_mov_b32 s70, 0
	s_and_b64 vcc, exec, s[12:13]
	s_cbranch_vccz .LBB30_402
.LBB30_12:                              ; =>This Loop Header: Depth=1
                                        ;     Child Loop BB30_246 Depth 2
                                        ;     Child Loop BB30_51 Depth 2
	s_abs_i32 s9, s54
	v_mul_hi_u32 v1, s9, v162
	v_mul_lo_u32 v2, v1, s57
	v_sub_u32_e32 v2, s9, v2
	v_add_u32_e32 v3, 1, v1
	v_subrev_u32_e32 v4, s57, v2
	v_cmp_le_u32_e32 vcc, s57, v2
	s_ashr_i32 s8, s54, 31
	s_xor_b32 s8, s8, s86
	v_cndmask_b32_e32 v1, v1, v3, vcc
	v_cndmask_b32_e32 v2, v2, v4, vcc
	v_add_u32_e32 v3, 1, v1
	v_cmp_le_u32_e32 vcc, s57, v2
	s_nop 1
	v_cndmask_b32_e32 v1, v1, v3, vcc
	v_xor_b32_e32 v1, s8, v1
	v_subrev_u32_e32 v1, s8, v1
	v_mul_lo_u32 v2, v1, s79
	v_sub_u32_e32 v3, s54, v2
	v_sub_u32_e32 v4, 0, v3
	v_max_i32_e32 v4, v3, v4
	v_mul_hi_u32 v5, v4, v163
	v_mul_lo_u32 v6, v5, s82
	v_sub_u32_e32 v4, v4, v6
	v_add_u32_e32 v6, 1, v5
	v_subrev_u32_e32 v7, s82, v4
	v_cmp_le_u32_e32 vcc, s82, v4
	v_ashrrev_i32_e32 v2, 31, v3
	v_xor_b32_e32 v2, s87, v2
	v_cndmask_b32_e32 v5, v5, v6, vcc
	v_cndmask_b32_e32 v4, v4, v7, vcc
	v_add_u32_e32 v6, 1, v5
	v_cmp_le_u32_e32 vcc, s82, v4
	s_nop 1
	v_cndmask_b32_e32 v4, v5, v6, vcc
	v_xor_b32_e32 v4, v4, v2
	v_sub_u32_e32 v2, v4, v2
	v_mul_lo_u32 v4, v2, s78
	v_sub_u32_e32 v3, v3, v4
	v_sub_u32_e32 v5, 0, v3
	v_max_i32_e32 v5, v3, v5
	v_mul_hi_u32 v6, v5, s89
	v_mul_lo_u32 v7, v6, s83
	v_sub_u32_e32 v5, v5, v7
	v_add_u32_e32 v7, 1, v6
	v_subrev_u32_e32 v8, s83, v5
	v_cmp_le_u32_e32 vcc, s83, v5
	v_ashrrev_i32_e32 v4, 31, v3
	v_xor_b32_e32 v4, s88, v4
	v_cndmask_b32_e32 v6, v6, v7, vcc
	v_cndmask_b32_e32 v5, v5, v8, vcc
	v_add_u32_e32 v7, 1, v6
	v_cmp_le_u32_e32 vcc, s83, v5
	s_nop 1
	v_cndmask_b32_e32 v5, v6, v7, vcc
	v_xor_b32_e32 v5, v5, v4
	v_sub_u32_e32 v4, v5, v4
	v_mul_lo_u32 v5, v4, s77
	v_sub_u32_e32 v3, v3, v5
	v_sub_u32_e32 v6, 0, v3
	v_ashrrev_i32_e32 v5, 31, v3
	v_max_i32_e32 v3, v3, v6
	v_mul_hi_u32 v6, v3, s50
	v_mul_lo_u32 v7, v6, s81
	v_sub_u32_e32 v3, v3, v7
	v_add_u32_e32 v7, 1, v6
	v_subrev_u32_e32 v8, s81, v3
	v_cmp_le_u32_e32 vcc, s81, v3
	v_xor_b32_e32 v5, s42, v5
	s_nop 0
	v_cndmask_b32_e32 v6, v6, v7, vcc
	v_cndmask_b32_e32 v3, v3, v8, vcc
	v_add_u32_e32 v7, 1, v6
	v_cmp_le_u32_e32 vcc, s81, v3
	s_nop 1
	v_cndmask_b32_e32 v3, v6, v7, vcc
	v_xor_b32_e32 v3, v3, v5
	s_andn2_b64 vcc, exec, s[60:61]
	v_sub_u32_e32 v3, v3, v5
	s_cbranch_vccnz .LBB30_14
; %bb.13:                               ;   in Loop: Header=BB30_12 Depth=1
	v_mul_lo_u32 v5, v1, s76
	v_add_u32_e32 v6, v3, v5
	v_ashrrev_i32_e32 v7, 31, v6
	v_lshlrev_b64 v[6:7], 2, v[6:7]
	v_lshl_add_u64 v[6:7], s[26:27], 0, v[6:7]
	global_load_dword v5, v[6:7], off
	s_waitcnt vmcnt(0)
	v_ashrrev_i32_e32 v6, 31, v5
	v_lshrrev_b32_e32 v6, 26, v6
	v_add_u32_e32 v5, v5, v6
	v_ashrrev_i32_e32 v5, 6, v5
	v_min_i32_e32 v138, v138, v5
.LBB30_14:                              ;   in Loop: Header=BB30_12 Depth=1
	v_mul_lo_u32 v5, v2, s74
	v_lshlrev_b32_e32 v15, 2, v4
	v_add_u32_e32 v4, v15, v5
	v_mul_lo_u32 v6, v1, s53
	v_ashrrev_i32_e32 v7, 31, v6
	v_mul_lo_u32 v8, v4, s52
	v_lshl_add_u64 v[6:7], s[16:17], 0, v[6:7]
	v_ashrrev_i32_e32 v9, 31, v8
	v_ashrrev_i32_e32 v5, 31, v1
	v_lshl_add_u64 v[132:133], v[6:7], 0, v[8:9]
	v_mul_hi_u32 v6, s40, v1
	v_mul_lo_u32 v7, s40, v5
	v_add_u32_e32 v6, v6, v7
	v_mul_lo_u32 v7, s41, v1
	v_add_u32_e32 v123, v6, v7
	v_mul_lo_u32 v122, s40, v1
	v_mul_lo_u32 v124, v2, s51
	v_lshl_add_u64 v[6:7], s[18:19], 0, v[122:123]
	v_ashrrev_i32_e32 v125, 31, v124
	v_lshl_add_u64 v[118:119], v[6:7], 0, v[124:125]
	v_sub_u32_e32 v6, 0, v1
	v_max_i32_e32 v6, v1, v6
	v_mul_hi_u32 v7, v6, v164
	v_mul_lo_u32 v7, v7, s84
	v_sub_u32_e32 v6, v6, v7
	v_subrev_u32_e32 v7, s84, v6
	v_cmp_le_u32_e32 vcc, s84, v6
	v_mul_lo_u32 v128, s46, v1
	v_mul_lo_u32 v130, v2, s43
	v_cndmask_b32_e32 v6, v6, v7, vcc
	v_subrev_u32_e32 v7, s84, v6
	v_cmp_le_u32_e32 vcc, s84, v6
	v_ashrrev_i32_e32 v131, 31, v130
	v_lshlrev_b32_e32 v77, 3, v3
	v_cndmask_b32_e32 v6, v6, v7, vcc
	v_xor_b32_e32 v6, v6, v5
	v_sub_u32_e32 v6, v6, v5
	v_ashrrev_i32_e32 v7, 31, v6
	v_mul_lo_u32 v7, s48, v7
	v_mul_hi_u32 v8, s48, v6
	v_add_u32_e32 v7, v8, v7
	v_mul_lo_u32 v8, s49, v6
	v_mul_lo_u32 v126, s48, v6
	;; [unrolled: 1-line block ×3, first 2 shown]
	v_add_u32_e32 v6, v4, v6
	v_lshlrev_b32_e32 v16, 7, v6
	v_add_u32_e32 v127, v7, v8
	v_lshlrev_b64 v[6:7], 3, v[16:17]
	v_lshl_add_u64 v[112:113], s[28:29], 0, v[6:7]
	v_mul_hi_u32 v6, s46, v1
	v_mul_lo_u32 v5, s46, v5
	v_add_u32_e32 v5, v6, v5
	v_mul_lo_u32 v6, s47, v1
	v_add_u32_e32 v129, v5, v6
	v_ashrrev_i32_e32 v5, 31, v4
	v_lshlrev_b64 v[4:5], 2, v[4:5]
	v_lshl_add_u64 v[6:7], s[20:21], 0, v[128:129]
	v_lshl_add_u64 v[4:5], s[24:25], 0, v[4:5]
	v_bfe_u32 v1, v69, 2, 8
	v_lshl_add_u64 v[120:121], s[22:23], 0, v[126:127]
	v_lshl_add_u64 v[116:117], v[6:7], 0, v[130:131]
	v_cndmask_b32_e64 v115, v5, 0, s[58:59]
	v_cndmask_b32_e64 v114, v4, 0, s[58:59]
	s_cmp_lg_u32 s70, 0
	v_add_u32_e32 v139, v1, v77
	v_or_b32_e32 v140, v11, v15
	s_cbranch_scc0 .LBB30_85
; %bb.15:                               ;   in Loop: Header=BB30_12 Depth=1
	v_cmp_le_i32_e64 s[8:9], s36, v139
	v_cmp_le_i32_e64 s[12:13], s74, v140
	v_cmp_gt_i32_e32 vcc, s74, v140
	s_or_b64 s[8:9], s[8:9], s[12:13]
	s_and_saveexec_b64 s[12:13], s[8:9]
	s_xor_b64 s[8:9], exec, s[12:13]
; %bb.16:                               ;   in Loop: Header=BB30_12 Depth=1
	v_add_u32_e32 v1, v194, v220
	ds_write2st64_b32 v1, v17, v17 offset1:1
; %bb.17:                               ;   in Loop: Header=BB30_12 Depth=1
	s_andn2_saveexec_b64 s[8:9], s[8:9]
	s_cbranch_execz .LBB30_19
; %bb.18:                               ;   in Loop: Header=BB30_12 Depth=1
	v_mad_u64_u32 v[2:3], s[12:13], v139, s55, v[76:77]
	v_ashrrev_i32_e32 v3, 31, v2
	v_lshl_add_u64 v[2:3], v[2:3], 3, v[132:133]
	global_load_dwordx2 v[4:5], v[2:3], off
	s_nop 0
	global_load_dwordx2 v[2:3], v[2:3], off offset:512
	s_waitcnt vmcnt(1)
	v_cvt_pk_f16_f32 v1, v4, v5
	s_waitcnt vmcnt(0)
	v_cvt_pk_f16_f32 v2, v2, v3
	v_pk_mul_f16 v1, v1, v212
	v_pk_mul_f16 v2, v2, v212
	ds_write2st64_b32 v221, v1, v2 offset1:1
.LBB30_19:                              ;   in Loop: Header=BB30_12 Depth=1
	s_or_b64 exec, exec, s[8:9]
	v_add_u32_e32 v1, v222, v77
	v_cmp_le_i32_e64 s[8:9], s36, v1
	s_xor_b64 s[12:13], vcc, -1
	s_or_b64 s[8:9], s[8:9], s[12:13]
	s_and_saveexec_b64 s[72:73], s[8:9]
	s_xor_b64 s[8:9], exec, s[72:73]
; %bb.20:                               ;   in Loop: Header=BB30_12 Depth=1
	v_add_u32_e32 v1, v194, v220
	v_add_u32_e32 v1, 64, v1
	ds_write2st64_b32 v1, v17, v17 offset0:8 offset1:9
                                        ; implicit-def: $vgpr1
; %bb.21:                               ;   in Loop: Header=BB30_12 Depth=1
	s_andn2_saveexec_b64 s[8:9], s[8:9]
	s_cbranch_execz .LBB30_23
; %bb.22:                               ;   in Loop: Header=BB30_12 Depth=1
	v_mad_u64_u32 v[2:3], s[72:73], v1, s55, v[76:77]
	v_ashrrev_i32_e32 v3, 31, v2
	v_lshl_add_u64 v[2:3], v[2:3], 3, v[132:133]
	global_load_dwordx2 v[4:5], v[2:3], off
	s_nop 0
	global_load_dwordx2 v[2:3], v[2:3], off offset:512
	s_waitcnt vmcnt(1)
	v_cvt_pk_f16_f32 v1, v4, v5
	s_waitcnt vmcnt(0)
	v_cvt_pk_f16_f32 v2, v2, v3
	v_pk_mul_f16 v1, v1, v212
	v_pk_mul_f16 v2, v2, v212
	ds_write2st64_b32 v223, v1, v2 offset1:1
.LBB30_23:                              ;   in Loop: Header=BB30_12 Depth=1
	s_or_b64 exec, exec, s[8:9]
	v_add_u32_e32 v1, v224, v77
	v_cmp_le_i32_e32 vcc, s36, v1
	s_or_b64 s[8:9], vcc, s[12:13]
	s_and_saveexec_b64 s[72:73], s[8:9]
	s_xor_b64 s[8:9], exec, s[72:73]
; %bb.24:                               ;   in Loop: Header=BB30_12 Depth=1
	v_add_u32_e32 v1, v194, v220
	v_add_u32_e32 v1, 0x80, v1
	ds_write2st64_b32 v1, v17, v17 offset0:16 offset1:17
                                        ; implicit-def: $vgpr1
; %bb.25:                               ;   in Loop: Header=BB30_12 Depth=1
	s_andn2_saveexec_b64 s[8:9], s[8:9]
	s_cbranch_execz .LBB30_27
; %bb.26:                               ;   in Loop: Header=BB30_12 Depth=1
	v_mad_u64_u32 v[2:3], s[72:73], v1, s55, v[76:77]
	v_ashrrev_i32_e32 v3, 31, v2
	v_lshl_add_u64 v[2:3], v[2:3], 3, v[132:133]
	global_load_dwordx2 v[4:5], v[2:3], off
	s_nop 0
	global_load_dwordx2 v[2:3], v[2:3], off offset:512
	s_waitcnt vmcnt(1)
	v_cvt_pk_f16_f32 v1, v4, v5
	s_waitcnt vmcnt(0)
	v_cvt_pk_f16_f32 v2, v2, v3
	v_pk_mul_f16 v1, v1, v212
	v_pk_mul_f16 v2, v2, v212
	ds_write2st64_b32 v225, v1, v2 offset1:1
.LBB30_27:                              ;   in Loop: Header=BB30_12 Depth=1
	s_or_b64 exec, exec, s[8:9]
	v_add_u32_e32 v1, v226, v77
	v_cmp_le_i32_e32 vcc, s36, v1
	s_or_b64 s[8:9], vcc, s[12:13]
	;; [unrolled: 29-line block ×3, first 2 shown]
	s_and_saveexec_b64 s[72:73], s[8:9]
	s_xor_b64 s[8:9], exec, s[72:73]
; %bb.32:                               ;   in Loop: Header=BB30_12 Depth=1
	v_add_u32_e32 v1, v194, v220
	ds_write2st64_b32 v1, v17, v17 offset0:33 offset1:34
                                        ; implicit-def: $vgpr1
; %bb.33:                               ;   in Loop: Header=BB30_12 Depth=1
	s_andn2_saveexec_b64 s[8:9], s[8:9]
	s_cbranch_execz .LBB30_35
; %bb.34:                               ;   in Loop: Header=BB30_12 Depth=1
	v_mad_u64_u32 v[2:3], s[72:73], v1, s55, v[76:77]
	v_ashrrev_i32_e32 v3, 31, v2
	v_lshl_add_u64 v[2:3], v[2:3], 3, v[132:133]
	global_load_dwordx2 v[4:5], v[2:3], off
	s_nop 0
	global_load_dwordx2 v[2:3], v[2:3], off offset:512
	s_waitcnt vmcnt(1)
	v_cvt_pk_f16_f32 v1, v4, v5
	s_waitcnt vmcnt(0)
	v_cvt_pk_f16_f32 v2, v2, v3
	v_pk_mul_f16 v1, v1, v212
	v_pk_mul_f16 v2, v2, v212
	ds_write2st64_b32 v229, v1, v2 offset1:1
.LBB30_35:                              ;   in Loop: Header=BB30_12 Depth=1
	s_or_b64 exec, exec, s[8:9]
	v_add_u32_e32 v1, v230, v77
	v_cmp_le_i32_e32 vcc, s36, v1
	s_or_b64 s[8:9], vcc, s[12:13]
	s_and_saveexec_b64 s[72:73], s[8:9]
	s_xor_b64 s[8:9], exec, s[72:73]
; %bb.36:                               ;   in Loop: Header=BB30_12 Depth=1
	v_add_u32_e32 v1, v194, v220
	v_add_u32_e32 v1, 64, v1
	ds_write2st64_b32 v1, v17, v17 offset0:41 offset1:42
                                        ; implicit-def: $vgpr1
; %bb.37:                               ;   in Loop: Header=BB30_12 Depth=1
	s_andn2_saveexec_b64 s[8:9], s[8:9]
	s_cbranch_execz .LBB30_39
; %bb.38:                               ;   in Loop: Header=BB30_12 Depth=1
	v_mad_u64_u32 v[2:3], s[72:73], v1, s55, v[76:77]
	v_ashrrev_i32_e32 v3, 31, v2
	v_lshl_add_u64 v[2:3], v[2:3], 3, v[132:133]
	global_load_dwordx2 v[4:5], v[2:3], off
	s_nop 0
	global_load_dwordx2 v[2:3], v[2:3], off offset:512
	s_waitcnt vmcnt(1)
	v_cvt_pk_f16_f32 v1, v4, v5
	s_waitcnt vmcnt(0)
	v_cvt_pk_f16_f32 v2, v2, v3
	v_pk_mul_f16 v1, v1, v212
	v_pk_mul_f16 v2, v2, v212
	ds_write2st64_b32 v231, v1, v2 offset1:1
.LBB30_39:                              ;   in Loop: Header=BB30_12 Depth=1
	s_or_b64 exec, exec, s[8:9]
	v_add_u32_e32 v1, v232, v77
	v_cmp_le_i32_e32 vcc, s36, v1
	s_or_b64 s[8:9], vcc, s[12:13]
	s_and_saveexec_b64 s[72:73], s[8:9]
	s_xor_b64 s[8:9], exec, s[72:73]
; %bb.40:                               ;   in Loop: Header=BB30_12 Depth=1
	v_add_u32_e32 v1, v194, v220
	;; [unrolled: 29-line block ×3, first 2 shown]
	v_add_u32_e32 v1, 0xc0, v1
	ds_write2st64_b32 v1, v17, v17 offset0:57 offset1:58
                                        ; implicit-def: $vgpr1
; %bb.45:                               ;   in Loop: Header=BB30_12 Depth=1
	s_andn2_saveexec_b64 s[8:9], s[8:9]
	s_cbranch_execz .LBB30_47
; %bb.46:                               ;   in Loop: Header=BB30_12 Depth=1
	v_mad_u64_u32 v[2:3], s[12:13], v1, s55, v[76:77]
	v_ashrrev_i32_e32 v3, 31, v2
	v_lshl_add_u64 v[2:3], v[2:3], 3, v[132:133]
	global_load_dwordx2 v[4:5], v[2:3], off
	s_nop 0
	global_load_dwordx2 v[2:3], v[2:3], off offset:512
	s_waitcnt vmcnt(1)
	v_cvt_pk_f16_f32 v1, v4, v5
	s_waitcnt vmcnt(0)
	v_cvt_pk_f16_f32 v2, v2, v3
	v_pk_mul_f16 v1, v1, v212
	v_pk_mul_f16 v2, v2, v212
	ds_write2st64_b32 v235, v1, v2 offset1:1
.LBB30_47:                              ;   in Loop: Header=BB30_12 Depth=1
	s_or_b64 exec, exec, s[8:9]
	s_waitcnt lgkmcnt(0)
	s_barrier
	ds_read2_b64 a[28:31], v71 offset1:4
	ds_read2_b64 a[24:27], v71 offset0:8 offset1:12
	ds_read2_b64 a[20:23], v71 offset0:16 offset1:20
	;; [unrolled: 1-line block ×7, first 2 shown]
	v_add_u32_e32 v142, -1, v138
	v_cmp_lt_i32_e32 vcc, s70, v142
	s_mov_b64 s[8:9], -1
	s_waitcnt lgkmcnt(0)
	s_barrier
	s_cbranch_vccnz .LBB30_49
; %bb.48:                               ;   in Loop: Header=BB30_12 Depth=1
	s_mov_b64 s[8:9], 0
.LBB30_49:                              ;   in Loop: Header=BB30_12 Depth=1
	v_add_u32_e32 v1, v77, v75
	v_mul_hi_u32 v2, s44, v1
	v_add_u32_e32 v2, v1, v2
	v_lshrrev_b32_e32 v2, s45, v2
	v_mul_lo_u32 v2, v2, s36
	v_sub_u32_e32 v1, v1, v2
	s_andn2_b64 vcc, exec, s[8:9]
	v_mad_i64_i32 v[134:135], s[8:9], v1, s38, 0
	s_cbranch_vccnz .LBB30_86
; %bb.50:                               ;   in Loop: Header=BB30_12 Depth=1
	v_lshl_add_u64 v[2:3], v[134:135], 1, v[120:121]
	v_lshlrev_b32_e32 v16, 1, v34
	v_and_b32_e32 v1, 64, v211
	v_lshl_add_u64 v[136:137], v[2:3], 0, v[16:17]
	v_add_u32_e32 v1, 64, v1
	v_xor_b32_e32 v2, 32, v211
	v_cmp_lt_i32_e32 vcc, v2, v1
	s_lshl_b32 s8, s70, 6
	v_mov_b32_e32 v68, 0
	v_cndmask_b32_e32 v2, v211, v2, vcc
	v_lshlrev_b32_e32 v144, 2, v2
	v_xor_b32_e32 v2, 16, v211
	v_cmp_lt_i32_e32 vcc, v2, v1
	v_mov_b32_e32 v13, 0xfeffffff
	v_mov_b32_e32 v176, 0
	v_cndmask_b32_e32 v1, v211, v2, vcc
	v_lshlrev_b32_e32 v145, 2, v1
	v_mov_b32_e32 v1, 0
	v_mov_b32_e32 v154, 0
	;; [unrolled: 1-line block ×31, first 2 shown]
.LBB30_51:                              ;   Parent Loop BB30_12 Depth=1
                                        ; =>  This Inner Loop Header: Depth=2
	s_ashr_i32 s9, s8, 31
	v_lshl_add_u64 v[2:3], s[8:9], 1, v[136:137]
	global_load_dword v2, v[2:3], off
	s_mul_hi_i32 s13, s8, s34
	s_mul_i32 s12, s8, s34
	s_lshl_b64 s[12:13], s[12:13], 2
	v_lshlrev_b32_e32 v16, 2, v14
	s_waitcnt vmcnt(0)
	ds_write_b32 v165, v2 offset:33792
	v_lshl_add_u64 v[2:3], v[118:119], 0, s[12:13]
	v_lshl_add_u64 v[4:5], v[18:19], 2, v[2:3]
	;; [unrolled: 1-line block ×11, first 2 shown]
	global_load_dwordx4 v[2:5], v[4:5], off
	v_lshl_add_u64 v[6:7], v[6:7], 0, v[16:17]
	v_lshl_add_u64 v[8:9], v[8:9], 0, v[16:17]
	v_lshl_add_u64 v[56:57], v[56:57], 0, v[16:17]
	v_lshl_add_u64 v[72:73], v[72:73], 0, v[16:17]
	v_lshl_add_u64 v[78:79], v[78:79], 0, v[16:17]
	v_lshl_add_u64 v[80:81], v[80:81], 0, v[16:17]
	s_waitcnt vmcnt(0)
	ds_write_b128 v156, v[2:5]
	global_load_dwordx4 v[2:5], v[6:7], off
	v_add_u32_e32 v6, 0x4000, v158
	s_waitcnt vmcnt(0)
	ds_write_b128 v213, v[2:5]
	global_load_dwordx4 v[2:5], v[8:9], off
	s_waitcnt vmcnt(0)
	ds_write_b128 v214, v[2:5]
	global_load_dwordx4 v[2:5], v[56:57], off
                                        ; implicit-def: $vgpr56
	s_waitcnt vmcnt(0)
	ds_write_b128 v215, v[2:5]
	global_load_dwordx4 v[2:5], v[72:73], off
	s_waitcnt vmcnt(0)
	ds_write_b128 v216, v[2:5]
	global_load_dwordx4 v[2:5], v[78:79], off
	;; [unrolled: 3-line block ×4, first 2 shown]
	s_waitcnt vmcnt(0)
	ds_write_b128 v219, v[2:5]
	s_waitcnt lgkmcnt(0)
	s_barrier
	ds_read2_b64 v[2:5], v158 offset1:4
	s_waitcnt lgkmcnt(0)
	v_mfma_f32_16x16x16_f16 a[0:3], v[2:3], a[28:29], 0
	v_mfma_f32_16x16x16_f16 a[0:3], v[4:5], a[30:31], a[0:3]
	ds_read2_b64 v[2:5], v158 offset0:8 offset1:12
	s_waitcnt lgkmcnt(0)
	v_mfma_f32_16x16x16_f16 a[0:3], v[2:3], a[24:25], a[0:3]
	v_mfma_f32_16x16x16_f16 a[0:3], v[4:5], a[26:27], a[0:3]
	ds_read2_b64 v[2:5], v158 offset0:16 offset1:20
	s_waitcnt lgkmcnt(0)
	v_mfma_f32_16x16x16_f16 a[0:3], v[2:3], a[20:21], a[0:3]
	v_mfma_f32_16x16x16_f16 a[0:3], v[4:5], a[22:23], a[0:3]
	ds_read2_b64 v[2:5], v158 offset0:24 offset1:28
	s_waitcnt lgkmcnt(0)
	v_mfma_f32_16x16x16_f16 a[0:3], v[2:3], a[16:17], a[0:3]
	v_mfma_f32_16x16x16_f16 a[0:3], v[4:5], a[18:19], a[0:3]
	ds_read2_b64 v[2:5], v158 offset0:32 offset1:36
	s_waitcnt lgkmcnt(0)
	v_mfma_f32_16x16x16_f16 a[0:3], v[2:3], a[12:13], a[0:3]
	v_mfma_f32_16x16x16_f16 a[0:3], v[4:5], a[14:15], a[0:3]
	ds_read2_b64 v[2:5], v158 offset0:40 offset1:44
	s_waitcnt lgkmcnt(0)
	v_mfma_f32_16x16x16_f16 a[0:3], v[2:3], a[8:9], a[0:3]
	v_mfma_f32_16x16x16_f16 a[0:3], v[4:5], a[10:11], a[0:3]
	ds_read2_b64 v[2:5], v158 offset0:48 offset1:52
	s_waitcnt lgkmcnt(0)
	v_mfma_f32_16x16x16_f16 a[0:3], v[2:3], v[252:253], a[0:3]
	v_mfma_f32_16x16x16_f16 a[0:3], v[4:5], v[254:255], a[0:3]
	ds_read2_b64 v[2:5], v158 offset0:56 offset1:60
	s_waitcnt lgkmcnt(0)
	v_mfma_f32_16x16x16_f16 a[0:3], v[2:3], v[248:249], a[0:3]
	v_mfma_f32_16x16x16_f16 a[0:3], v[4:5], v[250:251], a[0:3]
	ds_read2_b64 v[2:5], v6 offset0:64 offset1:68
	s_waitcnt lgkmcnt(0)
	v_mfma_f32_16x16x16_f16 a[4:7], v[2:3], a[28:29], 0
	s_nop 4
	v_accvgpr_read_b32 v35, a0
	v_cmp_nlt_f32_e64 s[12:13], |v35|, s39
	v_mfma_f32_16x16x16_f16 a[4:7], v[4:5], a[30:31], a[4:7]
	ds_read2_b64 v[2:5], v6 offset0:72 offset1:76
	s_waitcnt lgkmcnt(0)
	v_mfma_f32_16x16x16_f16 a[4:7], v[2:3], a[24:25], a[4:7]
	v_mfma_f32_16x16x16_f16 a[4:7], v[4:5], a[26:27], a[4:7]
	ds_read2_b64 v[2:5], v6 offset0:80 offset1:84
	s_waitcnt lgkmcnt(0)
	v_mfma_f32_16x16x16_f16 a[4:7], v[2:3], a[20:21], a[4:7]
	v_mfma_f32_16x16x16_f16 a[4:7], v[4:5], a[22:23], a[4:7]
	ds_read2_b64 v[2:5], v6 offset0:88 offset1:92
	s_waitcnt lgkmcnt(0)
	v_mfma_f32_16x16x16_f16 a[4:7], v[2:3], a[16:17], a[4:7]
	v_mfma_f32_16x16x16_f16 a[4:7], v[4:5], a[18:19], a[4:7]
	ds_read2_b64 v[2:5], v6 offset0:96 offset1:100
	s_waitcnt lgkmcnt(0)
	v_mfma_f32_16x16x16_f16 a[4:7], v[2:3], a[12:13], a[4:7]
	v_mfma_f32_16x16x16_f16 a[4:7], v[4:5], a[14:15], a[4:7]
	ds_read2_b64 v[2:5], v6 offset0:104 offset1:108
	s_waitcnt lgkmcnt(0)
	v_mfma_f32_16x16x16_f16 a[4:7], v[2:3], a[8:9], a[4:7]
	v_mfma_f32_16x16x16_f16 a[4:7], v[4:5], a[10:11], a[4:7]
	ds_read2_b64 v[2:5], v6 offset0:112 offset1:116
	s_waitcnt lgkmcnt(0)
	v_mfma_f32_16x16x16_f16 a[4:7], v[2:3], v[252:253], a[4:7]
	v_mfma_f32_16x16x16_f16 a[4:7], v[4:5], v[254:255], a[4:7]
	ds_read2_b64 v[2:5], v6 offset0:120 offset1:124
	s_waitcnt lgkmcnt(0)
	s_barrier
	v_mfma_f32_16x16x16_f16 a[4:7], v[2:3], v[248:249], a[4:7]
	v_mfma_f32_16x16x16_f16 a[4:7], v[4:5], v[250:251], a[4:7]
	s_and_saveexec_b64 s[72:73], s[12:13]
	s_xor_b64 s[12:13], exec, s[72:73]
	s_cbranch_execz .LBB30_53
; %bb.52:                               ;   in Loop: Header=BB30_51 Depth=2
	v_add_f32_e64 v2, |v35|, |v35|
	v_mul_f32_e32 v3, 0x3fb8aa3b, v2
	v_rndne_f32_e32 v4, v3
	v_sub_f32_e32 v5, v3, v4
	v_fma_f32 v3, v2, s63, -v3
	v_fmac_f32_e32 v3, 0x32a5705f, v2
	v_add_f32_e32 v3, v5, v3
	v_cvt_i32_f32_e32 v4, v4
	v_exp_f32_e32 v3, v3
	v_cmp_ngt_f32_e32 vcc, s90, v2
	v_ldexp_f32 v3, v3, v4
	s_nop 0
	v_cndmask_b32_e32 v3, 0, v3, vcc
	v_cmp_nlt_f32_e32 vcc, s91, v2
	s_nop 1
	v_cndmask_b32_e32 v2, v246, v3, vcc
	v_add_f32_e32 v2, 1.0, v2
	v_rcp_f32_e32 v2, v2
	s_nop 0
	v_fma_f32 v56, v2, -2.0, 1.0
.LBB30_53:                              ;   in Loop: Header=BB30_51 Depth=2
	s_andn2_saveexec_b64 s[12:13], s[12:13]
; %bb.54:                               ;   in Loop: Header=BB30_51 Depth=2
	v_mul_f32_e32 v2, v35, v35
	v_fmamk_f32 v3, v2, 0xbbbac73d, v245
	v_fmaak_f32 v3, v2, v3, 0xbd5c1c4e
	v_fmaak_f32 v3, v2, v3, 0x3e088382
	;; [unrolled: 1-line block ×3, first 2 shown]
	v_mul_f32_e64 v3, |v35|, v3
	v_fma_f32 v56, v2, v3, |v35|
; %bb.55:                               ;   in Loop: Header=BB30_51 Depth=2
	s_or_b64 exec, exec, s[12:13]
	v_accvgpr_read_b32 v5, a3
	v_accvgpr_read_b32 v3, a1
	;; [unrolled: 1-line block ×4, first 2 shown]
	v_cmp_nlt_f32_e64 s[12:13], |v3|, s39
                                        ; implicit-def: $vgpr2
	s_and_saveexec_b64 s[72:73], s[12:13]
	s_xor_b64 s[12:13], exec, s[72:73]
	s_cbranch_execz .LBB30_57
; %bb.56:                               ;   in Loop: Header=BB30_51 Depth=2
	v_add_f32_e64 v2, |v3|, |v3|
	v_mul_f32_e32 v6, 0x3fb8aa3b, v2
	v_rndne_f32_e32 v7, v6
	v_sub_f32_e32 v8, v6, v7
	v_fma_f32 v6, v2, s63, -v6
	v_fmac_f32_e32 v6, 0x32a5705f, v2
	v_add_f32_e32 v6, v8, v6
	v_cvt_i32_f32_e32 v7, v7
	v_exp_f32_e32 v6, v6
	v_cmp_ngt_f32_e32 vcc, s90, v2
	v_ldexp_f32 v6, v6, v7
	s_nop 0
	v_cndmask_b32_e32 v6, 0, v6, vcc
	v_cmp_nlt_f32_e32 vcc, s91, v2
	s_nop 1
	v_cndmask_b32_e32 v2, v246, v6, vcc
	v_add_f32_e32 v2, 1.0, v2
	v_rcp_f32_e32 v2, v2
	s_nop 0
	v_fma_f32 v2, v2, -2.0, 1.0
.LBB30_57:                              ;   in Loop: Header=BB30_51 Depth=2
	s_andn2_saveexec_b64 s[12:13], s[12:13]
; %bb.58:                               ;   in Loop: Header=BB30_51 Depth=2
	v_mul_f32_e32 v2, v3, v3
	v_fmamk_f32 v6, v2, 0xbbbac73d, v245
	v_fmaak_f32 v6, v2, v6, 0xbd5c1c4e
	v_fmaak_f32 v6, v2, v6, 0x3e088382
	;; [unrolled: 1-line block ×3, first 2 shown]
	v_mul_f32_e64 v6, |v3|, v6
	v_fma_f32 v2, v2, v6, |v3|
; %bb.59:                               ;   in Loop: Header=BB30_51 Depth=2
	s_or_b64 exec, exec, s[12:13]
	v_cmp_nlt_f32_e64 s[12:13], |v4|, s39
                                        ; implicit-def: $vgpr57
	s_and_saveexec_b64 s[72:73], s[12:13]
	s_xor_b64 s[12:13], exec, s[72:73]
	s_cbranch_execz .LBB30_61
; %bb.60:                               ;   in Loop: Header=BB30_51 Depth=2
	v_add_f32_e64 v6, |v4|, |v4|
	v_mul_f32_e32 v7, 0x3fb8aa3b, v6
	v_rndne_f32_e32 v8, v7
	v_sub_f32_e32 v9, v7, v8
	v_fma_f32 v7, v6, s63, -v7
	v_fmac_f32_e32 v7, 0x32a5705f, v6
	v_add_f32_e32 v7, v9, v7
	v_cvt_i32_f32_e32 v8, v8
	v_exp_f32_e32 v7, v7
	v_cmp_ngt_f32_e32 vcc, s90, v6
	v_ldexp_f32 v7, v7, v8
	s_nop 0
	v_cndmask_b32_e32 v7, 0, v7, vcc
	v_cmp_nlt_f32_e32 vcc, s91, v6
	s_nop 1
	v_cndmask_b32_e32 v6, v246, v7, vcc
	v_add_f32_e32 v6, 1.0, v6
	v_rcp_f32_e32 v6, v6
	s_nop 0
	v_fma_f32 v57, v6, -2.0, 1.0
.LBB30_61:                              ;   in Loop: Header=BB30_51 Depth=2
	s_andn2_saveexec_b64 s[12:13], s[12:13]
; %bb.62:                               ;   in Loop: Header=BB30_51 Depth=2
	v_mul_f32_e32 v6, v4, v4
	v_fmamk_f32 v7, v6, 0xbbbac73d, v245
	v_fmaak_f32 v7, v6, v7, 0xbd5c1c4e
	v_fmaak_f32 v7, v6, v7, 0x3e088382
	;; [unrolled: 1-line block ×3, first 2 shown]
	v_mul_f32_e64 v7, |v4|, v7
	v_fma_f32 v57, v6, v7, |v4|
; %bb.63:                               ;   in Loop: Header=BB30_51 Depth=2
	s_or_b64 exec, exec, s[12:13]
	v_cmp_nlt_f32_e64 s[12:13], |v5|, s39
                                        ; implicit-def: $vgpr59
	s_and_saveexec_b64 s[72:73], s[12:13]
	s_xor_b64 s[12:13], exec, s[72:73]
	s_cbranch_execz .LBB30_65
; %bb.64:                               ;   in Loop: Header=BB30_51 Depth=2
	v_add_f32_e64 v6, |v5|, |v5|
	v_mul_f32_e32 v7, 0x3fb8aa3b, v6
	v_rndne_f32_e32 v8, v7
	v_sub_f32_e32 v9, v7, v8
	v_fma_f32 v7, v6, s63, -v7
	v_fmac_f32_e32 v7, 0x32a5705f, v6
	v_add_f32_e32 v7, v9, v7
	v_cvt_i32_f32_e32 v8, v8
	v_exp_f32_e32 v7, v7
	v_cmp_ngt_f32_e32 vcc, s90, v6
	v_ldexp_f32 v7, v7, v8
	s_nop 0
	v_cndmask_b32_e32 v7, 0, v7, vcc
	v_cmp_nlt_f32_e32 vcc, s91, v6
	s_nop 1
	v_cndmask_b32_e32 v6, v246, v7, vcc
	v_add_f32_e32 v6, 1.0, v6
	v_rcp_f32_e32 v6, v6
	s_nop 0
	v_fma_f32 v59, v6, -2.0, 1.0
.LBB30_65:                              ;   in Loop: Header=BB30_51 Depth=2
	s_andn2_saveexec_b64 s[12:13], s[12:13]
; %bb.66:                               ;   in Loop: Header=BB30_51 Depth=2
	v_mul_f32_e32 v6, v5, v5
	v_fmamk_f32 v7, v6, 0xbbbac73d, v245
	v_fmaak_f32 v7, v6, v7, 0xbd5c1c4e
	v_fmaak_f32 v7, v6, v7, 0x3e088382
	;; [unrolled: 1-line block ×3, first 2 shown]
	v_mul_f32_e64 v7, |v5|, v7
	v_fma_f32 v59, v6, v7, |v5|
; %bb.67:                               ;   in Loop: Header=BB30_51 Depth=2
	s_or_b64 exec, exec, s[12:13]
	v_accvgpr_read_b32 v9, a7
	v_accvgpr_read_b32 v6, a4
	;; [unrolled: 1-line block ×4, first 2 shown]
	v_cmp_nlt_f32_e64 s[12:13], |v6|, s39
                                        ; implicit-def: $vgpr61
	s_and_saveexec_b64 s[72:73], s[12:13]
	s_xor_b64 s[12:13], exec, s[72:73]
	s_cbranch_execz .LBB30_69
; %bb.68:                               ;   in Loop: Header=BB30_51 Depth=2
	v_add_f32_e64 v61, |v6|, |v6|
	v_mul_f32_e32 v63, 0x3fb8aa3b, v61
	v_rndne_f32_e32 v67, v63
	v_sub_f32_e32 v72, v63, v67
	v_fma_f32 v63, v61, s63, -v63
	v_fmac_f32_e32 v63, 0x32a5705f, v61
	v_add_f32_e32 v63, v72, v63
	v_cvt_i32_f32_e32 v67, v67
	v_exp_f32_e32 v63, v63
	v_cmp_ngt_f32_e32 vcc, s90, v61
	v_ldexp_f32 v63, v63, v67
	s_nop 0
	v_cndmask_b32_e32 v63, 0, v63, vcc
	v_cmp_nlt_f32_e32 vcc, s91, v61
	s_nop 1
	v_cndmask_b32_e32 v61, v246, v63, vcc
	v_add_f32_e32 v61, 1.0, v61
	v_rcp_f32_e32 v61, v61
	s_nop 0
	v_fma_f32 v61, v61, -2.0, 1.0
.LBB30_69:                              ;   in Loop: Header=BB30_51 Depth=2
	s_andn2_saveexec_b64 s[12:13], s[12:13]
; %bb.70:                               ;   in Loop: Header=BB30_51 Depth=2
	v_mul_f32_e32 v61, v6, v6
	v_fmamk_f32 v63, v61, 0xbbbac73d, v245
	v_fmaak_f32 v63, v61, v63, 0xbd5c1c4e
	v_fmaak_f32 v63, v61, v63, 0x3e088382
	;; [unrolled: 1-line block ×3, first 2 shown]
	v_mul_f32_e64 v63, |v6|, v63
	v_fma_f32 v61, v61, v63, |v6|
; %bb.71:                               ;   in Loop: Header=BB30_51 Depth=2
	s_or_b64 exec, exec, s[12:13]
	v_cmp_nlt_f32_e64 s[12:13], |v7|, s39
                                        ; implicit-def: $vgpr63
	s_and_saveexec_b64 s[72:73], s[12:13]
	s_xor_b64 s[12:13], exec, s[72:73]
	s_cbranch_execz .LBB30_73
; %bb.72:                               ;   in Loop: Header=BB30_51 Depth=2
	v_add_f32_e64 v63, |v7|, |v7|
	v_mul_f32_e32 v67, 0x3fb8aa3b, v63
	v_rndne_f32_e32 v72, v67
	v_sub_f32_e32 v73, v67, v72
	v_fma_f32 v67, v63, s63, -v67
	v_fmac_f32_e32 v67, 0x32a5705f, v63
	v_add_f32_e32 v67, v73, v67
	v_cvt_i32_f32_e32 v72, v72
	v_exp_f32_e32 v67, v67
	v_cmp_ngt_f32_e32 vcc, s90, v63
	v_ldexp_f32 v67, v67, v72
	s_nop 0
	v_cndmask_b32_e32 v67, 0, v67, vcc
	v_cmp_nlt_f32_e32 vcc, s91, v63
	s_nop 1
	v_cndmask_b32_e32 v63, v246, v67, vcc
	v_add_f32_e32 v63, 1.0, v63
	v_rcp_f32_e32 v63, v63
	s_nop 0
	v_fma_f32 v63, v63, -2.0, 1.0
.LBB30_73:                              ;   in Loop: Header=BB30_51 Depth=2
	s_andn2_saveexec_b64 s[12:13], s[12:13]
; %bb.74:                               ;   in Loop: Header=BB30_51 Depth=2
	v_mul_f32_e32 v63, v7, v7
	v_fmamk_f32 v67, v63, 0xbbbac73d, v245
	v_fmaak_f32 v67, v63, v67, 0xbd5c1c4e
	v_fmaak_f32 v67, v63, v67, 0x3e088382
	;; [unrolled: 1-line block ×3, first 2 shown]
	v_mul_f32_e64 v67, |v7|, v67
	v_fma_f32 v63, v63, v67, |v7|
; %bb.75:                               ;   in Loop: Header=BB30_51 Depth=2
	s_or_b64 exec, exec, s[12:13]
	v_cmp_nlt_f32_e64 s[12:13], |v8|, s39
                                        ; implicit-def: $vgpr67
	s_and_saveexec_b64 s[72:73], s[12:13]
	s_xor_b64 s[12:13], exec, s[72:73]
	s_cbranch_execz .LBB30_77
; %bb.76:                               ;   in Loop: Header=BB30_51 Depth=2
	v_add_f32_e64 v67, |v8|, |v8|
	v_mul_f32_e32 v72, 0x3fb8aa3b, v67
	v_rndne_f32_e32 v73, v72
	v_sub_f32_e32 v78, v72, v73
	v_fma_f32 v72, v67, s63, -v72
	v_fmac_f32_e32 v72, 0x32a5705f, v67
	v_add_f32_e32 v72, v78, v72
	v_cvt_i32_f32_e32 v73, v73
	v_exp_f32_e32 v72, v72
	v_cmp_ngt_f32_e32 vcc, s90, v67
	v_ldexp_f32 v72, v72, v73
	s_nop 0
	v_cndmask_b32_e32 v72, 0, v72, vcc
	v_cmp_nlt_f32_e32 vcc, s91, v67
	s_nop 1
	v_cndmask_b32_e32 v67, v246, v72, vcc
	v_add_f32_e32 v67, 1.0, v67
	v_rcp_f32_e32 v67, v67
	s_nop 0
	v_fma_f32 v67, v67, -2.0, 1.0
.LBB30_77:                              ;   in Loop: Header=BB30_51 Depth=2
	s_andn2_saveexec_b64 s[12:13], s[12:13]
; %bb.78:                               ;   in Loop: Header=BB30_51 Depth=2
	v_mul_f32_e32 v67, v8, v8
	v_fmamk_f32 v72, v67, 0xbbbac73d, v245
	v_fmaak_f32 v72, v67, v72, 0xbd5c1c4e
	v_fmaak_f32 v72, v67, v72, 0x3e088382
	v_fmaak_f32 v72, v67, v72, 0xbeaaaa99
	v_mul_f32_e64 v72, |v8|, v72
	v_fma_f32 v67, v67, v72, |v8|
; %bb.79:                               ;   in Loop: Header=BB30_51 Depth=2
	s_or_b64 exec, exec, s[12:13]
	v_cmp_nlt_f32_e64 s[12:13], |v9|, s39
                                        ; implicit-def: $vgpr72
	s_and_saveexec_b64 s[72:73], s[12:13]
	s_xor_b64 s[12:13], exec, s[72:73]
	s_cbranch_execz .LBB30_81
; %bb.80:                               ;   in Loop: Header=BB30_51 Depth=2
	v_add_f32_e64 v72, |v9|, |v9|
	v_mul_f32_e32 v73, 0x3fb8aa3b, v72
	v_rndne_f32_e32 v78, v73
	v_sub_f32_e32 v79, v73, v78
	v_fma_f32 v73, v72, s63, -v73
	v_fmac_f32_e32 v73, 0x32a5705f, v72
	v_add_f32_e32 v73, v79, v73
	v_cvt_i32_f32_e32 v78, v78
	v_exp_f32_e32 v73, v73
	v_cmp_ngt_f32_e32 vcc, s90, v72
	v_ldexp_f32 v73, v73, v78
	s_nop 0
	v_cndmask_b32_e32 v73, 0, v73, vcc
	v_cmp_nlt_f32_e32 vcc, s91, v72
	s_nop 1
	v_cndmask_b32_e32 v72, v246, v73, vcc
	v_add_f32_e32 v72, 1.0, v72
	v_rcp_f32_e32 v72, v72
	s_nop 0
	v_fma_f32 v72, v72, -2.0, 1.0
.LBB30_81:                              ;   in Loop: Header=BB30_51 Depth=2
	s_andn2_saveexec_b64 s[12:13], s[12:13]
; %bb.82:                               ;   in Loop: Header=BB30_51 Depth=2
	v_mul_f32_e32 v72, v9, v9
	v_fmamk_f32 v73, v72, 0xbbbac73d, v245
	v_fmaak_f32 v73, v72, v73, 0xbd5c1c4e
	v_fmaak_f32 v73, v72, v73, 0x3e088382
	;; [unrolled: 1-line block ×3, first 2 shown]
	v_mul_f32_e64 v73, |v9|, v73
	v_fma_f32 v72, v72, v73, |v9|
; %bb.83:                               ;   in Loop: Header=BB30_51 Depth=2
	s_or_b64 exec, exec, s[12:13]
	v_bfi_b32 v35, s92, v56, v35
	v_bfi_b32 v56, s92, v2, v3
	v_add_u32_e32 v2, 0x8400, v159
	ds_read2_b32 v[2:3], v2 offset1:1
	v_bfi_b32 v5, s92, v59, v5
	v_bfi_b32 v4, s92, v57, v4
	;; [unrolled: 1-line block ×4, first 2 shown]
	s_waitcnt lgkmcnt(0)
	v_fma_mix_f32 v4, s3, v4, v3 op_sel_hi:[0,0,1]
	v_fma_mix_f32 v3, s3, v5, v3 op_sel:[0,0,1] op_sel_hi:[0,0,1]
	ds_read_b32 v5, v166 offset:33792
	v_fma_mix_f32 v35, s3, v35, v2 op_sel_hi:[0,0,1]
	v_fma_mix_f32 v2, s3, v56, v2 op_sel:[0,0,1] op_sel_hi:[0,0,1]
	v_bfi_b32 v8, s92, v67, v8
	v_bfi_b32 v9, s92, v72, v9
	s_waitcnt lgkmcnt(0)
	v_fma_mix_f32 v56, s3, v6, v5 op_sel_hi:[0,0,1]
	ds_read_b32 v6, v167 offset:33792
	v_fma_mix_f32 v5, s3, v7, v5 op_sel:[0,0,1] op_sel_hi:[0,0,1]
	v_add_f32_e32 v7, 0x40051340, v2
	s_mul_hi_i32 s13, s8, s14
	s_mul_i32 s12, s8, s14
	s_waitcnt lgkmcnt(0)
	v_fma_mix_f32 v57, s3, v8, v6 op_sel_hi:[0,0,1]
	v_fma_mix_f32 v59, s3, v9, v6 op_sel:[0,0,1] op_sel_hi:[0,0,1]
	v_add_f32_e32 v6, 0x40051340, v35
	v_max3_f32 v6, v13, v6, v7
	v_add_f32_e32 v7, 0x40051340, v4
	v_add_f32_e32 v8, 0x40051340, v3
	v_max3_f32 v6, v6, v7, v8
	v_add_f32_e32 v7, 0x40051340, v56
	;; [unrolled: 3-line block ×3, first 2 shown]
	v_add_f32_e32 v8, 0x40051340, v59
	v_max3_f32 v6, v6, v7, v8
	ds_bpermute_b32 v7, v144, v6
	s_lshl_b64 s[12:13], s[12:13], 2
	s_add_i32 s70, s70, 1
	s_add_i32 s8, s8, 64
	s_waitcnt lgkmcnt(0)
	v_max_f32_e32 v7, v7, v7
	v_max_f32_e32 v6, v6, v7
	ds_bpermute_b32 v7, v145, v6
	s_waitcnt lgkmcnt(0)
	v_max_f32_e32 v7, v7, v7
	v_max_f32_e32 v141, v6, v7
	v_sub_f32_e32 v6, v35, v141
	v_mul_f32_e32 v7, 0x3fb8aa3b, v6
	v_fma_f32 v8, v6, s63, -v7
	v_rndne_f32_e32 v9, v7
	v_fmac_f32_e32 v8, 0x32a5705f, v6
	v_sub_f32_e32 v7, v7, v9
	v_add_f32_e32 v7, v7, v8
	v_exp_f32_e32 v7, v7
	v_cvt_i32_f32_e32 v8, v9
	v_cmp_ngt_f32_e32 vcc, s90, v6
	v_sub_f32_e32 v2, v2, v141
	v_sub_f32_e32 v4, v4, v141
	v_ldexp_f32 v7, v7, v8
	v_cndmask_b32_e32 v7, 0, v7, vcc
	v_cmp_nlt_f32_e32 vcc, s91, v6
	v_sub_f32_e32 v3, v3, v141
	s_nop 0
	v_cndmask_b32_e32 v6, v246, v7, vcc
	v_mul_f32_e32 v7, 0x3fb8aa3b, v2
	v_fma_f32 v8, v2, s63, -v7
	v_rndne_f32_e32 v9, v7
	v_fmac_f32_e32 v8, 0x32a5705f, v2
	v_sub_f32_e32 v7, v7, v9
	v_add_f32_e32 v7, v7, v8
	v_exp_f32_e32 v7, v7
	v_cvt_i32_f32_e32 v8, v9
	v_cmp_ngt_f32_e32 vcc, s90, v2
	v_ldexp_f32 v7, v7, v8
	v_mul_f32_e32 v8, 0x3fb8aa3b, v4
	v_fma_f32 v9, v4, s63, -v8
	v_rndne_f32_e32 v35, v8
	v_fmac_f32_e32 v9, 0x32a5705f, v4
	v_sub_f32_e32 v8, v8, v35
	v_add_f32_e32 v8, v8, v9
	v_exp_f32_e32 v8, v8
	v_cvt_i32_f32_e32 v9, v35
	v_cndmask_b32_e32 v7, 0, v7, vcc
	v_cmp_nlt_f32_e32 vcc, s91, v2
	v_ldexp_f32 v8, v8, v9
	s_nop 0
	v_cndmask_b32_e32 v7, v246, v7, vcc
	v_cmp_ngt_f32_e32 vcc, s90, v4
	v_add_f32_e32 v2, v6, v7
	s_nop 0
	v_cndmask_b32_e32 v8, 0, v8, vcc
	v_cmp_nlt_f32_e32 vcc, s91, v4
	v_mul_f32_e32 v4, 0x3fb8aa3b, v3
	v_fma_f32 v9, v3, s63, -v4
	v_rndne_f32_e32 v35, v4
	v_fmac_f32_e32 v9, 0x32a5705f, v3
	v_sub_f32_e32 v4, v4, v35
	v_add_f32_e32 v4, v4, v9
	v_exp_f32_e32 v4, v4
	v_cvt_i32_f32_e32 v9, v35
	v_cndmask_b32_e32 v8, v246, v8, vcc
	v_cmp_ngt_f32_e32 vcc, s90, v3
	v_add_f32_e32 v2, v8, v2
	v_ldexp_f32 v4, v4, v9
	v_cndmask_b32_e32 v4, 0, v4, vcc
	v_cmp_nlt_f32_e32 vcc, s91, v3
	v_sub_f32_e32 v3, v56, v141
	s_nop 0
	v_cndmask_b32_e32 v9, v246, v4, vcc
	v_mul_f32_e32 v4, 0x3fb8aa3b, v3
	v_fma_f32 v35, v3, s63, -v4
	v_rndne_f32_e32 v56, v4
	v_fmac_f32_e32 v35, 0x32a5705f, v3
	v_sub_f32_e32 v4, v4, v56
	v_add_f32_e32 v4, v4, v35
	v_exp_f32_e32 v4, v4
	v_cvt_i32_f32_e32 v35, v56
	v_cmp_ngt_f32_e32 vcc, s90, v3
	v_add_f32_e32 v2, v9, v2
	v_ldexp_f32 v4, v4, v35
	v_cndmask_b32_e32 v4, 0, v4, vcc
	v_cmp_nlt_f32_e32 vcc, s91, v3
	v_sub_f32_e32 v3, v5, v141
	s_nop 0
	v_cndmask_b32_e32 v153, v246, v4, vcc
	v_mul_f32_e32 v4, 0x3fb8aa3b, v3
	v_fma_f32 v5, v3, s63, -v4
	v_rndne_f32_e32 v35, v4
	v_fmac_f32_e32 v5, 0x32a5705f, v3
	v_sub_f32_e32 v4, v4, v35
	v_add_f32_e32 v4, v4, v5
	v_exp_f32_e32 v4, v4
	v_cvt_i32_f32_e32 v5, v35
	;; [unrolled: 16-line block ×4, first 2 shown]
	v_cmp_ngt_f32_e32 vcc, s90, v3
	v_add_f32_e32 v2, v174, v2
	v_ldexp_f32 v4, v4, v5
	v_cndmask_b32_e32 v4, 0, v4, vcc
	v_cmp_nlt_f32_e32 vcc, s91, v3
	s_nop 1
	v_cndmask_b32_e32 v72, v246, v4, vcc
	v_add_f32_e32 v143, v72, v2
	v_sub_f32_e32 v2, v13, v141
	v_mul_f32_e32 v3, 0x3fb8aa3b, v2
	v_fma_f32 v4, v2, s63, -v3
	v_rndne_f32_e32 v5, v3
	v_fmac_f32_e32 v4, 0x32a5705f, v2
	v_sub_f32_e32 v3, v3, v5
	v_add_f32_e32 v3, v3, v4
	v_exp_f32_e32 v3, v3
	v_cvt_i32_f32_e32 v4, v5
	v_cmp_ngt_f32_e32 vcc, s90, v2
	v_ldexp_f32 v3, v3, v4
	s_nop 0
	v_cndmask_b32_e32 v3, 0, v3, vcc
	v_cmp_nlt_f32_e32 vcc, s91, v2
	s_nop 1
	v_cndmask_b32_e32 v3, v246, v3, vcc
	v_cmp_le_f32_e32 vcc, s93, v2
	s_nop 1
	v_cndmask_b32_e32 v2, 0, v3, vcc
	v_fmac_f32_e32 v143, v1, v2
	v_cvt_f16_f32_e32 v1, v2
	v_cmp_lt_i32_e32 vcc, s70, v142
	s_and_b64 vcc, exec, vcc
	v_mul_u32_u24_e32 v2, 0x10001, v1
	v_pk_mul_f16 v148, v148, v2
	v_pk_mul_f16 v73, v147, v2
	v_pk_mul_f16 v147, v152, v2
	v_pk_mul_f16 v146, v146, v2
	v_pk_mul_f16 v151, v151, v2
	v_pk_mul_f16 v150, v150, v2
	v_pk_mul_f16 v63, v155, v2
	v_pk_mul_f16 v61, v64, v2
	v_pk_mul_f16 v59, v202, v2
	v_pk_mul_f16 v57, v201, v2
	v_pk_mul_f16 v35, v200, v2
	v_pk_mul_f16 v13, v199, v2
	v_pk_mul_f16 v56, v192, v2
	v_pk_mul_f16 v1, v58, v2
	v_pk_mul_f16 v175, v190, v2
	v_pk_mul_f16 v67, v189, v2
	v_pk_mul_f16 v186, v186, v2
	v_pk_mul_f16 v184, v184, v2
	v_pk_mul_f16 v189, v187, v2
	v_pk_mul_f16 v187, v179, v2
	v_pk_mul_f16 v192, v182, v2
	v_pk_mul_f16 v190, v62, v2
	v_pk_mul_f16 v179, v193, v2
	v_pk_mul_f16 v60, v60, v2
	v_pk_mul_f16 v182, v66, v2
	v_pk_mul_f16 v62, v185, v2
	v_pk_mul_f16 v204, v183, v2
	v_pk_mul_f16 v185, v181, v2
	v_pk_mul_f16 v154, v154, v2
	v_pk_mul_f16 v66, v149, v2
	v_pk_mul_f16 v149, v68, v2
	v_pk_mul_f16 v68, v176, v2
	v_lshl_add_u64 v[2:3], v[116:117], 0, s[12:13]
	v_lshl_add_u64 v[4:5], v[36:37], 2, v[2:3]
	;; [unrolled: 1-line block ×11, first 2 shown]
	global_load_dwordx4 v[2:5], v[4:5], off
	v_lshl_add_u64 v[78:79], v[78:79], 0, v[16:17]
	v_lshl_add_u64 v[80:81], v[80:81], 0, v[16:17]
	;; [unrolled: 1-line block ×6, first 2 shown]
	v_cvt_f32_f16_e32 v16, v148
	v_cvt_f32_f16_sdwa v58, v148 dst_sel:DWORD dst_unused:UNUSED_PAD src0_sel:WORD_1
	v_cvt_f32_f16_e32 v64, v73
	v_cvt_f32_f16_sdwa v73, v73 dst_sel:DWORD dst_unused:UNUSED_PAD src0_sel:WORD_1
	v_accvgpr_write_b32 a0, v16
	v_accvgpr_write_b32 a1, v58
	;; [unrolled: 1-line block ×4, first 2 shown]
	s_waitcnt vmcnt(0)
	ds_write_b128 v156, v[2:5]
	global_load_dwordx4 v[2:5], v[78:79], off
	s_waitcnt vmcnt(0)
	ds_write_b128 v213, v[2:5]
	global_load_dwordx4 v[2:5], v[80:81], off
	;; [unrolled: 3-line block ×7, first 2 shown]
	s_waitcnt vmcnt(0)
	ds_write_b128 v219, v[2:5]
	s_waitcnt lgkmcnt(0)
	s_barrier
	ds_read_u16 v2, v160 offset:528
	ds_read_u16 v3, v160 offset:1056
	ds_read_u16 v4, v161
	ds_read_u16 v78, v161 offset:32
	v_cvt_pk_f16_f32 v5, v8, v9
	s_waitcnt lgkmcnt(1)
	v_perm_b32 v3, v4, v3, s94
	ds_read_u16 v4, v160
	ds_read_u16 v79, v160 offset:32
	ds_read_u16 v8, v160 offset:16896
	;; [unrolled: 1-line block ×5, first 2 shown]
	s_waitcnt lgkmcnt(5)
	v_perm_b32 v2, v2, v4, s94
	v_cvt_pk_f16_f32 v4, v6, v7
	s_nop 1
	v_mfma_f32_16x16x16_f16 a[0:3], v[2:3], v[4:5], a[0:3]
	s_nop 7
	v_accvgpr_read_b32 v2, a0
	v_accvgpr_read_b32 v3, a1
	;; [unrolled: 1-line block ×4, first 2 shown]
	v_cvt_f16_f32_e32 v2, v2
	v_cvt_f16_f32_e32 v3, v3
	;; [unrolled: 1-line block ×4, first 2 shown]
	v_cvt_f32_f16_e32 v64, v2
	v_cvt_f32_f16_e32 v73, v3
	;; [unrolled: 1-line block ×4, first 2 shown]
	s_waitcnt lgkmcnt(0)
	v_perm_b32 v7, v58, v16, s94
	v_perm_b32 v6, v9, v8, s94
	ds_read_u16 v16, v160 offset:560
	ds_read_u16 v58, v160 offset:1088
	v_cvt_pk_f16_f32 v3, v174, v72
	v_cvt_pk_f16_f32 v2, v153, v173
	v_accvgpr_write_b32 a0, v64
	v_accvgpr_write_b32 a1, v73
	;; [unrolled: 1-line block ×4, first 2 shown]
	v_cvt_f32_f16_e32 v64, v147
	v_cvt_f32_f16_sdwa v80, v147 dst_sel:DWORD dst_unused:UNUSED_PAD src0_sel:WORD_1
	v_mfma_f32_16x16x16_f16 a[0:3], v[6:7], v[2:3], a[0:3]
	v_cvt_f32_f16_e32 v81, v146
	v_cvt_f32_f16_sdwa v146, v146 dst_sel:DWORD dst_unused:UNUSED_PAD src0_sel:WORD_1
	s_waitcnt lgkmcnt(0)
	v_perm_b32 v73, v78, v58, s94
	v_perm_b32 v72, v16, v79, s94
	s_nop 2
	v_accvgpr_read_b32 v6, a0
	v_accvgpr_read_b32 v7, a1
	v_accvgpr_read_b32 v8, a2
	v_accvgpr_read_b32 v9, a3
	v_accvgpr_write_b32 a0, v64
	v_accvgpr_write_b32 a1, v80
	v_accvgpr_write_b32 a2, v81
	v_accvgpr_write_b32 a3, v146
	s_nop 1
	v_mfma_f32_16x16x16_f16 a[0:3], v[72:73], v[4:5], a[0:3]
	ds_read_u16 v78, v160 offset:16928
	ds_read_u16 v79, v160 offset:17456
	ds_read_u16 v73, v160 offset:17984
	ds_read_u16 v80, v161 offset:16928
	s_waitcnt lgkmcnt(0)
	v_perm_b32 v73, v80, v73, s94
	s_nop 1
	v_accvgpr_read_b32 v16, a0
	v_accvgpr_read_b32 v58, a1
	;; [unrolled: 1-line block ×4, first 2 shown]
	v_cvt_f16_f32_e32 v16, v16
	v_cvt_f16_f32_e32 v58, v58
	v_cvt_f16_f32_e32 v64, v64
	v_cvt_f16_f32_e32 v72, v72
	v_cvt_f32_f16_e32 v16, v16
	v_cvt_f32_f16_e32 v58, v58
	;; [unrolled: 1-line block ×4, first 2 shown]
	v_perm_b32 v72, v79, v78, s94
	v_accvgpr_write_b32 a0, v16
	v_accvgpr_write_b32 a1, v58
	;; [unrolled: 1-line block ×4, first 2 shown]
	v_cvt_f32_f16_e32 v78, v151
	v_cvt_f32_f16_sdwa v79, v151 dst_sel:DWORD dst_unused:UNUSED_PAD src0_sel:WORD_1
	v_mfma_f32_16x16x16_f16 a[0:3], v[72:73], v[2:3], a[0:3]
	ds_read_u16 v58, v160 offset:64
	ds_read_u16 v64, v160 offset:592
	;; [unrolled: 1-line block ×4, first 2 shown]
	v_cvt_f32_f16_e32 v80, v150
	v_cvt_f32_f16_sdwa v81, v150 dst_sel:DWORD dst_unused:UNUSED_PAD src0_sel:WORD_1
	s_waitcnt lgkmcnt(0)
	v_perm_b32 v73, v73, v72, s94
	v_perm_b32 v72, v64, v58, s94
	v_accvgpr_read_b32 v16, a0
	v_accvgpr_read_b32 v146, a1
	;; [unrolled: 1-line block ×4, first 2 shown]
	v_accvgpr_write_b32 a0, v78
	v_accvgpr_write_b32 a1, v79
	;; [unrolled: 1-line block ×4, first 2 shown]
	ds_read_u16 v78, v160 offset:16960
	ds_read_u16 v79, v160 offset:17488
	;; [unrolled: 1-line block ×4, first 2 shown]
	v_mfma_f32_16x16x16_f16 a[0:3], v[72:73], v[4:5], a[0:3]
	s_nop 7
	v_accvgpr_read_b32 v58, a0
	v_accvgpr_read_b32 v64, a1
	;; [unrolled: 1-line block ×4, first 2 shown]
	v_cvt_f16_f32_e32 v58, v58
	v_cvt_f16_f32_e32 v64, v64
	v_cvt_f16_f32_e32 v72, v72
	v_cvt_f16_f32_e32 v73, v73
	v_cvt_f32_f16_e32 v58, v58
	v_cvt_f32_f16_e32 v64, v64
	;; [unrolled: 1-line block ×4, first 2 shown]
	s_waitcnt lgkmcnt(0)
	v_perm_b32 v73, v81, v80, s94
	v_perm_b32 v72, v79, v78, s94
	v_accvgpr_write_b32 a0, v58
	v_accvgpr_write_b32 a1, v64
	;; [unrolled: 1-line block ×4, first 2 shown]
	v_cvt_f32_f16_e32 v78, v63
	v_cvt_f32_f16_sdwa v63, v63 dst_sel:DWORD dst_unused:UNUSED_PAD src0_sel:WORD_1
	v_mfma_f32_16x16x16_f16 a[0:3], v[72:73], v[2:3], a[0:3]
	ds_read_u16 v58, v160 offset:96
	ds_read_u16 v64, v160 offset:624
	;; [unrolled: 1-line block ×4, first 2 shown]
	v_cvt_f32_f16_e32 v79, v61
	v_cvt_f32_f16_sdwa v61, v61 dst_sel:DWORD dst_unused:UNUSED_PAD src0_sel:WORD_1
	v_cvt_f32_f16_sdwa v81, v185 dst_sel:DWORD dst_unused:UNUSED_PAD src0_sel:WORD_1
	s_waitcnt lgkmcnt(0)
	v_perm_b32 v73, v73, v72, s94
	v_perm_b32 v72, v64, v58, s94
	v_accvgpr_read_b32 v150, a0
	v_accvgpr_read_b32 v151, a1
	;; [unrolled: 1-line block ×4, first 2 shown]
	v_accvgpr_write_b32 a0, v78
	v_accvgpr_write_b32 a1, v63
	;; [unrolled: 1-line block ×4, first 2 shown]
	v_cvt_pk_f16_f32 v151, v150, v151
	v_cvt_pk_f16_f32 v150, v152, v153
	v_mfma_f32_16x16x16_f16 a[0:3], v[72:73], v[4:5], a[0:3]
	ds_read_u16 v72, v160 offset:16992
	ds_read_u16 v78, v160 offset:17520
	;; [unrolled: 1-line block ×4, first 2 shown]
	v_cvt_pk_f16_f32 v152, v16, v146
	v_cvt_pk_f16_f32 v146, v147, v148
	s_waitcnt lgkmcnt(2)
	v_perm_b32 v72, v78, v72, s94
	v_cvt_f32_f16_sdwa v78, v59 dst_sel:DWORD dst_unused:UNUSED_PAD src0_sel:WORD_1
	v_accvgpr_read_b32 v58, a0
	v_accvgpr_read_b32 v61, a1
	;; [unrolled: 1-line block ×4, first 2 shown]
	v_cvt_f16_f32_e32 v58, v58
	v_cvt_f16_f32_e32 v61, v61
	;; [unrolled: 1-line block ×4, first 2 shown]
	v_cvt_f32_f16_e32 v58, v58
	v_cvt_f32_f16_e32 v61, v61
	;; [unrolled: 1-line block ×4, first 2 shown]
	s_waitcnt lgkmcnt(0)
	v_perm_b32 v73, v79, v73, s94
	v_accvgpr_write_b32 a0, v58
	v_accvgpr_write_b32 a1, v61
	;; [unrolled: 1-line block ×4, first 2 shown]
	v_cvt_f32_f16_e32 v79, v57
	v_cvt_f32_f16_sdwa v57, v57 dst_sel:DWORD dst_unused:UNUSED_PAD src0_sel:WORD_1
	v_mfma_f32_16x16x16_f16 a[0:3], v[72:73], v[2:3], a[0:3]
	ds_read_u16 v58, v160 offset:128
	ds_read_u16 v61, v160 offset:656
	;; [unrolled: 1-line block ×4, first 2 shown]
	v_cvt_f32_f16_e32 v73, v59
	v_cvt_pk_f16_f32 v148, v6, v7
	s_waitcnt lgkmcnt(2)
	v_perm_b32 v58, v61, v58, s94
	v_cvt_pk_f16_f32 v147, v8, v9
	s_waitcnt lgkmcnt(0)
	v_perm_b32 v59, v72, v63, s94
	v_accvgpr_read_b32 v155, a0
	v_accvgpr_read_b32 v64, a1
	;; [unrolled: 1-line block ×4, first 2 shown]
	v_accvgpr_write_b32 a0, v73
	v_accvgpr_write_b32 a1, v78
	;; [unrolled: 1-line block ×4, first 2 shown]
	ds_read_u16 v63, v160 offset:17024
	ds_read_u16 v72, v160 offset:17552
	;; [unrolled: 1-line block ×4, first 2 shown]
	v_mfma_f32_16x16x16_f16 a[0:3], v[58:59], v[4:5], a[0:3]
	v_cvt_pk_f16_f32 v155, v155, v64
	v_cvt_pk_f16_f32 v64, v188, v191
	s_nop 5
	v_accvgpr_read_b32 v57, a0
	v_accvgpr_read_b32 v58, a1
	;; [unrolled: 1-line block ×4, first 2 shown]
	v_cvt_f16_f32_e32 v57, v57
	v_cvt_f16_f32_e32 v58, v58
	;; [unrolled: 1-line block ×4, first 2 shown]
	v_cvt_f32_f16_e32 v57, v57
	v_cvt_f32_f16_e32 v79, v58
	;; [unrolled: 1-line block ×4, first 2 shown]
	s_waitcnt lgkmcnt(0)
	v_perm_b32 v59, v78, v73, s94
	v_perm_b32 v58, v72, v63, s94
	v_accvgpr_write_b32 a0, v57
	v_accvgpr_write_b32 a1, v79
	;; [unrolled: 1-line block ×4, first 2 shown]
	v_cvt_f32_f16_e32 v63, v35
	v_cvt_f32_f16_sdwa v35, v35 dst_sel:DWORD dst_unused:UNUSED_PAD src0_sel:WORD_1
	v_mfma_f32_16x16x16_f16 a[0:3], v[58:59], v[2:3], a[0:3]
	ds_read_u16 v57, v160 offset:160
	ds_read_u16 v58, v160 offset:688
	;; [unrolled: 1-line block ×4, first 2 shown]
	v_cvt_f32_f16_e32 v72, v13
	v_cvt_f32_f16_sdwa v13, v13 dst_sel:DWORD dst_unused:UNUSED_PAD src0_sel:WORD_1
	s_waitcnt lgkmcnt(2)
	v_perm_b32 v58, v58, v57, s94
	v_cvt_f32_f16_sdwa v78, v62 dst_sel:DWORD dst_unused:UNUSED_PAD src0_sel:WORD_1
	s_waitcnt lgkmcnt(0)
	v_perm_b32 v59, v61, v59, s94
	v_accvgpr_read_b32 v205, a0
	v_accvgpr_read_b32 v206, a1
	;; [unrolled: 1-line block ×4, first 2 shown]
	v_accvgpr_write_b32 a0, v63
	v_accvgpr_write_b32 a1, v35
	;; [unrolled: 1-line block ×4, first 2 shown]
	v_cvt_f32_f16_sdwa v79, v204 dst_sel:DWORD dst_unused:UNUSED_PAD src0_sel:WORD_1
	v_cvt_f32_f16_e32 v80, v185
	v_mfma_f32_16x16x16_f16 a[0:3], v[58:59], v[4:5], a[0:3]
	ds_read_u16 v61, v160 offset:17056
	ds_read_u16 v63, v160 offset:17584
	;; [unrolled: 1-line block ×4, first 2 shown]
	s_waitcnt lgkmcnt(0)
	v_perm_b32 v59, v72, v59, s94
	s_nop 1
	v_accvgpr_read_b32 v13, a0
	v_accvgpr_read_b32 v35, a1
	;; [unrolled: 1-line block ×4, first 2 shown]
	v_cvt_f16_f32_e32 v13, v13
	v_cvt_f16_f32_e32 v35, v35
	;; [unrolled: 1-line block ×4, first 2 shown]
	v_cvt_f32_f16_e32 v13, v13
	v_cvt_f32_f16_e32 v35, v35
	;; [unrolled: 1-line block ×4, first 2 shown]
	v_perm_b32 v58, v63, v61, s94
	v_accvgpr_write_b32 a0, v13
	v_accvgpr_write_b32 a1, v35
	;; [unrolled: 1-line block ×4, first 2 shown]
	v_cvt_f32_f16_sdwa v61, v56 dst_sel:DWORD dst_unused:UNUSED_PAD src0_sel:WORD_1
	v_cvt_f32_f16_e32 v63, v1
	v_mfma_f32_16x16x16_f16 a[0:3], v[58:59], v[2:3], a[0:3]
	ds_read_u16 v13, v160 offset:192
	ds_read_u16 v35, v160 offset:720
	;; [unrolled: 1-line block ×4, first 2 shown]
	v_cvt_f32_f16_e32 v59, v56
	v_cvt_f32_f16_sdwa v1, v1 dst_sel:DWORD dst_unused:UNUSED_PAD src0_sel:WORD_1
	s_waitcnt lgkmcnt(2)
	v_perm_b32 v56, v35, v13, s94
	v_cvt_f32_f16_sdwa v72, v182 dst_sel:DWORD dst_unused:UNUSED_PAD src0_sel:WORD_1
	s_waitcnt lgkmcnt(0)
	v_perm_b32 v57, v58, v57, s94
	v_accvgpr_read_b32 v202, a0
	v_accvgpr_read_b32 v203, a1
	;; [unrolled: 1-line block ×4, first 2 shown]
	v_accvgpr_write_b32 a0, v59
	v_accvgpr_write_b32 a1, v61
	;; [unrolled: 1-line block ×4, first 2 shown]
	v_cvt_f32_f16_e32 v73, v62
	s_nop 0
	v_mfma_f32_16x16x16_f16 a[0:3], v[56:57], v[4:5], a[0:3]
	ds_read_u16 v58, v160 offset:17088
	ds_read_u16 v59, v160 offset:17616
	ds_read_u16 v57, v160 offset:18144
	ds_read_u16 v61, v161 offset:17088
	s_waitcnt lgkmcnt(0)
	v_perm_b32 v57, v61, v57, s94
	s_nop 1
	v_accvgpr_read_b32 v1, a0
	v_accvgpr_read_b32 v13, a1
	;; [unrolled: 1-line block ×4, first 2 shown]
	v_cvt_f16_f32_e32 v1, v1
	v_cvt_f16_f32_e32 v13, v13
	;; [unrolled: 1-line block ×4, first 2 shown]
	v_cvt_f32_f16_e32 v1, v1
	v_cvt_f32_f16_e32 v13, v13
	;; [unrolled: 1-line block ×4, first 2 shown]
	v_perm_b32 v56, v59, v58, s94
	v_accvgpr_write_b32 a0, v1
	v_accvgpr_write_b32 a1, v13
	;; [unrolled: 1-line block ×4, first 2 shown]
	v_cvt_f32_f16_e32 v59, v175
	v_cvt_f32_f16_sdwa v61, v175 dst_sel:DWORD dst_unused:UNUSED_PAD src0_sel:WORD_1
	v_mfma_f32_16x16x16_f16 a[0:3], v[56:57], v[2:3], a[0:3]
	ds_read_u16 v1, v160 offset:224
	ds_read_u16 v13, v160 offset:752
	;; [unrolled: 1-line block ×4, first 2 shown]
	v_cvt_f32_f16_e32 v63, v67
	v_cvt_f32_f16_sdwa v67, v67 dst_sel:DWORD dst_unused:UNUSED_PAD src0_sel:WORD_1
	s_waitcnt lgkmcnt(0)
	v_perm_b32 v57, v56, v35, s94
	v_perm_b32 v56, v13, v1, s94
	v_accvgpr_read_b32 v200, a0
	v_accvgpr_read_b32 v201, a1
	;; [unrolled: 1-line block ×4, first 2 shown]
	v_accvgpr_write_b32 a0, v59
	v_accvgpr_write_b32 a1, v61
	;; [unrolled: 1-line block ×4, first 2 shown]
	v_cvt_pk_f16_f32 v58, v239, v58
	s_nop 0
	v_mfma_f32_16x16x16_f16 a[0:3], v[56:57], v[4:5], a[0:3]
	s_nop 7
	v_accvgpr_read_b32 v56, a3
	v_accvgpr_read_b32 v1, a0
	;; [unrolled: 1-line block ×4, first 2 shown]
	v_cvt_f16_f32_e32 v57, v56
	ds_read_u16 v56, v160 offset:17120
	ds_read_u16 v59, v160 offset:17648
	;; [unrolled: 1-line block ×4, first 2 shown]
	v_cvt_f16_f32_e32 v1, v1
	v_cvt_f16_f32_e32 v13, v13
	v_cvt_f16_f32_e32 v35, v35
	v_cvt_f32_f16_e32 v67, v57
	v_cvt_f32_f16_e32 v1, v1
	;; [unrolled: 1-line block ×4, first 2 shown]
	s_waitcnt lgkmcnt(0)
	v_perm_b32 v57, v63, v61, s94
	v_perm_b32 v56, v59, v56, s94
	v_accvgpr_write_b32 a0, v1
	v_accvgpr_write_b32 a1, v13
	v_accvgpr_write_b32 a2, v35
	v_accvgpr_write_b32 a3, v67
	v_cvt_f32_f16_e32 v59, v186
	v_cvt_f32_f16_sdwa v61, v186 dst_sel:DWORD dst_unused:UNUSED_PAD src0_sel:WORD_1
	v_mfma_f32_16x16x16_f16 a[0:3], v[56:57], v[2:3], a[0:3]
	ds_read_u16 v1, v160 offset:256
	ds_read_u16 v13, v160 offset:784
	;; [unrolled: 1-line block ×4, first 2 shown]
	v_cvt_f32_f16_e32 v63, v184
	v_cvt_f32_f16_sdwa v67, v184 dst_sel:DWORD dst_unused:UNUSED_PAD src0_sel:WORD_1
	s_waitcnt lgkmcnt(0)
	v_perm_b32 v57, v56, v35, s94
	v_perm_b32 v56, v13, v1, s94
	v_accvgpr_read_b32 v199, a0
	v_accvgpr_read_b32 v240, a1
	;; [unrolled: 1-line block ×4, first 2 shown]
	v_accvgpr_write_b32 a0, v59
	v_accvgpr_write_b32 a1, v61
	v_accvgpr_write_b32 a2, v63
	v_accvgpr_write_b32 a3, v67
	s_nop 1
	v_mfma_f32_16x16x16_f16 a[0:3], v[56:57], v[4:5], a[0:3]
	ds_read_u16 v59, v160 offset:17152
	ds_read_u16 v61, v160 offset:17680
	;; [unrolled: 1-line block ×4, first 2 shown]
	s_waitcnt lgkmcnt(0)
	v_perm_b32 v57, v63, v57, s94
	s_nop 1
	v_accvgpr_read_b32 v1, a0
	v_accvgpr_read_b32 v13, a1
	;; [unrolled: 1-line block ×4, first 2 shown]
	v_cvt_f16_f32_e32 v1, v1
	v_cvt_f16_f32_e32 v13, v13
	;; [unrolled: 1-line block ×4, first 2 shown]
	v_cvt_f32_f16_e32 v1, v1
	v_cvt_f32_f16_e32 v13, v13
	;; [unrolled: 1-line block ×4, first 2 shown]
	v_perm_b32 v56, v61, v59, s94
	v_accvgpr_write_b32 a0, v1
	v_accvgpr_write_b32 a1, v13
	v_accvgpr_write_b32 a2, v35
	v_accvgpr_write_b32 a3, v67
	v_cvt_f32_f16_e32 v59, v189
	v_cvt_f32_f16_sdwa v61, v189 dst_sel:DWORD dst_unused:UNUSED_PAD src0_sel:WORD_1
	v_mfma_f32_16x16x16_f16 a[0:3], v[56:57], v[2:3], a[0:3]
	ds_read_u16 v1, v160 offset:288
	ds_read_u16 v13, v160 offset:816
	;; [unrolled: 1-line block ×4, first 2 shown]
	v_cvt_f32_f16_e32 v63, v187
	v_cvt_f32_f16_sdwa v67, v187 dst_sel:DWORD dst_unused:UNUSED_PAD src0_sel:WORD_1
	s_waitcnt lgkmcnt(0)
	v_perm_b32 v57, v56, v35, s94
	v_perm_b32 v56, v13, v1, s94
	v_accvgpr_read_b32 v177, a0
	v_accvgpr_read_b32 v178, a1
	;; [unrolled: 1-line block ×4, first 2 shown]
	v_accvgpr_write_b32 a0, v59
	v_accvgpr_write_b32 a1, v61
	;; [unrolled: 1-line block ×4, first 2 shown]
	v_cvt_pk_f16_f32 v184, v180, v184
	s_nop 0
	v_mfma_f32_16x16x16_f16 a[0:3], v[56:57], v[4:5], a[0:3]
	ds_read_u16 v59, v160 offset:17184
	ds_read_u16 v61, v160 offset:17712
	;; [unrolled: 1-line block ×4, first 2 shown]
	s_waitcnt lgkmcnt(0)
	v_perm_b32 v57, v63, v57, s94
	s_nop 1
	v_accvgpr_read_b32 v1, a0
	v_accvgpr_read_b32 v13, a1
	;; [unrolled: 1-line block ×4, first 2 shown]
	v_cvt_f16_f32_e32 v1, v1
	v_cvt_f16_f32_e32 v13, v13
	;; [unrolled: 1-line block ×4, first 2 shown]
	v_cvt_f32_f16_e32 v1, v1
	v_cvt_f32_f16_e32 v13, v13
	;; [unrolled: 1-line block ×4, first 2 shown]
	v_perm_b32 v56, v61, v59, s94
	v_accvgpr_write_b32 a0, v1
	v_accvgpr_write_b32 a1, v13
	;; [unrolled: 1-line block ×4, first 2 shown]
	v_cvt_f32_f16_e32 v59, v192
	v_cvt_f32_f16_sdwa v61, v192 dst_sel:DWORD dst_unused:UNUSED_PAD src0_sel:WORD_1
	v_mfma_f32_16x16x16_f16 a[0:3], v[56:57], v[2:3], a[0:3]
	ds_read_u16 v1, v160 offset:320
	ds_read_u16 v13, v160 offset:848
	;; [unrolled: 1-line block ×4, first 2 shown]
	v_cvt_f32_f16_e32 v63, v190
	v_cvt_f32_f16_sdwa v67, v190 dst_sel:DWORD dst_unused:UNUSED_PAD src0_sel:WORD_1
	s_waitcnt lgkmcnt(0)
	v_perm_b32 v57, v56, v35, s94
	v_perm_b32 v56, v13, v1, s94
	v_accvgpr_read_b32 v186, a0
	v_accvgpr_read_b32 v187, a1
	;; [unrolled: 1-line block ×4, first 2 shown]
	v_accvgpr_write_b32 a0, v59
	v_accvgpr_write_b32 a1, v61
	v_accvgpr_write_b32 a2, v63
	v_accvgpr_write_b32 a3, v67
	v_cvt_pk_f16_f32 v187, v186, v187
	v_cvt_pk_f16_f32 v186, v177, v178
	v_mfma_f32_16x16x16_f16 a[0:3], v[56:57], v[4:5], a[0:3]
	ds_read_u16 v59, v160 offset:17216
	ds_read_u16 v61, v160 offset:17744
	;; [unrolled: 1-line block ×4, first 2 shown]
	s_waitcnt lgkmcnt(0)
	v_perm_b32 v57, v63, v57, s94
	s_nop 1
	v_accvgpr_read_b32 v1, a0
	v_accvgpr_read_b32 v13, a1
	;; [unrolled: 1-line block ×4, first 2 shown]
	v_cvt_f16_f32_e32 v1, v1
	v_cvt_f16_f32_e32 v13, v13
	;; [unrolled: 1-line block ×4, first 2 shown]
	v_cvt_f32_f16_e32 v1, v1
	v_cvt_f32_f16_e32 v13, v13
	;; [unrolled: 1-line block ×4, first 2 shown]
	v_perm_b32 v56, v61, v59, s94
	v_accvgpr_write_b32 a0, v1
	v_accvgpr_write_b32 a1, v13
	;; [unrolled: 1-line block ×4, first 2 shown]
	v_cvt_f32_f16_e32 v59, v179
	v_cvt_f32_f16_sdwa v61, v179 dst_sel:DWORD dst_unused:UNUSED_PAD src0_sel:WORD_1
	v_mfma_f32_16x16x16_f16 a[0:3], v[56:57], v[2:3], a[0:3]
	ds_read_u16 v1, v160 offset:352
	ds_read_u16 v13, v160 offset:880
	;; [unrolled: 1-line block ×4, first 2 shown]
	v_cvt_f32_f16_e32 v63, v60
	v_cvt_f32_f16_sdwa v60, v60 dst_sel:DWORD dst_unused:UNUSED_PAD src0_sel:WORD_1
	s_waitcnt lgkmcnt(0)
	v_perm_b32 v57, v56, v35, s94
	v_perm_b32 v56, v13, v1, s94
	v_accvgpr_read_b32 v67, a0
	v_accvgpr_read_b32 v175, a1
	v_accvgpr_read_b32 v190, a2
	v_accvgpr_read_b32 v192, a3
	v_accvgpr_write_b32 a0, v59
	v_accvgpr_write_b32 a1, v61
	;; [unrolled: 1-line block ×4, first 2 shown]
	s_nop 1
	v_mfma_f32_16x16x16_f16 a[0:3], v[56:57], v[4:5], a[0:3]
	ds_read_u16 v59, v160 offset:17248
	ds_read_u16 v60, v160 offset:17776
	;; [unrolled: 1-line block ×4, first 2 shown]
	s_waitcnt lgkmcnt(0)
	v_perm_b32 v57, v61, v57, s94
	s_nop 1
	v_accvgpr_read_b32 v1, a0
	v_accvgpr_read_b32 v13, a1
	;; [unrolled: 1-line block ×4, first 2 shown]
	v_cvt_f16_f32_e32 v1, v1
	v_cvt_f16_f32_e32 v13, v13
	;; [unrolled: 1-line block ×4, first 2 shown]
	v_cvt_f32_f16_e32 v1, v1
	v_cvt_f32_f16_e32 v13, v13
	;; [unrolled: 1-line block ×4, first 2 shown]
	v_perm_b32 v56, v60, v59, s94
	v_accvgpr_write_b32 a0, v1
	v_accvgpr_write_b32 a1, v13
	;; [unrolled: 1-line block ×4, first 2 shown]
	v_cvt_f32_f16_e32 v61, v182
	s_nop 0
	v_mfma_f32_16x16x16_f16 a[0:3], v[56:57], v[2:3], a[0:3]
	ds_read_u16 v13, v160 offset:384
	ds_read_u16 v35, v160 offset:912
	;; [unrolled: 1-line block ×4, first 2 shown]
	s_waitcnt lgkmcnt(2)
	v_perm_b32 v62, v35, v13, s94
	s_waitcnt lgkmcnt(0)
	v_perm_b32 v63, v59, v57, s94
	v_accvgpr_read_b32 v1, a0
	v_accvgpr_read_b32 v56, a1
	;; [unrolled: 1-line block ×4, first 2 shown]
	v_accvgpr_write_b32 a0, v61
	v_accvgpr_write_b32 a1, v72
	;; [unrolled: 1-line block ×4, first 2 shown]
	v_cvt_f32_f16_e32 v78, v204
	v_cvt_pk_f16_f32 v193, v1, v56
	v_mfma_f32_16x16x16_f16 a[0:3], v[62:63], v[4:5], a[0:3]
	ds_read_u16 v61, v160 offset:17280
	ds_read_u16 v62, v160 offset:17808
	;; [unrolled: 1-line block ×4, first 2 shown]
	v_cvt_pk_f16_f32 v60, v60, v179
	v_cvt_pk_f16_f32 v179, v189, v198
	s_waitcnt lgkmcnt(2)
	v_perm_b32 v62, v62, v61, s94
	v_cvt_pk_f16_f32 v189, v241, v242
	v_accvgpr_read_b32 v13, a0
	v_accvgpr_read_b32 v35, a1
	;; [unrolled: 1-line block ×4, first 2 shown]
	v_cvt_f16_f32_e32 v13, v13
	v_cvt_f16_f32_e32 v35, v35
	;; [unrolled: 1-line block ×4, first 2 shown]
	v_cvt_f32_f16_e32 v13, v13
	v_cvt_f32_f16_e32 v35, v35
	;; [unrolled: 1-line block ×4, first 2 shown]
	s_waitcnt lgkmcnt(0)
	v_perm_b32 v63, v72, v63, s94
	v_accvgpr_write_b32 a0, v13
	v_accvgpr_write_b32 a1, v35
	;; [unrolled: 1-line block ×4, first 2 shown]
	s_nop 1
	v_mfma_f32_16x16x16_f16 a[0:3], v[62:63], v[2:3], a[0:3]
	ds_read_u16 v57, v160 offset:416
	ds_read_u16 v59, v160 offset:944
	;; [unrolled: 1-line block ×4, first 2 shown]
	s_waitcnt lgkmcnt(2)
	v_perm_b32 v72, v59, v57, s94
	s_waitcnt lgkmcnt(0)
	v_perm_b32 v73, v63, v61, s94
	v_accvgpr_read_b32 v13, a0
	v_accvgpr_read_b32 v35, a1
	;; [unrolled: 1-line block ×4, first 2 shown]
	v_accvgpr_write_b32 a0, v78
	v_accvgpr_write_b32 a1, v79
	;; [unrolled: 1-line block ×4, first 2 shown]
	v_cvt_f32_f16_e32 v80, v66
	v_cvt_f32_f16_sdwa v66, v66 dst_sel:DWORD dst_unused:UNUSED_PAD src0_sel:WORD_1
	v_mfma_f32_16x16x16_f16 a[0:3], v[72:73], v[4:5], a[0:3]
	ds_read_u16 v72, v160 offset:17312
	ds_read_u16 v78, v160 offset:17840
	;; [unrolled: 1-line block ×4, first 2 shown]
	s_waitcnt lgkmcnt(2)
	v_perm_b32 v72, v78, v72, s94
	v_cvt_f32_f16_e32 v78, v154
	s_nop 0
	v_accvgpr_read_b32 v57, a0
	v_accvgpr_read_b32 v59, a1
	;; [unrolled: 1-line block ×4, first 2 shown]
	v_cvt_f16_f32_e32 v57, v57
	v_cvt_f16_f32_e32 v59, v59
	;; [unrolled: 1-line block ×4, first 2 shown]
	v_cvt_f32_f16_e32 v57, v57
	v_cvt_f32_f16_e32 v59, v59
	;; [unrolled: 1-line block ×4, first 2 shown]
	s_waitcnt lgkmcnt(0)
	v_perm_b32 v73, v79, v73, s94
	v_accvgpr_write_b32 a0, v57
	v_accvgpr_write_b32 a1, v59
	;; [unrolled: 1-line block ×4, first 2 shown]
	v_cvt_f32_f16_sdwa v79, v154 dst_sel:DWORD dst_unused:UNUSED_PAD src0_sel:WORD_1
	s_nop 0
	v_mfma_f32_16x16x16_f16 a[0:3], v[72:73], v[2:3], a[0:3]
	ds_read_u16 v61, v160 offset:448
	ds_read_u16 v63, v160 offset:976
	ds_read_u16 v72, v160 offset:1504
	ds_read_u16 v73, v161 offset:448
	s_waitcnt lgkmcnt(0)
	v_perm_b32 v73, v73, v72, s94
	v_perm_b32 v72, v63, v61, s94
	s_nop 0
	v_accvgpr_read_b32 v57, a0
	v_accvgpr_read_b32 v59, a1
	;; [unrolled: 1-line block ×4, first 2 shown]
	v_accvgpr_write_b32 a0, v78
	v_accvgpr_write_b32 a1, v79
	;; [unrolled: 1-line block ×4, first 2 shown]
	v_cvt_pk_f16_f32 v181, v181, v185
	v_cvt_pk_f16_f32 v185, v62, v182
	v_mfma_f32_16x16x16_f16 a[0:3], v[72:73], v[4:5], a[0:3]
	ds_read_u16 v78, v160 offset:17344
	ds_read_u16 v79, v160 offset:17872
	;; [unrolled: 1-line block ×4, first 2 shown]
	v_cvt_pk_f16_f32 v182, v67, v175
	v_cvt_pk_f16_f32 v62, v190, v192
	v_cvt_pk_f16_f32 v190, v199, v240
	v_cvt_pk_f16_f32 v192, v200, v201
	v_accvgpr_read_b32 v61, a0
	v_accvgpr_read_b32 v63, a1
	;; [unrolled: 1-line block ×4, first 2 shown]
	v_cvt_f16_f32_e32 v61, v61
	v_cvt_f16_f32_e32 v63, v63
	;; [unrolled: 1-line block ×4, first 2 shown]
	v_cvt_f32_f16_e32 v61, v61
	v_cvt_f32_f16_e32 v63, v63
	;; [unrolled: 1-line block ×4, first 2 shown]
	s_waitcnt lgkmcnt(0)
	v_perm_b32 v73, v80, v73, s94
	v_perm_b32 v72, v79, v78, s94
	v_accvgpr_write_b32 a0, v61
	v_accvgpr_write_b32 a1, v63
	;; [unrolled: 1-line block ×4, first 2 shown]
	v_cvt_f32_f16_e32 v80, v149
	v_cvt_f32_f16_sdwa v81, v149 dst_sel:DWORD dst_unused:UNUSED_PAD src0_sel:WORD_1
	v_mfma_f32_16x16x16_f16 a[0:3], v[72:73], v[2:3], a[0:3]
	ds_read_u16 v72, v160 offset:480
	ds_read_u16 v78, v160 offset:1008
	;; [unrolled: 1-line block ×4, first 2 shown]
	v_cvt_f32_f16_e32 v149, v68
	v_cvt_f32_f16_sdwa v68, v68 dst_sel:DWORD dst_unused:UNUSED_PAD src0_sel:WORD_1
	s_waitcnt lgkmcnt(2)
	v_perm_b32 v72, v78, v72, s94
	v_cvt_pk_f16_f32 v200, v202, v203
	s_waitcnt lgkmcnt(0)
	v_perm_b32 v73, v79, v73, s94
	v_accvgpr_read_b32 v61, a0
	v_accvgpr_read_b32 v63, a1
	;; [unrolled: 1-line block ×4, first 2 shown]
	v_accvgpr_write_b32 a0, v80
	v_accvgpr_write_b32 a1, v81
	;; [unrolled: 1-line block ×4, first 2 shown]
	v_cvt_pk_f16_f32 v199, v209, v210
	v_cvt_pk_f16_f32 v202, v205, v206
	v_mfma_f32_16x16x16_f16 a[0:3], v[72:73], v[4:5], a[0:3]
	v_cvt_pk_f16_f32 v201, v207, v208
	s_nop 6
	v_accvgpr_read_b32 v72, a3
	v_accvgpr_read_b32 v4, a0
	;; [unrolled: 1-line block ×4, first 2 shown]
	v_cvt_f16_f32_e32 v154, v72
	ds_read_u16 v149, v160 offset:17376
	ds_read_u16 v173, v160 offset:17904
	;; [unrolled: 1-line block ×4, first 2 shown]
	v_cvt_f16_f32_e32 v4, v4
	v_cvt_f16_f32_e32 v5, v5
	;; [unrolled: 1-line block ×3, first 2 shown]
	v_cvt_f32_f16_e32 v79, v154
	v_cvt_f32_f16_e32 v73, v4
	;; [unrolled: 1-line block ×4, first 2 shown]
	s_waitcnt lgkmcnt(0)
	v_perm_b32 v5, v72, v174, s94
	v_perm_b32 v4, v173, v149, s94
	v_accvgpr_write_b32 a0, v73
	v_accvgpr_write_b32 a1, v78
	;; [unrolled: 1-line block ×4, first 2 shown]
	v_cvt_pk_f16_f32 v154, v61, v63
	v_cvt_pk_f16_f32 v149, v66, v183
	v_mfma_f32_16x16x16_f16 a[0:3], v[4:5], v[2:3], a[0:3]
	v_cvt_pk_f16_f32 v183, v57, v59
	v_cvt_pk_f16_f32 v66, v13, v35
	s_barrier
	s_nop 4
	v_accvgpr_read_b32 v2, a0
	v_accvgpr_read_b32 v3, a1
	;; [unrolled: 1-line block ×4, first 2 shown]
	v_cvt_pk_f16_f32 v68, v2, v3
	v_cvt_pk_f16_f32 v176, v4, v5
	s_cbranch_vccz .LBB30_87
; %bb.84:                               ;   in Loop: Header=BB30_51 Depth=2
	v_mov_b32_e32 v1, v143
	v_mov_b32_e32 v13, v141
	s_branch .LBB30_51
.LBB30_85:                              ;   in Loop: Header=BB30_12 Depth=1
	s_cbranch_execz .LBB30_11
	s_branch .LBB30_210
.LBB30_86:                              ;   in Loop: Header=BB30_12 Depth=1
	v_mov_b32_e32 v141, 0xfeffffff
	v_mov_b32_e32 v143, 0
	;; [unrolled: 1-line block ×34, first 2 shown]
.LBB30_87:                              ;   in Loop: Header=BB30_12 Depth=1
	s_lshl_b32 s8, s70, 6
	s_ashr_i32 s9, s8, 31
	s_lshl_b64 s[12:13], s[8:9], 1
	v_lshl_add_u64 v[2:3], v[120:121], 0, s[12:13]
	v_lshl_add_u64 v[2:3], v[134:135], 1, v[2:3]
	v_lshlrev_b32_e32 v16, 1, v34
	s_mul_hi_i32 s13, s34, s8
	s_mul_i32 s12, s34, s8
	v_lshl_add_u64 v[2:3], v[2:3], 0, v[16:17]
	s_lshl_b64 s[12:13], s[12:13], 2
	global_load_dword v1, v[2:3], off
	v_lshl_add_u64 v[2:3], v[118:119], 0, s[12:13]
	v_lshl_add_u64 v[4:5], v[18:19], 2, v[2:3]
	v_lshlrev_b32_e32 v16, 2, v14
	v_lshl_add_u64 v[4:5], v[4:5], 0, v[16:17]
	v_lshl_add_u64 v[6:7], v[20:21], 2, v[2:3]
	;; [unrolled: 1-line block ×9, first 2 shown]
	global_load_dwordx4 v[2:5], v[4:5], off
	v_lshl_add_u64 v[6:7], v[6:7], 0, v[16:17]
	v_lshl_add_u64 v[8:9], v[8:9], 0, v[16:17]
	;; [unrolled: 1-line block ×6, first 2 shown]
                                        ; implicit-def: $vgpr13
	s_waitcnt vmcnt(1)
	ds_write_b32 v165, v1 offset:33792
	v_add_u32_e32 v1, 0x4000, v158
	s_waitcnt vmcnt(0)
	ds_write_b128 v156, v[2:5]
	global_load_dwordx4 v[2:5], v[6:7], off
	s_waitcnt vmcnt(0)
	ds_write_b128 v213, v[2:5]
	global_load_dwordx4 v[2:5], v[8:9], off
	;; [unrolled: 3-line block ×7, first 2 shown]
	s_waitcnt vmcnt(0)
	ds_write_b128 v219, v[2:5]
	s_waitcnt lgkmcnt(0)
	s_barrier
	ds_read2_b64 v[2:5], v158 offset1:4
	s_waitcnt lgkmcnt(0)
	v_mfma_f32_16x16x16_f16 a[0:3], v[2:3], a[28:29], 0
	v_mfma_f32_16x16x16_f16 a[0:3], v[4:5], a[30:31], a[0:3]
	ds_read2_b64 v[2:5], v158 offset0:8 offset1:12
	s_waitcnt lgkmcnt(0)
	v_mfma_f32_16x16x16_f16 a[0:3], v[2:3], a[24:25], a[0:3]
	v_mfma_f32_16x16x16_f16 a[0:3], v[4:5], a[26:27], a[0:3]
	ds_read2_b64 v[2:5], v158 offset0:16 offset1:20
	;; [unrolled: 4-line block ×15, first 2 shown]
	v_accvgpr_read_b32 v1, a0
	v_cmp_nlt_f32_e64 s[12:13], |v1|, s39
	s_waitcnt lgkmcnt(0)
	v_mfma_f32_16x16x16_f16 a[4:7], v[2:3], v[248:249], a[4:7]
	s_barrier
	v_mfma_f32_16x16x16_f16 a[4:7], v[4:5], v[250:251], a[4:7]
	s_and_saveexec_b64 s[70:71], s[12:13]
	s_xor_b64 s[12:13], exec, s[70:71]
	s_cbranch_execz .LBB30_89
; %bb.88:                               ;   in Loop: Header=BB30_12 Depth=1
	v_add_f32_e64 v2, |v1|, |v1|
	v_mul_f32_e32 v3, 0x3fb8aa3b, v2
	v_rndne_f32_e32 v4, v3
	v_sub_f32_e32 v5, v3, v4
	v_fma_f32 v3, v2, s63, -v3
	v_fmac_f32_e32 v3, 0x32a5705f, v2
	v_add_f32_e32 v3, v5, v3
	v_cvt_i32_f32_e32 v4, v4
	v_exp_f32_e32 v3, v3
	v_cmp_ngt_f32_e32 vcc, s90, v2
	v_ldexp_f32 v3, v3, v4
	s_nop 0
	v_cndmask_b32_e32 v3, 0, v3, vcc
	v_cmp_nlt_f32_e32 vcc, s91, v2
	s_nop 1
	v_cndmask_b32_e32 v2, v246, v3, vcc
	v_add_f32_e32 v2, 1.0, v2
	v_rcp_f32_e32 v2, v2
	s_nop 0
	v_fma_f32 v13, v2, -2.0, 1.0
.LBB30_89:                              ;   in Loop: Header=BB30_12 Depth=1
	s_andn2_saveexec_b64 s[12:13], s[12:13]
; %bb.90:                               ;   in Loop: Header=BB30_12 Depth=1
	v_mul_f32_e32 v2, v1, v1
	v_fmamk_f32 v3, v2, 0xbbbac73d, v245
	v_fmaak_f32 v3, v2, v3, 0xbd5c1c4e
	v_fmaak_f32 v3, v2, v3, 0x3e088382
	;; [unrolled: 1-line block ×3, first 2 shown]
	v_mul_f32_e64 v3, |v1|, v3
	v_fma_f32 v13, v2, v3, |v1|
; %bb.91:                               ;   in Loop: Header=BB30_12 Depth=1
	s_or_b64 exec, exec, s[12:13]
	v_accvgpr_read_b32 v5, a3
	v_accvgpr_read_b32 v3, a1
	;; [unrolled: 1-line block ×4, first 2 shown]
	v_cmp_nlt_f32_e64 s[12:13], |v3|, s39
                                        ; implicit-def: $vgpr2
	s_and_saveexec_b64 s[70:71], s[12:13]
	s_xor_b64 s[12:13], exec, s[70:71]
	s_cbranch_execz .LBB30_93
; %bb.92:                               ;   in Loop: Header=BB30_12 Depth=1
	v_add_f32_e64 v2, |v3|, |v3|
	v_mul_f32_e32 v6, 0x3fb8aa3b, v2
	v_rndne_f32_e32 v7, v6
	v_sub_f32_e32 v8, v6, v7
	v_fma_f32 v6, v2, s63, -v6
	v_fmac_f32_e32 v6, 0x32a5705f, v2
	v_add_f32_e32 v6, v8, v6
	v_cvt_i32_f32_e32 v7, v7
	v_exp_f32_e32 v6, v6
	v_cmp_ngt_f32_e32 vcc, s90, v2
	v_ldexp_f32 v6, v6, v7
	s_nop 0
	v_cndmask_b32_e32 v6, 0, v6, vcc
	v_cmp_nlt_f32_e32 vcc, s91, v2
	s_nop 1
	v_cndmask_b32_e32 v2, v246, v6, vcc
	v_add_f32_e32 v2, 1.0, v2
	v_rcp_f32_e32 v2, v2
	s_nop 0
	v_fma_f32 v2, v2, -2.0, 1.0
.LBB30_93:                              ;   in Loop: Header=BB30_12 Depth=1
	s_andn2_saveexec_b64 s[12:13], s[12:13]
; %bb.94:                               ;   in Loop: Header=BB30_12 Depth=1
	v_mul_f32_e32 v2, v3, v3
	v_fmamk_f32 v6, v2, 0xbbbac73d, v245
	v_fmaak_f32 v6, v2, v6, 0xbd5c1c4e
	v_fmaak_f32 v6, v2, v6, 0x3e088382
	;; [unrolled: 1-line block ×3, first 2 shown]
	v_mul_f32_e64 v6, |v3|, v6
	v_fma_f32 v2, v2, v6, |v3|
; %bb.95:                               ;   in Loop: Header=BB30_12 Depth=1
	s_or_b64 exec, exec, s[12:13]
	v_cmp_nlt_f32_e64 s[12:13], |v4|, s39
                                        ; implicit-def: $vgpr35
	s_and_saveexec_b64 s[70:71], s[12:13]
	s_xor_b64 s[12:13], exec, s[70:71]
	s_cbranch_execz .LBB30_97
; %bb.96:                               ;   in Loop: Header=BB30_12 Depth=1
	v_add_f32_e64 v6, |v4|, |v4|
	v_mul_f32_e32 v7, 0x3fb8aa3b, v6
	v_rndne_f32_e32 v8, v7
	v_sub_f32_e32 v9, v7, v8
	v_fma_f32 v7, v6, s63, -v7
	v_fmac_f32_e32 v7, 0x32a5705f, v6
	v_add_f32_e32 v7, v9, v7
	v_cvt_i32_f32_e32 v8, v8
	v_exp_f32_e32 v7, v7
	v_cmp_ngt_f32_e32 vcc, s90, v6
	v_ldexp_f32 v7, v7, v8
	s_nop 0
	v_cndmask_b32_e32 v7, 0, v7, vcc
	v_cmp_nlt_f32_e32 vcc, s91, v6
	s_nop 1
	v_cndmask_b32_e32 v6, v246, v7, vcc
	v_add_f32_e32 v6, 1.0, v6
	v_rcp_f32_e32 v6, v6
	s_nop 0
	v_fma_f32 v35, v6, -2.0, 1.0
.LBB30_97:                              ;   in Loop: Header=BB30_12 Depth=1
	s_andn2_saveexec_b64 s[12:13], s[12:13]
; %bb.98:                               ;   in Loop: Header=BB30_12 Depth=1
	v_mul_f32_e32 v6, v4, v4
	v_fmamk_f32 v7, v6, 0xbbbac73d, v245
	v_fmaak_f32 v7, v6, v7, 0xbd5c1c4e
	v_fmaak_f32 v7, v6, v7, 0x3e088382
	;; [unrolled: 1-line block ×3, first 2 shown]
	v_mul_f32_e64 v7, |v4|, v7
	v_fma_f32 v35, v6, v7, |v4|
; %bb.99:                               ;   in Loop: Header=BB30_12 Depth=1
	s_or_b64 exec, exec, s[12:13]
	v_cmp_nlt_f32_e64 s[12:13], |v5|, s39
                                        ; implicit-def: $vgpr56
	s_and_saveexec_b64 s[70:71], s[12:13]
	s_xor_b64 s[12:13], exec, s[70:71]
	s_cbranch_execz .LBB30_101
; %bb.100:                              ;   in Loop: Header=BB30_12 Depth=1
	v_add_f32_e64 v6, |v5|, |v5|
	v_mul_f32_e32 v7, 0x3fb8aa3b, v6
	v_rndne_f32_e32 v8, v7
	v_sub_f32_e32 v9, v7, v8
	v_fma_f32 v7, v6, s63, -v7
	v_fmac_f32_e32 v7, 0x32a5705f, v6
	v_add_f32_e32 v7, v9, v7
	v_cvt_i32_f32_e32 v8, v8
	v_exp_f32_e32 v7, v7
	v_cmp_ngt_f32_e32 vcc, s90, v6
	v_ldexp_f32 v7, v7, v8
	s_nop 0
	v_cndmask_b32_e32 v7, 0, v7, vcc
	v_cmp_nlt_f32_e32 vcc, s91, v6
	s_nop 1
	v_cndmask_b32_e32 v6, v246, v7, vcc
	v_add_f32_e32 v6, 1.0, v6
	v_rcp_f32_e32 v6, v6
	s_nop 0
	v_fma_f32 v56, v6, -2.0, 1.0
.LBB30_101:                             ;   in Loop: Header=BB30_12 Depth=1
	s_andn2_saveexec_b64 s[12:13], s[12:13]
; %bb.102:                              ;   in Loop: Header=BB30_12 Depth=1
	v_mul_f32_e32 v6, v5, v5
	v_fmamk_f32 v7, v6, 0xbbbac73d, v245
	v_fmaak_f32 v7, v6, v7, 0xbd5c1c4e
	v_fmaak_f32 v7, v6, v7, 0x3e088382
	;; [unrolled: 1-line block ×3, first 2 shown]
	v_mul_f32_e64 v7, |v5|, v7
	v_fma_f32 v56, v6, v7, |v5|
; %bb.103:                              ;   in Loop: Header=BB30_12 Depth=1
	s_or_b64 exec, exec, s[12:13]
	v_accvgpr_read_b32 v9, a7
	v_accvgpr_read_b32 v6, a4
	;; [unrolled: 1-line block ×4, first 2 shown]
	v_cmp_nlt_f32_e64 s[12:13], |v6|, s39
                                        ; implicit-def: $vgpr57
	s_and_saveexec_b64 s[70:71], s[12:13]
	s_xor_b64 s[12:13], exec, s[70:71]
	s_cbranch_execz .LBB30_105
; %bb.104:                              ;   in Loop: Header=BB30_12 Depth=1
	v_add_f32_e64 v57, |v6|, |v6|
	v_mul_f32_e32 v59, 0x3fb8aa3b, v57
	v_rndne_f32_e32 v61, v59
	v_sub_f32_e32 v63, v59, v61
	v_fma_f32 v59, v57, s63, -v59
	v_fmac_f32_e32 v59, 0x32a5705f, v57
	v_add_f32_e32 v59, v63, v59
	v_cvt_i32_f32_e32 v61, v61
	v_exp_f32_e32 v59, v59
	v_cmp_ngt_f32_e32 vcc, s90, v57
	v_ldexp_f32 v59, v59, v61
	s_nop 0
	v_cndmask_b32_e32 v59, 0, v59, vcc
	v_cmp_nlt_f32_e32 vcc, s91, v57
	s_nop 1
	v_cndmask_b32_e32 v57, v246, v59, vcc
	v_add_f32_e32 v57, 1.0, v57
	v_rcp_f32_e32 v57, v57
	s_nop 0
	v_fma_f32 v57, v57, -2.0, 1.0
.LBB30_105:                             ;   in Loop: Header=BB30_12 Depth=1
	s_andn2_saveexec_b64 s[12:13], s[12:13]
; %bb.106:                              ;   in Loop: Header=BB30_12 Depth=1
	v_mul_f32_e32 v57, v6, v6
	v_fmamk_f32 v59, v57, 0xbbbac73d, v245
	v_fmaak_f32 v59, v57, v59, 0xbd5c1c4e
	v_fmaak_f32 v59, v57, v59, 0x3e088382
	;; [unrolled: 1-line block ×3, first 2 shown]
	v_mul_f32_e64 v59, |v6|, v59
	v_fma_f32 v57, v57, v59, |v6|
; %bb.107:                              ;   in Loop: Header=BB30_12 Depth=1
	s_or_b64 exec, exec, s[12:13]
	v_cmp_nlt_f32_e64 s[12:13], |v7|, s39
                                        ; implicit-def: $vgpr59
	s_and_saveexec_b64 s[70:71], s[12:13]
	s_xor_b64 s[12:13], exec, s[70:71]
	s_cbranch_execz .LBB30_109
; %bb.108:                              ;   in Loop: Header=BB30_12 Depth=1
	v_add_f32_e64 v59, |v7|, |v7|
	v_mul_f32_e32 v61, 0x3fb8aa3b, v59
	v_rndne_f32_e32 v63, v61
	v_sub_f32_e32 v67, v61, v63
	v_fma_f32 v61, v59, s63, -v61
	v_fmac_f32_e32 v61, 0x32a5705f, v59
	v_add_f32_e32 v61, v67, v61
	v_cvt_i32_f32_e32 v63, v63
	v_exp_f32_e32 v61, v61
	v_cmp_ngt_f32_e32 vcc, s90, v59
	v_ldexp_f32 v61, v61, v63
	s_nop 0
	v_cndmask_b32_e32 v61, 0, v61, vcc
	v_cmp_nlt_f32_e32 vcc, s91, v59
	s_nop 1
	v_cndmask_b32_e32 v59, v246, v61, vcc
	v_add_f32_e32 v59, 1.0, v59
	v_rcp_f32_e32 v59, v59
	s_nop 0
	v_fma_f32 v59, v59, -2.0, 1.0
.LBB30_109:                             ;   in Loop: Header=BB30_12 Depth=1
	s_andn2_saveexec_b64 s[12:13], s[12:13]
; %bb.110:                              ;   in Loop: Header=BB30_12 Depth=1
	v_mul_f32_e32 v59, v7, v7
	v_fmamk_f32 v61, v59, 0xbbbac73d, v245
	v_fmaak_f32 v61, v59, v61, 0xbd5c1c4e
	v_fmaak_f32 v61, v59, v61, 0x3e088382
	;; [unrolled: 1-line block ×3, first 2 shown]
	v_mul_f32_e64 v61, |v7|, v61
	v_fma_f32 v59, v59, v61, |v7|
; %bb.111:                              ;   in Loop: Header=BB30_12 Depth=1
	s_or_b64 exec, exec, s[12:13]
	v_cmp_nlt_f32_e64 s[12:13], |v8|, s39
                                        ; implicit-def: $vgpr61
	s_and_saveexec_b64 s[70:71], s[12:13]
	s_xor_b64 s[12:13], exec, s[70:71]
	s_cbranch_execz .LBB30_113
; %bb.112:                              ;   in Loop: Header=BB30_12 Depth=1
	v_add_f32_e64 v61, |v8|, |v8|
	v_mul_f32_e32 v63, 0x3fb8aa3b, v61
	v_rndne_f32_e32 v67, v63
	v_sub_f32_e32 v72, v63, v67
	v_fma_f32 v63, v61, s63, -v63
	v_fmac_f32_e32 v63, 0x32a5705f, v61
	v_add_f32_e32 v63, v72, v63
	v_cvt_i32_f32_e32 v67, v67
	v_exp_f32_e32 v63, v63
	v_cmp_ngt_f32_e32 vcc, s90, v61
	v_ldexp_f32 v63, v63, v67
	s_nop 0
	v_cndmask_b32_e32 v63, 0, v63, vcc
	v_cmp_nlt_f32_e32 vcc, s91, v61
	s_nop 1
	v_cndmask_b32_e32 v61, v246, v63, vcc
	v_add_f32_e32 v61, 1.0, v61
	v_rcp_f32_e32 v61, v61
	s_nop 0
	v_fma_f32 v61, v61, -2.0, 1.0
.LBB30_113:                             ;   in Loop: Header=BB30_12 Depth=1
	s_andn2_saveexec_b64 s[12:13], s[12:13]
; %bb.114:                              ;   in Loop: Header=BB30_12 Depth=1
	v_mul_f32_e32 v61, v8, v8
	v_fmamk_f32 v63, v61, 0xbbbac73d, v245
	v_fmaak_f32 v63, v61, v63, 0xbd5c1c4e
	v_fmaak_f32 v63, v61, v63, 0x3e088382
	;; [unrolled: 1-line block ×3, first 2 shown]
	v_mul_f32_e64 v63, |v8|, v63
	v_fma_f32 v61, v61, v63, |v8|
; %bb.115:                              ;   in Loop: Header=BB30_12 Depth=1
	s_or_b64 exec, exec, s[12:13]
	v_cmp_nlt_f32_e64 s[12:13], |v9|, s39
                                        ; implicit-def: $vgpr63
	s_and_saveexec_b64 s[70:71], s[12:13]
	s_xor_b64 s[12:13], exec, s[70:71]
	s_cbranch_execz .LBB30_117
; %bb.116:                              ;   in Loop: Header=BB30_12 Depth=1
	v_add_f32_e64 v63, |v9|, |v9|
	v_mul_f32_e32 v67, 0x3fb8aa3b, v63
	v_rndne_f32_e32 v72, v67
	v_sub_f32_e32 v73, v67, v72
	v_fma_f32 v67, v63, s63, -v67
	v_fmac_f32_e32 v67, 0x32a5705f, v63
	v_add_f32_e32 v67, v73, v67
	v_cvt_i32_f32_e32 v72, v72
	v_exp_f32_e32 v67, v67
	v_cmp_ngt_f32_e32 vcc, s90, v63
	v_ldexp_f32 v67, v67, v72
	s_nop 0
	v_cndmask_b32_e32 v67, 0, v67, vcc
	v_cmp_nlt_f32_e32 vcc, s91, v63
	s_nop 1
	v_cndmask_b32_e32 v63, v246, v67, vcc
	v_add_f32_e32 v63, 1.0, v63
	v_rcp_f32_e32 v63, v63
	s_nop 0
	v_fma_f32 v63, v63, -2.0, 1.0
.LBB30_117:                             ;   in Loop: Header=BB30_12 Depth=1
	s_andn2_saveexec_b64 s[12:13], s[12:13]
; %bb.118:                              ;   in Loop: Header=BB30_12 Depth=1
	v_mul_f32_e32 v63, v9, v9
	v_fmamk_f32 v67, v63, 0xbbbac73d, v245
	v_fmaak_f32 v67, v63, v67, 0xbd5c1c4e
	v_fmaak_f32 v67, v63, v67, 0x3e088382
	v_fmaak_f32 v67, v63, v67, 0xbeaaaa99
	v_mul_f32_e64 v67, |v9|, v67
	v_fma_f32 v63, v63, v67, |v9|
; %bb.119:                              ;   in Loop: Header=BB30_12 Depth=1
	s_or_b64 exec, exec, s[12:13]
	v_bfi_b32 v1, s92, v13, v1
	v_bfi_b32 v13, s92, v2, v3
	v_add_u32_e32 v2, 0x8400, v159
	ds_read2_b32 v[2:3], v2 offset1:1
	v_bfi_b32 v5, s92, v56, v5
	v_bfi_b32 v4, s92, v35, v4
	v_bfi_b32 v6, s92, v57, v6
	v_bfi_b32 v7, s92, v59, v7
	s_waitcnt lgkmcnt(0)
	v_fma_mix_f32 v4, s3, v4, v3 op_sel_hi:[0,0,1]
	v_fma_mix_f32 v3, s3, v5, v3 op_sel:[0,0,1] op_sel_hi:[0,0,1]
	ds_read_b32 v5, v166 offset:33792
	v_fma_mix_f32 v1, s3, v1, v2 op_sel_hi:[0,0,1]
	v_fma_mix_f32 v2, s3, v13, v2 op_sel:[0,0,1] op_sel_hi:[0,0,1]
	v_bfi_b32 v8, s92, v61, v8
	v_bfi_b32 v9, s92, v63, v9
	s_waitcnt lgkmcnt(0)
	v_fma_mix_f32 v13, s3, v6, v5 op_sel_hi:[0,0,1]
	ds_read_b32 v6, v167 offset:33792
	v_fma_mix_f32 v5, s3, v7, v5 op_sel:[0,0,1] op_sel_hi:[0,0,1]
	v_add_f32_e32 v7, 0x40051340, v2
	s_mul_hi_i32 s9, s8, s14
	s_mul_i32 s8, s8, s14
	s_waitcnt lgkmcnt(0)
	v_fma_mix_f32 v35, s3, v8, v6 op_sel_hi:[0,0,1]
	v_fma_mix_f32 v56, s3, v9, v6 op_sel:[0,0,1] op_sel_hi:[0,0,1]
	v_add_f32_e32 v6, 0x40051340, v1
	v_max3_f32 v6, v141, v6, v7
	v_add_f32_e32 v7, 0x40051340, v4
	v_add_f32_e32 v8, 0x40051340, v3
	v_max3_f32 v6, v6, v7, v8
	v_add_f32_e32 v7, 0x40051340, v13
	;; [unrolled: 3-line block ×3, first 2 shown]
	v_add_f32_e32 v8, 0x40051340, v56
	v_max3_f32 v6, v6, v7, v8
	v_and_b32_e32 v7, 64, v211
	v_add_u32_e32 v8, 64, v7
	v_xor_b32_e32 v7, 32, v211
	v_cmp_lt_i32_e32 vcc, v7, v8
	s_lshl_b64 s[8:9], s[8:9], 2
	s_nop 0
	v_cndmask_b32_e32 v7, v211, v7, vcc
	v_lshlrev_b32_e32 v7, 2, v7
	ds_bpermute_b32 v9, v7, v6
	s_waitcnt lgkmcnt(0)
	v_max_f32_e32 v9, v9, v9
	v_max_f32_e32 v6, v6, v9
	v_xor_b32_e32 v9, 16, v211
	v_cmp_lt_i32_e32 vcc, v9, v8
	s_nop 1
	v_cndmask_b32_e32 v8, v211, v9, vcc
	v_lshlrev_b32_e32 v8, 2, v8
	ds_bpermute_b32 v9, v8, v6
	s_waitcnt lgkmcnt(0)
	v_max_f32_e32 v9, v9, v9
	v_max_f32_e32 v6, v6, v9
	v_sub_f32_e32 v1, v1, v6
	v_mul_f32_e32 v9, 0x3fb8aa3b, v1
	v_fma_f32 v57, v1, s63, -v9
	v_rndne_f32_e32 v59, v9
	v_fmac_f32_e32 v57, 0x32a5705f, v1
	v_sub_f32_e32 v9, v9, v59
	v_add_f32_e32 v9, v9, v57
	v_exp_f32_e32 v9, v9
	v_cvt_i32_f32_e32 v57, v59
	v_cmp_ngt_f32_e32 vcc, s90, v1
	v_ldexp_f32 v9, v9, v57
	s_nop 0
	v_cndmask_b32_e32 v9, 0, v9, vcc
	v_cmp_nlt_f32_e32 vcc, s91, v1
	v_sub_f32_e32 v1, v2, v6
	v_mul_f32_e32 v2, 0x3fb8aa3b, v1
	v_fma_f32 v57, v1, s63, -v2
	v_rndne_f32_e32 v59, v2
	v_fmac_f32_e32 v57, 0x32a5705f, v1
	v_sub_f32_e32 v2, v2, v59
	v_add_f32_e32 v2, v2, v57
	v_exp_f32_e32 v2, v2
	v_cvt_i32_f32_e32 v57, v59
	v_cndmask_b32_e32 v9, v246, v9, vcc
	v_cmp_ngt_f32_e32 vcc, s90, v1
	v_ldexp_f32 v2, v2, v57
	s_nop 0
	v_cndmask_b32_e32 v2, 0, v2, vcc
	v_cmp_nlt_f32_e32 vcc, s91, v1
	s_nop 1
	v_cndmask_b32_e32 v135, v246, v2, vcc
	v_sub_f32_e32 v2, v4, v6
	v_mul_f32_e32 v4, 0x3fb8aa3b, v2
	v_fma_f32 v57, v2, s63, -v4
	v_rndne_f32_e32 v59, v4
	v_fmac_f32_e32 v57, 0x32a5705f, v2
	v_sub_f32_e32 v4, v4, v59
	v_add_f32_e32 v4, v4, v57
	v_exp_f32_e32 v4, v4
	v_cvt_i32_f32_e32 v57, v59
	v_cmp_ngt_f32_e32 vcc, s90, v2
	v_add_f32_e32 v1, v9, v135
	v_ldexp_f32 v4, v4, v57
	v_cndmask_b32_e32 v4, 0, v4, vcc
	v_cmp_nlt_f32_e32 vcc, s91, v2
	v_sub_f32_e32 v2, v3, v6
	v_mul_f32_e32 v3, 0x3fb8aa3b, v2
	v_cndmask_b32_e32 v142, v246, v4, vcc
	v_fma_f32 v4, v2, s63, -v3
	v_rndne_f32_e32 v57, v3
	v_fmac_f32_e32 v4, 0x32a5705f, v2
	v_sub_f32_e32 v3, v3, v57
	v_add_f32_e32 v3, v3, v4
	v_exp_f32_e32 v3, v3
	v_cvt_i32_f32_e32 v4, v57
	v_cmp_ngt_f32_e32 vcc, s90, v2
	v_add_f32_e32 v1, v142, v1
	v_ldexp_f32 v3, v3, v4
	v_cndmask_b32_e32 v3, 0, v3, vcc
	v_cmp_nlt_f32_e32 vcc, s91, v2
	v_sub_f32_e32 v2, v13, v6
	s_nop 0
	v_cndmask_b32_e32 v144, v246, v3, vcc
	v_mul_f32_e32 v3, 0x3fb8aa3b, v2
	v_fma_f32 v4, v2, s63, -v3
	v_rndne_f32_e32 v13, v3
	v_fmac_f32_e32 v4, 0x32a5705f, v2
	v_sub_f32_e32 v3, v3, v13
	v_add_f32_e32 v3, v3, v4
	v_exp_f32_e32 v3, v3
	v_cvt_i32_f32_e32 v4, v13
	v_cmp_ngt_f32_e32 vcc, s90, v2
	v_add_f32_e32 v1, v144, v1
	v_ldexp_f32 v3, v3, v4
	v_cndmask_b32_e32 v3, 0, v3, vcc
	v_cmp_nlt_f32_e32 vcc, s91, v2
	v_sub_f32_e32 v2, v5, v6
	s_nop 0
	v_cndmask_b32_e32 v145, v246, v3, vcc
	v_mul_f32_e32 v3, 0x3fb8aa3b, v2
	;; [unrolled: 16-line block ×4, first 2 shown]
	v_fma_f32 v4, v2, s63, -v3
	v_rndne_f32_e32 v5, v3
	v_fmac_f32_e32 v4, 0x32a5705f, v2
	v_sub_f32_e32 v3, v3, v5
	v_add_f32_e32 v3, v3, v4
	v_exp_f32_e32 v3, v3
	v_cvt_i32_f32_e32 v4, v5
	v_cmp_ngt_f32_e32 vcc, s90, v2
	v_add_f32_e32 v1, v173, v1
	v_ldexp_f32 v3, v3, v4
	v_cndmask_b32_e32 v3, 0, v3, vcc
	v_cmp_nlt_f32_e32 vcc, s91, v2
	s_nop 1
	v_cndmask_b32_e32 v72, v246, v3, vcc
	v_add_f32_e32 v134, v72, v1
	v_sub_f32_e32 v1, v141, v6
	v_mul_f32_e32 v2, 0x3fb8aa3b, v1
	v_fma_f32 v3, v1, s63, -v2
	v_rndne_f32_e32 v4, v2
	v_fmac_f32_e32 v3, 0x32a5705f, v1
	v_sub_f32_e32 v2, v2, v4
	v_add_f32_e32 v2, v2, v3
	v_exp_f32_e32 v2, v2
	v_cvt_i32_f32_e32 v3, v4
	v_cmp_ngt_f32_e32 vcc, s90, v1
	v_ldexp_f32 v2, v2, v3
	s_nop 0
	v_cndmask_b32_e32 v2, 0, v2, vcc
	v_cmp_nlt_f32_e32 vcc, s91, v1
	s_nop 1
	v_cndmask_b32_e32 v2, v246, v2, vcc
	v_cmp_le_f32_e32 vcc, s93, v1
	s_nop 1
	v_cndmask_b32_e32 v1, 0, v2, vcc
	v_fmac_f32_e32 v134, v143, v1
	v_cvt_f16_f32_e32 v1, v1
	ds_bpermute_b32 v7, v7, v134
	v_cmp_ne_u64_e32 vcc, 0, v[114:115]
	s_and_b64 s[12:13], s[0:1], vcc
	v_mul_u32_u24_e32 v2, 0x10001, v1
	v_pk_mul_f16 v141, v148, v2
	v_pk_mul_f16 v73, v147, v2
	;; [unrolled: 1-line block ×32, first 2 shown]
	v_lshl_add_u64 v[2:3], v[116:117], 0, s[8:9]
	v_lshl_add_u64 v[4:5], v[36:37], 2, v[2:3]
	;; [unrolled: 1-line block ×11, first 2 shown]
	global_load_dwordx4 v[2:5], v[4:5], off
	v_lshl_add_u64 v[78:79], v[78:79], 0, v[16:17]
	v_lshl_add_u64 v[80:81], v[80:81], 0, v[16:17]
	;; [unrolled: 1-line block ×6, first 2 shown]
	v_cvt_f32_f16_e32 v16, v141
	v_cvt_f32_f16_sdwa v60, v141 dst_sel:DWORD dst_unused:UNUSED_PAD src0_sel:WORD_1
	v_cvt_f32_f16_e32 v68, v73
	v_cvt_f32_f16_sdwa v73, v73 dst_sel:DWORD dst_unused:UNUSED_PAD src0_sel:WORD_1
	v_accvgpr_write_b32 a0, v16
	v_accvgpr_write_b32 a1, v60
	;; [unrolled: 1-line block ×4, first 2 shown]
	s_waitcnt lgkmcnt(0)
	v_add_f32_e32 v7, v134, v7
	s_waitcnt vmcnt(0)
	ds_write_b128 v156, v[2:5]
	global_load_dwordx4 v[2:5], v[78:79], off
	s_waitcnt vmcnt(0)
	ds_write_b128 v213, v[2:5]
	global_load_dwordx4 v[2:5], v[80:81], off
	;; [unrolled: 3-line block ×7, first 2 shown]
	s_waitcnt vmcnt(0)
	ds_write_b128 v219, v[2:5]
	s_waitcnt lgkmcnt(0)
	s_barrier
	ds_read_u16 v2, v160 offset:528
	ds_read_u16 v3, v160 offset:1056
	ds_read_u16 v4, v161
	ds_read_u16 v80, v161 offset:32
	v_cvt_pk_f16_f32 v5, v142, v144
	s_waitcnt lgkmcnt(1)
	v_perm_b32 v3, v4, v3, s94
	ds_read_u16 v4, v160
	ds_read_u16 v81, v160 offset:32
	ds_read_u16 v60, v160 offset:16896
	;; [unrolled: 1-line block ×5, first 2 shown]
	s_waitcnt lgkmcnt(5)
	v_perm_b32 v2, v2, v4, s94
	v_cvt_pk_f16_f32 v4, v9, v135
	s_waitcnt lgkmcnt(0)
	v_perm_b32 v79, v78, v73, s94
	v_perm_b32 v78, v68, v60, s94
	v_mfma_f32_16x16x16_f16 a[0:3], v[2:3], v[4:5], a[0:3]
	v_cvt_f32_f16_e32 v68, v137
	s_nop 6
	v_accvgpr_read_b32 v2, a0
	v_accvgpr_read_b32 v3, a1
	;; [unrolled: 1-line block ×4, first 2 shown]
	v_cvt_f16_f32_e32 v2, v2
	v_cvt_f16_f32_e32 v3, v3
	;; [unrolled: 1-line block ×4, first 2 shown]
	v_cvt_f32_f16_e32 v135, v2
	v_cvt_f32_f16_e32 v141, v3
	;; [unrolled: 1-line block ×4, first 2 shown]
	v_cvt_pk_f16_f32 v3, v173, v72
	v_cvt_pk_f16_f32 v2, v145, v153
	v_accvgpr_write_b32 a0, v135
	v_accvgpr_write_b32 a1, v141
	;; [unrolled: 1-line block ×4, first 2 shown]
	v_cvt_f32_f16_sdwa v135, v136 dst_sel:DWORD dst_unused:UNUSED_PAD src0_sel:WORD_1
	s_nop 0
	v_mfma_f32_16x16x16_f16 a[0:3], v[78:79], v[2:3], a[0:3]
	v_cvt_f32_f16_sdwa v78, v137 dst_sel:DWORD dst_unused:UNUSED_PAD src0_sel:WORD_1
	v_cvt_f32_f16_e32 v79, v136
	s_nop 5
	v_accvgpr_read_b32 v9, a2
	v_accvgpr_read_b32 v16, a3
	v_cvt_f16_f32_e32 v9, v9
	v_cvt_f16_f32_e32 v16, v16
	v_accvgpr_read_b32 v141, a0
	v_accvgpr_read_b32 v142, a1
	v_accvgpr_write_b32 a0, v68
	v_perm_b32 v9, v16, v9, s94
	ds_read_u16 v16, v160 offset:560
	ds_read_u16 v60, v160 offset:1088
	v_accvgpr_write_b32 a1, v78
	v_accvgpr_write_b32 a2, v79
	;; [unrolled: 1-line block ×3, first 2 shown]
	s_waitcnt lgkmcnt(1)
	v_perm_b32 v72, v16, v81, s94
	s_waitcnt lgkmcnt(0)
	v_perm_b32 v73, v80, v60, s94
	v_cvt_f16_f32_e32 v143, v141
	v_cvt_f16_f32_e32 v144, v142
	v_mfma_f32_16x16x16_f16 a[0:3], v[72:73], v[4:5], a[0:3]
	ds_read_u16 v78, v160 offset:16928
	ds_read_u16 v79, v160 offset:17456
	ds_read_u16 v73, v160 offset:17984
	ds_read_u16 v80, v161 offset:16928
	v_perm_b32 v143, v144, v143, s94
	s_waitcnt lgkmcnt(0)
	v_perm_b32 v73, v80, v73, s94
	s_nop 0
	v_accvgpr_read_b32 v16, a0
	v_accvgpr_read_b32 v60, a1
	;; [unrolled: 1-line block ×4, first 2 shown]
	v_cvt_f16_f32_e32 v16, v16
	v_cvt_f16_f32_e32 v60, v60
	;; [unrolled: 1-line block ×4, first 2 shown]
	v_cvt_f32_f16_e32 v16, v16
	v_cvt_f32_f16_e32 v60, v60
	;; [unrolled: 1-line block ×4, first 2 shown]
	v_perm_b32 v72, v79, v78, s94
	v_accvgpr_write_b32 a0, v16
	v_accvgpr_write_b32 a1, v60
	;; [unrolled: 1-line block ×4, first 2 shown]
	v_cvt_f32_f16_e32 v78, v63
	v_cvt_f32_f16_sdwa v63, v63 dst_sel:DWORD dst_unused:UNUSED_PAD src0_sel:WORD_1
	v_mfma_f32_16x16x16_f16 a[0:3], v[72:73], v[2:3], a[0:3]
	v_cvt_f32_f16_e32 v79, v61
	v_cvt_f32_f16_sdwa v80, v61 dst_sel:DWORD dst_unused:UNUSED_PAD src0_sel:WORD_1
	s_nop 5
	v_accvgpr_read_b32 v16, a2
	v_accvgpr_read_b32 v60, a3
	v_cvt_f16_f32_e32 v16, v16
	v_cvt_f16_f32_e32 v60, v60
	v_accvgpr_read_b32 v146, a0
	v_accvgpr_read_b32 v147, a1
	v_accvgpr_write_b32 a0, v78
	v_perm_b32 v16, v60, v16, s94
	ds_read_u16 v60, v160 offset:64
	ds_read_u16 v68, v160 offset:592
	;; [unrolled: 1-line block ×4, first 2 shown]
	v_accvgpr_write_b32 a1, v63
	v_accvgpr_write_b32 a2, v79
	s_waitcnt lgkmcnt(2)
	v_perm_b32 v60, v68, v60, s94
	v_accvgpr_write_b32 a3, v80
	s_waitcnt lgkmcnt(0)
	v_perm_b32 v61, v73, v72, s94
	ds_read_u16 v72, v160 offset:16960
	ds_read_u16 v73, v160 offset:17488
	ds_read_u16 v78, v160 offset:18016
	ds_read_u16 v79, v161 offset:16960
	v_mfma_f32_16x16x16_f16 a[0:3], v[60:61], v[4:5], a[0:3]
	v_cvt_f16_f32_e32 v148, v146
	v_cvt_f16_f32_e32 v149, v147
	v_perm_b32 v148, v149, v148, s94
	s_nop 4
	v_accvgpr_read_b32 v60, a0
	v_accvgpr_read_b32 v61, a1
	;; [unrolled: 1-line block ×4, first 2 shown]
	v_cvt_f16_f32_e32 v60, v60
	v_cvt_f16_f32_e32 v61, v61
	;; [unrolled: 1-line block ×4, first 2 shown]
	v_cvt_f32_f16_e32 v80, v60
	v_cvt_f32_f16_e32 v81, v61
	;; [unrolled: 1-line block ×4, first 2 shown]
	s_waitcnt lgkmcnt(0)
	v_perm_b32 v61, v79, v78, s94
	v_perm_b32 v60, v73, v72, s94
	v_accvgpr_write_b32 a0, v80
	v_accvgpr_write_b32 a1, v81
	;; [unrolled: 1-line block ×4, first 2 shown]
	v_cvt_f32_f16_e32 v72, v59
	v_cvt_f32_f16_sdwa v59, v59 dst_sel:DWORD dst_unused:UNUSED_PAD src0_sel:WORD_1
	v_mfma_f32_16x16x16_f16 a[0:3], v[60:61], v[2:3], a[0:3]
	v_cvt_f32_f16_e32 v73, v57
	v_cvt_f32_f16_sdwa v57, v57 dst_sel:DWORD dst_unused:UNUSED_PAD src0_sel:WORD_1
	v_cvt_f32_f16_e32 v80, v252
	v_cvt_f32_f16_sdwa v81, v252 dst_sel:DWORD dst_unused:UNUSED_PAD src0_sel:WORD_1
	s_nop 3
	v_accvgpr_read_b32 v60, a2
	v_accvgpr_read_b32 v61, a3
	v_cvt_f16_f32_e32 v60, v60
	v_cvt_f16_f32_e32 v61, v61
	v_accvgpr_read_b32 v151, a0
	v_accvgpr_read_b32 v152, a1
	v_accvgpr_write_b32 a0, v72
	v_perm_b32 v135, v61, v60, s94
	ds_read_u16 v60, v160 offset:96
	ds_read_u16 v63, v160 offset:624
	;; [unrolled: 1-line block ×4, first 2 shown]
	v_accvgpr_write_b32 a1, v59
	v_accvgpr_write_b32 a2, v73
	s_waitcnt lgkmcnt(2)
	v_perm_b32 v60, v63, v60, s94
	v_accvgpr_write_b32 a3, v57
	s_waitcnt lgkmcnt(0)
	v_perm_b32 v61, v68, v61, s94
	ds_read_u16 v63, v160 offset:16992
	ds_read_u16 v68, v160 offset:17520
	ds_read_u16 v72, v160 offset:18048
	ds_read_u16 v73, v161 offset:16992
	v_mfma_f32_16x16x16_f16 a[0:3], v[60:61], v[4:5], a[0:3]
	v_cvt_f16_f32_e32 v153, v151
	v_cvt_f16_f32_e32 v154, v152
	v_perm_b32 v153, v154, v153, s94
	s_nop 4
	v_accvgpr_read_b32 v57, a0
	v_accvgpr_read_b32 v59, a1
	;; [unrolled: 1-line block ×4, first 2 shown]
	v_cvt_f16_f32_e32 v57, v57
	v_cvt_f16_f32_e32 v59, v59
	v_cvt_f16_f32_e32 v60, v60
	v_cvt_f16_f32_e32 v61, v61
	v_cvt_f32_f16_e32 v57, v57
	v_cvt_f32_f16_e32 v59, v59
	;; [unrolled: 1-line block ×4, first 2 shown]
	s_waitcnt lgkmcnt(0)
	v_perm_b32 v61, v73, v72, s94
	v_perm_b32 v60, v68, v63, s94
	v_accvgpr_write_b32 a0, v57
	v_accvgpr_write_b32 a1, v59
	;; [unrolled: 1-line block ×4, first 2 shown]
	v_cvt_f32_f16_e32 v63, v35
	v_cvt_f32_f16_sdwa v35, v35 dst_sel:DWORD dst_unused:UNUSED_PAD src0_sel:WORD_1
	v_mfma_f32_16x16x16_f16 a[0:3], v[60:61], v[2:3], a[0:3]
	v_cvt_f32_f16_e32 v68, v13
	v_cvt_f32_f16_sdwa v13, v13 dst_sel:DWORD dst_unused:UNUSED_PAD src0_sel:WORD_1
	v_cvt_f32_f16_e32 v78, v209
	v_cvt_f32_f16_sdwa v79, v209 dst_sel:DWORD dst_unused:UNUSED_PAD src0_sel:WORD_1
	s_nop 3
	v_accvgpr_read_b32 v57, a2
	v_accvgpr_read_b32 v59, a3
	v_cvt_f16_f32_e32 v57, v57
	v_cvt_f16_f32_e32 v59, v59
	v_accvgpr_read_b32 v248, a0
	v_accvgpr_read_b32 v249, a1
	v_accvgpr_write_b32 a0, v63
	v_perm_b32 v136, v59, v57, s94
	ds_read_u16 v57, v160 offset:128
	ds_read_u16 v59, v160 offset:656
	;; [unrolled: 1-line block ×4, first 2 shown]
	v_accvgpr_write_b32 a1, v35
	v_accvgpr_write_b32 a2, v68
	v_accvgpr_write_b32 a3, v13
	v_cvt_f16_f32_e32 v250, v248
	s_waitcnt lgkmcnt(0)
	v_perm_b32 v61, v61, v60, s94
	v_perm_b32 v60, v59, v57, s94
	v_cvt_f16_f32_e32 v251, v249
	s_nop 0
	v_mfma_f32_16x16x16_f16 a[0:3], v[60:61], v[4:5], a[0:3]
	ds_read_u16 v60, v160 offset:17024
	ds_read_u16 v63, v160 offset:17552
	;; [unrolled: 1-line block ×4, first 2 shown]
	s_waitcnt lgkmcnt(2)
	v_perm_b32 v60, v63, v60, s94
	s_nop 1
	v_accvgpr_read_b32 v13, a0
	v_accvgpr_read_b32 v35, a1
	;; [unrolled: 1-line block ×4, first 2 shown]
	v_cvt_f16_f32_e32 v13, v13
	v_cvt_f16_f32_e32 v35, v35
	;; [unrolled: 1-line block ×4, first 2 shown]
	v_cvt_f32_f16_e32 v13, v13
	v_cvt_f32_f16_e32 v35, v35
	;; [unrolled: 1-line block ×4, first 2 shown]
	s_waitcnt lgkmcnt(0)
	v_perm_b32 v61, v68, v61, s94
	v_accvgpr_write_b32 a0, v13
	v_accvgpr_write_b32 a1, v35
	;; [unrolled: 1-line block ×4, first 2 shown]
	v_cvt_f32_f16_e32 v63, v1
	v_cvt_f32_f16_sdwa v1, v1 dst_sel:DWORD dst_unused:UNUSED_PAD src0_sel:WORD_1
	v_mfma_f32_16x16x16_f16 a[0:3], v[60:61], v[2:3], a[0:3]
	v_cvt_f32_f16_e32 v60, v56
	v_cvt_f32_f16_sdwa v61, v56 dst_sel:DWORD dst_unused:UNUSED_PAD src0_sel:WORD_1
	s_nop 5
	v_accvgpr_read_b32 v13, a2
	v_accvgpr_read_b32 v35, a3
	v_cvt_f16_f32_e32 v13, v13
	v_cvt_f16_f32_e32 v35, v35
	v_accvgpr_read_b32 v254, a0
	v_accvgpr_read_b32 v255, a1
	v_accvgpr_write_b32 a0, v60
	v_perm_b32 v137, v35, v13, s94
	ds_read_u16 v13, v160 offset:160
	ds_read_u16 v35, v160 offset:688
	;; [unrolled: 1-line block ×4, first 2 shown]
	v_accvgpr_write_b32 a1, v61
	v_accvgpr_write_b32 a2, v63
	s_waitcnt lgkmcnt(2)
	v_perm_b32 v56, v35, v13, s94
	v_accvgpr_write_b32 a3, v1
	s_waitcnt lgkmcnt(0)
	v_perm_b32 v57, v59, v57, s94
	v_cvt_f16_f32_e32 v191, v254
	v_cvt_f16_f32_e32 v210, v255
	v_mfma_f32_16x16x16_f16 a[0:3], v[56:57], v[4:5], a[0:3]
	ds_read_u16 v59, v160 offset:17056
	ds_read_u16 v60, v160 offset:17584
	;; [unrolled: 1-line block ×4, first 2 shown]
	s_waitcnt lgkmcnt(0)
	v_perm_b32 v57, v61, v57, s94
	s_nop 1
	v_accvgpr_read_b32 v1, a0
	v_accvgpr_read_b32 v13, a1
	;; [unrolled: 1-line block ×4, first 2 shown]
	v_cvt_f16_f32_e32 v1, v1
	v_cvt_f16_f32_e32 v13, v13
	v_cvt_f16_f32_e32 v35, v35
	v_cvt_f16_f32_e32 v56, v56
	v_cvt_f32_f16_e32 v1, v1
	v_cvt_f32_f16_e32 v13, v13
	;; [unrolled: 1-line block ×4, first 2 shown]
	v_perm_b32 v56, v60, v59, s94
	v_accvgpr_write_b32 a0, v1
	v_accvgpr_write_b32 a1, v13
	;; [unrolled: 1-line block ×4, first 2 shown]
	v_cvt_f32_f16_e32 v59, v67
	v_cvt_f32_f16_sdwa v60, v67 dst_sel:DWORD dst_unused:UNUSED_PAD src0_sel:WORD_1
	v_mfma_f32_16x16x16_f16 a[0:3], v[56:57], v[2:3], a[0:3]
	v_cvt_f32_f16_e32 v61, v64
	v_cvt_f32_f16_sdwa v63, v64 dst_sel:DWORD dst_unused:UNUSED_PAD src0_sel:WORD_1
	v_cvt_f32_f16_sdwa v67, v205 dst_sel:DWORD dst_unused:UNUSED_PAD src0_sel:WORD_1
	s_nop 4
	v_accvgpr_read_b32 v1, a2
	v_accvgpr_read_b32 v13, a3
	v_cvt_f16_f32_e32 v1, v1
	v_cvt_f16_f32_e32 v13, v13
	v_accvgpr_read_b32 v244, a0
	v_accvgpr_read_b32 v68, a1
	v_accvgpr_write_b32 a0, v59
	v_perm_b32 v145, v13, v1, s94
	ds_read_u16 v1, v160 offset:192
	ds_read_u16 v13, v160 offset:720
	;; [unrolled: 1-line block ×4, first 2 shown]
	v_accvgpr_write_b32 a1, v60
	v_accvgpr_write_b32 a2, v61
	;; [unrolled: 1-line block ×3, first 2 shown]
	v_cvt_f16_f32_e32 v188, v244
	s_waitcnt lgkmcnt(0)
	v_perm_b32 v57, v56, v35, s94
	v_perm_b32 v56, v13, v1, s94
	v_cvt_f16_f32_e32 v207, v68
	s_nop 0
	v_mfma_f32_16x16x16_f16 a[0:3], v[56:57], v[4:5], a[0:3]
	ds_read_u16 v59, v160 offset:17088
	ds_read_u16 v60, v160 offset:17616
	;; [unrolled: 1-line block ×4, first 2 shown]
	s_waitcnt lgkmcnt(0)
	v_perm_b32 v57, v61, v57, s94
	s_nop 1
	v_accvgpr_read_b32 v1, a0
	v_accvgpr_read_b32 v13, a1
	;; [unrolled: 1-line block ×4, first 2 shown]
	v_cvt_f16_f32_e32 v1, v1
	v_cvt_f16_f32_e32 v13, v13
	;; [unrolled: 1-line block ×4, first 2 shown]
	v_cvt_f32_f16_e32 v1, v1
	v_cvt_f32_f16_e32 v13, v13
	;; [unrolled: 1-line block ×4, first 2 shown]
	v_perm_b32 v56, v60, v59, s94
	v_accvgpr_write_b32 a0, v1
	v_accvgpr_write_b32 a1, v13
	;; [unrolled: 1-line block ×4, first 2 shown]
	v_cvt_f32_f16_e32 v59, v178
	v_cvt_f32_f16_sdwa v60, v178 dst_sel:DWORD dst_unused:UNUSED_PAD src0_sel:WORD_1
	v_mfma_f32_16x16x16_f16 a[0:3], v[56:57], v[2:3], a[0:3]
	v_cvt_f32_f16_e32 v61, v177
	v_cvt_f32_f16_sdwa v63, v177 dst_sel:DWORD dst_unused:UNUSED_PAD src0_sel:WORD_1
	s_nop 5
	v_accvgpr_read_b32 v1, a2
	v_accvgpr_read_b32 v13, a3
	v_cvt_f16_f32_e32 v1, v1
	v_cvt_f16_f32_e32 v13, v13
	v_accvgpr_read_b32 v206, a0
	v_accvgpr_read_b32 v242, a1
	v_accvgpr_write_b32 a0, v59
	v_perm_b32 v150, v13, v1, s94
	ds_read_u16 v1, v160 offset:224
	ds_read_u16 v13, v160 offset:752
	ds_read_u16 v35, v160 offset:1280
	ds_read_u16 v56, v161 offset:224
	v_accvgpr_write_b32 a1, v60
	v_accvgpr_write_b32 a2, v61
	;; [unrolled: 1-line block ×3, first 2 shown]
	v_cvt_f16_f32_e32 v64, v206
	s_waitcnt lgkmcnt(0)
	v_perm_b32 v57, v56, v35, s94
	v_perm_b32 v56, v13, v1, s94
	v_cvt_f16_f32_e32 v185, v242
	v_perm_b32 v64, v185, v64, s94
	v_mfma_f32_16x16x16_f16 a[0:3], v[56:57], v[4:5], a[0:3]
	s_nop 7
	v_accvgpr_read_b32 v56, a3
	v_accvgpr_read_b32 v1, a0
	;; [unrolled: 1-line block ×4, first 2 shown]
	v_cvt_f16_f32_e32 v57, v56
	ds_read_u16 v56, v160 offset:17120
	ds_read_u16 v59, v160 offset:17648
	;; [unrolled: 1-line block ×4, first 2 shown]
	v_cvt_f16_f32_e32 v1, v1
	v_cvt_f16_f32_e32 v13, v13
	;; [unrolled: 1-line block ×3, first 2 shown]
	v_cvt_f32_f16_e32 v63, v57
	v_cvt_f32_f16_e32 v1, v1
	;; [unrolled: 1-line block ×4, first 2 shown]
	s_waitcnt lgkmcnt(0)
	v_perm_b32 v57, v61, v60, s94
	v_perm_b32 v56, v59, v56, s94
	v_accvgpr_write_b32 a0, v1
	v_accvgpr_write_b32 a1, v13
	v_accvgpr_write_b32 a2, v35
	v_accvgpr_write_b32 a3, v63
	v_cvt_f32_f16_e32 v59, v190
	v_cvt_f32_f16_sdwa v61, v190 dst_sel:DWORD dst_unused:UNUSED_PAD src0_sel:WORD_1
	v_mfma_f32_16x16x16_f16 a[0:3], v[56:57], v[2:3], a[0:3]
	v_cvt_f32_f16_e32 v63, v58
	v_cvt_f32_f16_sdwa v58, v58 dst_sel:DWORD dst_unused:UNUSED_PAD src0_sel:WORD_1
	s_nop 5
	v_accvgpr_read_b32 v1, a2
	v_accvgpr_read_b32 v13, a3
	v_cvt_f16_f32_e32 v1, v1
	v_cvt_f16_f32_e32 v13, v13
	v_accvgpr_read_b32 v181, a0
	v_accvgpr_read_b32 v183, a1
	v_accvgpr_write_b32 a0, v59
	v_perm_b32 v60, v13, v1, s94
	ds_read_u16 v1, v160 offset:256
	ds_read_u16 v13, v160 offset:784
	ds_read_u16 v35, v160 offset:1312
	ds_read_u16 v56, v161 offset:256
	v_accvgpr_write_b32 a1, v61
	v_accvgpr_write_b32 a2, v63
	v_accvgpr_write_b32 a3, v58
	v_cvt_f16_f32_e32 v176, v181
	s_waitcnt lgkmcnt(0)
	v_perm_b32 v57, v56, v35, s94
	v_perm_b32 v56, v13, v1, s94
	v_cvt_f16_f32_e32 v184, v183
	s_nop 0
	v_mfma_f32_16x16x16_f16 a[0:3], v[56:57], v[4:5], a[0:3]
	ds_read_u16 v58, v160 offset:17152
	ds_read_u16 v59, v160 offset:17680
	ds_read_u16 v57, v160 offset:18208
	ds_read_u16 v61, v161 offset:17152
	s_waitcnt lgkmcnt(0)
	v_perm_b32 v57, v61, v57, s94
	s_nop 1
	v_accvgpr_read_b32 v1, a0
	v_accvgpr_read_b32 v13, a1
	v_accvgpr_read_b32 v35, a2
	v_accvgpr_read_b32 v56, a3
	v_cvt_f16_f32_e32 v1, v1
	v_cvt_f16_f32_e32 v13, v13
	v_cvt_f16_f32_e32 v35, v35
	v_cvt_f16_f32_e32 v56, v56
	v_cvt_f32_f16_e32 v1, v1
	v_cvt_f32_f16_e32 v13, v13
	v_cvt_f32_f16_e32 v35, v35
	v_cvt_f32_f16_e32 v63, v56
	v_perm_b32 v56, v59, v58, s94
	v_accvgpr_write_b32 a0, v1
	v_accvgpr_write_b32 a1, v13
	v_accvgpr_write_b32 a2, v35
	v_accvgpr_write_b32 a3, v63
	v_cvt_f32_f16_e32 v58, v201
	v_cvt_f32_f16_sdwa v59, v201 dst_sel:DWORD dst_unused:UNUSED_PAD src0_sel:WORD_1
	v_mfma_f32_16x16x16_f16 a[0:3], v[56:57], v[2:3], a[0:3]
	v_cvt_f32_f16_e32 v61, v179
	v_cvt_f32_f16_sdwa v63, v179 dst_sel:DWORD dst_unused:UNUSED_PAD src0_sel:WORD_1
	s_nop 5
	v_accvgpr_read_b32 v1, a2
	v_accvgpr_read_b32 v13, a3
	v_cvt_f16_f32_e32 v1, v1
	v_cvt_f16_f32_e32 v13, v13
	v_accvgpr_read_b32 v186, a0
	v_accvgpr_read_b32 v187, a1
	v_accvgpr_write_b32 a0, v58
	v_perm_b32 v200, v13, v1, s94
	ds_read_u16 v1, v160 offset:288
	ds_read_u16 v13, v160 offset:816
	ds_read_u16 v35, v160 offset:1344
	ds_read_u16 v56, v161 offset:288
	v_accvgpr_write_b32 a1, v59
	v_accvgpr_write_b32 a2, v61
	v_accvgpr_write_b32 a3, v63
	v_cvt_f16_f32_e32 v189, v186
	s_waitcnt lgkmcnt(0)
	v_perm_b32 v57, v56, v35, s94
	v_perm_b32 v56, v13, v1, s94
	v_cvt_f16_f32_e32 v190, v187
	s_nop 0
	v_mfma_f32_16x16x16_f16 a[0:3], v[56:57], v[4:5], a[0:3]
	ds_read_u16 v58, v160 offset:17184
	ds_read_u16 v59, v160 offset:17712
	ds_read_u16 v57, v160 offset:18240
	ds_read_u16 v61, v161 offset:17184
	s_waitcnt lgkmcnt(0)
	v_perm_b32 v57, v61, v57, s94
	s_nop 1
	v_accvgpr_read_b32 v1, a0
	v_accvgpr_read_b32 v13, a1
	v_accvgpr_read_b32 v35, a2
	v_accvgpr_read_b32 v56, a3
	v_cvt_f16_f32_e32 v1, v1
	v_cvt_f16_f32_e32 v13, v13
	v_cvt_f16_f32_e32 v35, v35
	v_cvt_f16_f32_e32 v56, v56
	v_cvt_f32_f16_e32 v1, v1
	v_cvt_f32_f16_e32 v13, v13
	v_cvt_f32_f16_e32 v35, v35
	v_cvt_f32_f16_e32 v63, v56
	;; [unrolled: 52-line block ×3, first 2 shown]
	v_perm_b32 v56, v61, v59, s94
	v_accvgpr_write_b32 a0, v1
	v_accvgpr_write_b32 a1, v13
	;; [unrolled: 1-line block ×4, first 2 shown]
	v_cvt_f32_f16_e32 v59, v204
	v_cvt_f32_f16_sdwa v61, v204 dst_sel:DWORD dst_unused:UNUSED_PAD src0_sel:WORD_1
	v_mfma_f32_16x16x16_f16 a[0:3], v[56:57], v[2:3], a[0:3]
	v_cvt_f32_f16_e32 v63, v205
	s_nop 6
	v_accvgpr_read_b32 v1, a2
	v_accvgpr_read_b32 v13, a3
	v_cvt_f16_f32_e32 v1, v1
	v_cvt_f16_f32_e32 v13, v13
	v_accvgpr_read_b32 v177, a0
	v_accvgpr_read_b32 v178, a1
	v_accvgpr_write_b32 a0, v59
	v_perm_b32 v62, v13, v1, s94
	ds_read_u16 v1, v160 offset:352
	ds_read_u16 v13, v160 offset:880
	;; [unrolled: 1-line block ×4, first 2 shown]
	v_accvgpr_write_b32 a1, v61
	v_accvgpr_write_b32 a2, v63
	;; [unrolled: 1-line block ×3, first 2 shown]
	v_cvt_f16_f32_e32 v180, v177
	s_waitcnt lgkmcnt(0)
	v_perm_b32 v57, v56, v35, s94
	v_perm_b32 v56, v13, v1, s94
	v_cvt_f16_f32_e32 v198, v178
	s_nop 0
	v_mfma_f32_16x16x16_f16 a[0:3], v[56:57], v[4:5], a[0:3]
	ds_read_u16 v59, v160 offset:17248
	ds_read_u16 v61, v160 offset:17776
	;; [unrolled: 1-line block ×4, first 2 shown]
	s_waitcnt lgkmcnt(0)
	v_perm_b32 v57, v63, v57, s94
	s_nop 1
	v_accvgpr_read_b32 v1, a0
	v_accvgpr_read_b32 v13, a1
	;; [unrolled: 1-line block ×4, first 2 shown]
	v_cvt_f16_f32_e32 v1, v1
	v_cvt_f16_f32_e32 v13, v13
	;; [unrolled: 1-line block ×4, first 2 shown]
	v_cvt_f32_f16_e32 v1, v1
	v_cvt_f32_f16_e32 v13, v13
	;; [unrolled: 1-line block ×4, first 2 shown]
	v_perm_b32 v56, v61, v59, s94
	v_accvgpr_write_b32 a0, v1
	v_accvgpr_write_b32 a1, v13
	;; [unrolled: 1-line block ×4, first 2 shown]
	v_cvt_f32_f16_e32 v59, v66
	v_cvt_f32_f16_sdwa v61, v66 dst_sel:DWORD dst_unused:UNUSED_PAD src0_sel:WORD_1
	v_mfma_f32_16x16x16_f16 a[0:3], v[56:57], v[2:3], a[0:3]
	v_cvt_f32_f16_e32 v63, v243
	v_cvt_f32_f16_sdwa v66, v243 dst_sel:DWORD dst_unused:UNUSED_PAD src0_sel:WORD_1
	s_nop 5
	v_accvgpr_read_b32 v1, a2
	v_accvgpr_read_b32 v13, a3
	v_cvt_f16_f32_e32 v1, v1
	v_cvt_f16_f32_e32 v13, v13
	v_accvgpr_read_b32 v203, a0
	v_accvgpr_read_b32 v204, a1
	v_accvgpr_write_b32 a0, v59
	v_perm_b32 v179, v13, v1, s94
	ds_read_u16 v1, v160 offset:384
	ds_read_u16 v13, v160 offset:912
	;; [unrolled: 1-line block ×4, first 2 shown]
	v_accvgpr_write_b32 a1, v61
	v_accvgpr_write_b32 a2, v63
	;; [unrolled: 1-line block ×3, first 2 shown]
	v_cvt_f16_f32_e32 v67, v203
	s_waitcnt lgkmcnt(0)
	v_perm_b32 v57, v56, v35, s94
	v_perm_b32 v56, v13, v1, s94
	v_cvt_f16_f32_e32 v175, v204
	v_perm_b32 v67, v175, v67, s94
	v_mfma_f32_16x16x16_f16 a[0:3], v[56:57], v[4:5], a[0:3]
	ds_read_u16 v59, v160 offset:17280
	ds_read_u16 v61, v160 offset:17808
	;; [unrolled: 1-line block ×4, first 2 shown]
	v_perm_b32 v175, v184, v176, s94
	v_perm_b32 v176, v207, v188, s94
	;; [unrolled: 1-line block ×3, first 2 shown]
	s_waitcnt lgkmcnt(0)
	v_perm_b32 v57, v63, v57, s94
	v_accvgpr_read_b32 v1, a0
	v_accvgpr_read_b32 v13, a1
	;; [unrolled: 1-line block ×4, first 2 shown]
	v_cvt_f16_f32_e32 v1, v1
	v_cvt_f16_f32_e32 v13, v13
	;; [unrolled: 1-line block ×4, first 2 shown]
	v_cvt_f32_f16_e32 v1, v1
	v_cvt_f32_f16_e32 v13, v13
	;; [unrolled: 1-line block ×4, first 2 shown]
	v_perm_b32 v56, v61, v59, s94
	v_accvgpr_write_b32 a0, v1
	v_accvgpr_write_b32 a1, v13
	;; [unrolled: 1-line block ×4, first 2 shown]
	v_cvt_f32_f16_e32 v61, v208
	v_cvt_f32_f16_sdwa v63, v208 dst_sel:DWORD dst_unused:UNUSED_PAD src0_sel:WORD_1
	v_mfma_f32_16x16x16_f16 a[0:3], v[56:57], v[2:3], a[0:3]
	s_nop 7
	v_accvgpr_read_b32 v13, a2
	v_accvgpr_read_b32 v35, a3
	v_cvt_f16_f32_e32 v13, v13
	v_cvt_f16_f32_e32 v35, v35
	v_accvgpr_read_b32 v1, a0
	v_accvgpr_read_b32 v56, a1
	v_accvgpr_write_b32 a0, v61
	v_perm_b32 v66, v35, v13, s94
	ds_read_u16 v13, v160 offset:416
	ds_read_u16 v35, v160 offset:944
	;; [unrolled: 1-line block ×4, first 2 shown]
	v_accvgpr_write_b32 a1, v63
	v_accvgpr_write_b32 a2, v78
	s_waitcnt lgkmcnt(2)
	v_perm_b32 v72, v35, v13, s94
	v_accvgpr_write_b32 a3, v79
	s_waitcnt lgkmcnt(0)
	v_perm_b32 v73, v59, v57, s94
	v_cvt_f32_f16_e32 v78, v253
	v_cvt_f32_f16_sdwa v79, v253 dst_sel:DWORD dst_unused:UNUSED_PAD src0_sel:WORD_1
	v_mfma_f32_16x16x16_f16 a[0:3], v[72:73], v[4:5], a[0:3]
	ds_read_u16 v61, v160 offset:17312
	ds_read_u16 v63, v160 offset:17840
	;; [unrolled: 1-line block ×4, first 2 shown]
	v_cvt_f16_f32_e32 v205, v1
	v_cvt_f16_f32_e32 v238, v56
	s_nop 1
	v_accvgpr_read_b32 v13, a0
	v_accvgpr_read_b32 v35, a1
	;; [unrolled: 1-line block ×4, first 2 shown]
	v_cvt_f16_f32_e32 v13, v13
	v_cvt_f16_f32_e32 v35, v35
	;; [unrolled: 1-line block ×4, first 2 shown]
	v_cvt_f32_f16_e32 v13, v13
	v_cvt_f32_f16_e32 v35, v35
	;; [unrolled: 1-line block ×4, first 2 shown]
	s_waitcnt lgkmcnt(0)
	v_perm_b32 v73, v73, v72, s94
	v_perm_b32 v72, v63, v61, s94
	v_accvgpr_write_b32 a0, v13
	v_accvgpr_write_b32 a1, v35
	;; [unrolled: 1-line block ×4, first 2 shown]
	v_perm_b32 v134, v238, v205, s94
	s_nop 0
	v_mfma_f32_16x16x16_f16 a[0:3], v[72:73], v[2:3], a[0:3]
	s_nop 7
	v_accvgpr_read_b32 v57, a2
	v_accvgpr_read_b32 v59, a3
	v_cvt_f16_f32_e32 v57, v57
	v_cvt_f16_f32_e32 v59, v59
	v_accvgpr_read_b32 v13, a0
	v_accvgpr_read_b32 v35, a1
	v_accvgpr_write_b32 a0, v78
	v_perm_b32 v182, v59, v57, s94
	ds_read_u16 v57, v160 offset:448
	ds_read_u16 v59, v160 offset:976
	ds_read_u16 v61, v160 offset:1504
	ds_read_u16 v63, v161 offset:448
	v_accvgpr_write_b32 a1, v79
	v_accvgpr_write_b32 a2, v80
	s_waitcnt lgkmcnt(2)
	v_perm_b32 v72, v59, v57, s94
	v_accvgpr_write_b32 a3, v81
	s_waitcnt lgkmcnt(0)
	v_perm_b32 v73, v63, v61, s94
	v_cvt_f32_f16_e32 v80, v155
	v_cvt_f32_f16_sdwa v81, v155 dst_sel:DWORD dst_unused:UNUSED_PAD src0_sel:WORD_1
	v_mfma_f32_16x16x16_f16 a[0:3], v[72:73], v[4:5], a[0:3]
	ds_read_u16 v72, v160 offset:17344
	ds_read_u16 v78, v160 offset:17872
	;; [unrolled: 1-line block ×4, first 2 shown]
	v_cvt_f16_f32_e32 v208, v13
	v_cvt_f16_f32_e32 v209, v35
	s_nop 1
	v_accvgpr_read_b32 v57, a0
	v_accvgpr_read_b32 v59, a1
	;; [unrolled: 1-line block ×4, first 2 shown]
	v_cvt_f16_f32_e32 v57, v57
	v_cvt_f16_f32_e32 v59, v59
	;; [unrolled: 1-line block ×4, first 2 shown]
	v_cvt_f32_f16_e32 v57, v57
	v_cvt_f32_f16_e32 v59, v59
	v_cvt_f32_f16_e32 v61, v61
	v_cvt_f32_f16_e32 v63, v63
	s_waitcnt lgkmcnt(0)
	v_perm_b32 v73, v79, v73, s94
	v_perm_b32 v72, v78, v72, s94
	v_accvgpr_write_b32 a0, v57
	v_accvgpr_write_b32 a1, v59
	;; [unrolled: 1-line block ×4, first 2 shown]
	v_cvt_f32_f16_e32 v78, v247
	v_cvt_f32_f16_sdwa v79, v247 dst_sel:DWORD dst_unused:UNUSED_PAD src0_sel:WORD_1
	v_mfma_f32_16x16x16_f16 a[0:3], v[72:73], v[2:3], a[0:3]
	s_nop 7
	v_accvgpr_read_b32 v61, a2
	v_accvgpr_read_b32 v63, a3
	v_cvt_f16_f32_e32 v61, v61
	v_cvt_f16_f32_e32 v63, v63
	v_accvgpr_read_b32 v57, a0
	v_accvgpr_read_b32 v59, a1
	v_accvgpr_write_b32 a0, v78
	v_perm_b32 v202, v63, v61, s94
	ds_read_u16 v61, v160 offset:480
	ds_read_u16 v63, v160 offset:1008
	;; [unrolled: 1-line block ×4, first 2 shown]
	v_accvgpr_write_b32 a1, v79
	v_accvgpr_write_b32 a2, v80
	;; [unrolled: 1-line block ×3, first 2 shown]
	v_cvt_f16_f32_e32 v239, v57
	s_waitcnt lgkmcnt(0)
	v_perm_b32 v73, v73, v72, s94
	v_perm_b32 v72, v63, v61, s94
	v_cvt_f16_f32_e32 v240, v59
	s_nop 0
	v_mfma_f32_16x16x16_f16 a[0:3], v[72:73], v[4:5], a[0:3]
	s_nop 7
	v_accvgpr_read_b32 v63, a3
	v_accvgpr_read_b32 v4, a0
	;; [unrolled: 1-line block ×4, first 2 shown]
	v_cvt_f16_f32_e32 v155, v63
	ds_read_u16 v63, v160 offset:17376
	ds_read_u16 v173, v160 offset:17904
	;; [unrolled: 1-line block ×4, first 2 shown]
	v_cvt_f16_f32_e32 v4, v4
	v_cvt_f16_f32_e32 v5, v5
	v_cvt_f16_f32_e32 v61, v61
	v_cvt_f32_f16_e32 v78, v155
	v_cvt_f32_f16_e32 v72, v4
	;; [unrolled: 1-line block ×4, first 2 shown]
	s_waitcnt lgkmcnt(0)
	v_perm_b32 v5, v197, v174, s94
	v_perm_b32 v4, v173, v63, s94
	v_accvgpr_write_b32 a0, v72
	v_accvgpr_write_b32 a1, v73
	;; [unrolled: 1-line block ×4, first 2 shown]
	v_perm_b32 v72, v240, v239, s94
	v_perm_b32 v73, v209, v208, s94
	v_mfma_f32_16x16x16_f16 a[0:3], v[4:5], v[2:3], a[0:3]
	v_perm_b32 v155, v198, v180, s94
	v_perm_b32 v173, v201, v199, s94
	;; [unrolled: 1-line block ×4, first 2 shown]
	s_barrier
	s_nop 2
	v_accvgpr_read_b32 v61, a2
	v_accvgpr_read_b32 v63, a3
	v_cvt_f16_f32_e32 v61, v61
	v_cvt_f16_f32_e32 v63, v63
	v_accvgpr_read_b32 v2, a0
	v_accvgpr_read_b32 v3, a1
	v_cvt_f16_f32_e32 v4, v2
	v_perm_b32 v61, v63, v61, s94
	ds_bpermute_b32 v63, v8, v7
	v_cvt_f16_f32_e32 v5, v3
	s_waitcnt lgkmcnt(0)
	v_add_f32_e32 v7, v7, v63
	v_perm_b32 v63, v5, v4, s94
	s_and_saveexec_b64 s[8:9], s[12:13]
	s_cbranch_execz .LBB30_121
; %bb.120:                              ;   in Loop: Header=BB30_12 Depth=1
	v_cvt_pk_f16_f32 v3, v2, v3
	v_lshlrev_b32_e32 v2, 2, v70
	v_readfirstlane_b32 s12, v114
	v_readfirstlane_b32 s13, v115
	v_cvt_pk_f16_f32 v1, v1, v56
	v_cvt_pk_f16_f32 v13, v13, v35
	;; [unrolled: 1-line block ×3, first 2 shown]
	v_max_f32_e32 v57, v6, v6
	v_cvt_pk_f16_f32 v4, v141, v142
	global_load_dword v56, v2, s[12:13]
	v_cvt_pk_f16_f32 v63, v151, v152
	v_cvt_pk_f16_f32 v5, v146, v147
	;; [unrolled: 1-line block ×11, first 2 shown]
	s_waitcnt vmcnt(0)
	v_max_f32_e32 v2, v56, v56
	v_max_f32_e32 v2, v57, v2
	v_sub_f32_e32 v6, v6, v2
	v_mul_f32_e32 v57, 0x3fb8aa3b, v6
	v_fma_f32 v59, v6, s63, -v57
	v_rndne_f32_e32 v134, v57
	v_fmac_f32_e32 v59, 0x32a5705f, v6
	v_sub_f32_e32 v57, v57, v134
	v_add_f32_e32 v57, v57, v59
	v_exp_f32_e32 v57, v57
	v_cvt_i32_f32_e32 v59, v134
	v_cmp_ngt_f32_e32 vcc, s90, v6
	v_sub_f32_e32 v56, v56, v2
	v_ldexp_f32 v57, v57, v59
	v_cndmask_b32_e32 v57, 0, v57, vcc
	v_cmp_nlt_f32_e32 vcc, s91, v6
	s_nop 1
	v_cndmask_b32_e32 v57, v246, v57, vcc
	v_cmp_le_f32_e32 vcc, s93, v6
	s_nop 1
	v_cndmask_b32_e32 v6, 0, v57, vcc
	v_cvt_f16_f32_e32 v57, v6
	v_cmp_ngt_f32_e32 vcc, s90, v56
	v_mul_u32_u24_e32 v57, 0x10001, v57
	v_pk_mul_f16 v134, v1, v57
	v_mul_f32_e32 v1, 0x3fb8aa3b, v56
	v_pk_mul_f16 v143, v4, v57
	v_pk_mul_f16 v153, v63, v57
	;; [unrolled: 1-line block ×3, first 2 shown]
	v_fma_f32 v3, v56, s63, -v1
	v_rndne_f32_e32 v4, v1
	v_fmac_f32_e32 v3, 0x32a5705f, v56
	v_sub_f32_e32 v1, v1, v4
	v_add_f32_e32 v1, v1, v3
	v_exp_f32_e32 v1, v1
	v_cvt_i32_f32_e32 v3, v4
	v_pk_mul_f16 v9, v9, v57
	v_pk_mul_f16 v148, v5, v57
	;; [unrolled: 1-line block ×3, first 2 shown]
	v_ldexp_f32 v1, v1, v3
	v_cndmask_b32_e32 v1, 0, v1, vcc
	v_cmp_nlt_f32_e32 vcc, s91, v56
	v_pk_mul_f16 v135, v135, v57
	v_pk_mul_f16 v184, v64, v57
	v_cndmask_b32_e32 v3, v246, v1, vcc
	v_fmac_f32_e32 v3, v7, v6
	v_pk_mul_f16 v136, v136, v57
	v_pk_mul_f16 v180, v67, v57
	;; [unrolled: 1-line block ×23, first 2 shown]
	v_mov_b64_e32 v[6:7], v[2:3]
.LBB30_121:                             ;   in Loop: Header=BB30_12 Depth=1
	s_or_b64 exec, exec, s[8:9]
	s_and_saveexec_b64 s[8:9], s[4:5]
; %bb.122:                              ;   in Loop: Header=BB30_12 Depth=1
	v_add_u32_e32 v1, 0, v168
	ds_write2_b32 v1, v6, v7 offset0:128 offset1:129
; %bb.123:                              ;   in Loop: Header=BB30_12 Depth=1
	s_or_b64 exec, exec, s[8:9]
	s_waitcnt lgkmcnt(0)
	s_barrier
	s_and_saveexec_b64 s[8:9], s[10:11]
	s_xor_b64 s[8:9], exec, s[8:9]
	s_cbranch_execz .LBB30_125
; %bb.124:                              ;   in Loop: Header=BB30_12 Depth=1
	s_barrier
                                        ; implicit-def: $vgpr8
.LBB30_125:                             ;   in Loop: Header=BB30_12 Depth=1
	s_andn2_saveexec_b64 s[8:9], s[8:9]
	s_cbranch_execz .LBB30_131
; %bb.126:                              ;   in Loop: Header=BB30_12 Depth=1
	v_add_u32_e32 v1, 0, v169
	ds_read_b64 v[6:7], v1 offset:512
	s_waitcnt lgkmcnt(0)
	s_barrier
	ds_bpermute_b32 v2, v8, v6
	v_max_f32_e32 v3, v6, v6
	s_waitcnt lgkmcnt(0)
	v_max_f32_e32 v2, v2, v2
	v_max_f32_e32 v2, v3, v2
	v_sub_f32_e32 v3, v6, v2
	v_mul_f32_e32 v4, 0x3fb8aa3b, v3
	v_fma_f32 v5, v3, s63, -v4
	v_rndne_f32_e32 v6, v4
	v_fmac_f32_e32 v5, 0x32a5705f, v3
	v_sub_f32_e32 v4, v4, v6
	v_add_f32_e32 v4, v4, v5
	v_cvt_i32_f32_e32 v6, v6
	v_exp_f32_e32 v4, v4
	v_cmp_ngt_f32_e32 vcc, s90, v3
	v_ldexp_f32 v4, v4, v6
	s_nop 0
	v_cndmask_b32_e32 v4, 0, v4, vcc
	v_cmp_nlt_f32_e32 vcc, s91, v3
	s_nop 1
	v_cndmask_b32_e32 v4, v246, v4, vcc
	v_mul_f32_e32 v3, v7, v4
	ds_bpermute_b32 v5, v8, v3
	s_waitcnt lgkmcnt(0)
	v_fmac_f32_e32 v5, v7, v4
	s_and_saveexec_b64 s[12:13], s[6:7]
; %bb.127:                              ;   in Loop: Header=BB30_12 Depth=1
	ds_write_b64 v1, v[4:5] offset:512
; %bb.128:                              ;   in Loop: Header=BB30_12 Depth=1
	s_or_b64 exec, exec, s[12:13]
	s_and_saveexec_b64 s[12:13], s[4:5]
	s_cbranch_execz .LBB30_130
; %bb.129:                              ;   in Loop: Header=BB30_12 Depth=1
	v_mov_b32_e32 v3, v5
	v_accvgpr_read_b32 v4, a98
	v_accvgpr_read_b32 v5, a99
	global_store_dwordx2 v[4:5], v[2:3], off
.LBB30_130:                             ;   in Loop: Header=BB30_12 Depth=1
	s_or_b64 exec, exec, s[12:13]
.LBB30_131:                             ;   in Loop: Header=BB30_12 Depth=1
	s_or_b64 exec, exec, s[8:9]
	v_add_u32_e32 v1, v157, v170
	ds_write2_b32 v1, v143, v9 offset1:1
	ds_write2_b32 v1, v148, v16 offset0:8 offset1:9
	ds_write2_b32 v1, v153, v135 offset0:16 offset1:17
	;; [unrolled: 1-line block ×15, first 2 shown]
	s_waitcnt lgkmcnt(0)
	s_barrier
	s_and_saveexec_b64 s[70:71], s[0:1]
	s_cbranch_execz .LBB30_209
; %bb.132:                              ;   in Loop: Header=BB30_12 Depth=1
	v_add_u32_e32 v2, v236, v77
	v_or_b32_e32 v1, v74, v15
	v_cmp_gt_i32_e64 s[8:9], s36, v2
	v_cmp_gt_i32_e32 vcc, s74, v1
	s_and_b64 s[12:13], s[8:9], vcc
	v_mov_b32_e32 v1, 0x47
	s_and_saveexec_b64 s[8:9], s[12:13]
	s_cbranch_execz .LBB30_134
; %bb.133:                              ;   in Loop: Header=BB30_12 Depth=1
	ds_read2st64_b32 v[4:5], v195 offset1:1
	ds_read2st64_b32 v[6:7], v171 offset0:2 offset1:35
	ds_read2st64_b32 v[8:9], v195 offset0:33 offset1:34
	v_mad_u64_u32 v[2:3], s[12:13], v2, s37, v[74:75]
	v_lshl_add_u32 v2, v2, 7, v12
	s_waitcnt lgkmcnt(2)
	v_cvt_f32_f16_sdwa v57, v4 dst_sel:DWORD dst_unused:UNUSED_PAD src0_sel:WORD_1
	v_cvt_f32_f16_e32 v56, v4
	v_cvt_f32_f16_sdwa v61, v5 dst_sel:DWORD dst_unused:UNUSED_PAD src0_sel:WORD_1
	v_cvt_f32_f16_e32 v60, v5
	s_waitcnt lgkmcnt(0)
	v_cvt_f32_f16_sdwa v59, v8 dst_sel:DWORD dst_unused:UNUSED_PAD src0_sel:WORD_1
	v_cvt_f32_f16_e32 v58, v8
	v_cvt_f32_f16_sdwa v63, v9 dst_sel:DWORD dst_unused:UNUSED_PAD src0_sel:WORD_1
	v_cvt_f32_f16_e32 v62, v9
	v_ashrrev_i32_e32 v3, 31, v2
	v_pk_fma_f32 v[56:57], v[6:7], v[56:57], 0 op_sel_hi:[0,1,0]
	v_mov_b32_e32 v4, v7
	v_pk_fma_f32 v[6:7], v[6:7], v[60:61], 0 op_sel_hi:[0,1,0]
	v_lshl_add_u64 v[2:3], v[2:3], 3, v[112:113]
	v_pk_fma_f32 v[8:9], v[4:5], v[58:59], v[56:57] op_sel_hi:[0,1,1]
	v_pk_fma_f32 v[4:5], v[4:5], v[62:63], v[6:7] op_sel_hi:[0,1,1]
	v_mov_b32_e32 v1, 0
	global_store_dwordx2 v[2:3], v[8:9], off
	global_store_dwordx2 v[2:3], v[4:5], off offset:512
.LBB30_134:                             ;   in Loop: Header=BB30_12 Depth=1
	s_or_b64 exec, exec, s[8:9]
	v_cmp_gt_i32_e64 s[8:9], s95, v1
	s_mov_b64 s[12:13], -1
	s_and_saveexec_b64 s[72:73], s[8:9]
; %bb.135:                              ;   in Loop: Header=BB30_12 Depth=1
	v_cmp_eq_u32_e64 s[8:9], 0, v1
	s_orn2_b64 s[12:13], s[8:9], exec
; %bb.136:                              ;   in Loop: Header=BB30_12 Depth=1
	s_or_b64 exec, exec, s[72:73]
	s_and_b64 exec, exec, s[12:13]
	s_cbranch_execz .LBB30_209
; %bb.137:                              ;   in Loop: Header=BB30_12 Depth=1
	v_add_u32_e32 v2, v237, v77
	v_or_b32_e32 v1, v54, v15
	v_cmp_gt_i32_e64 s[8:9], s36, v2
	v_cmp_gt_i32_e64 s[12:13], s74, v1
	s_and_b64 s[12:13], s[8:9], s[12:13]
	v_mov_b32_e32 v1, 0x47
	s_and_saveexec_b64 s[8:9], s[12:13]
	s_cbranch_execz .LBB30_139
; %bb.138:                              ;   in Loop: Header=BB30_12 Depth=1
	ds_read2st64_b32 v[4:5], v196 offset1:1
	ds_read2st64_b32 v[6:7], v172 offset0:2 offset1:35
	ds_read2st64_b32 v[8:9], v196 offset0:33 offset1:34
	v_mad_u64_u32 v[2:3], s[12:13], v2, s37, v[54:55]
	v_lshl_add_u32 v2, v2, 7, v12
	s_waitcnt lgkmcnt(2)
	v_cvt_f32_f16_sdwa v57, v4 dst_sel:DWORD dst_unused:UNUSED_PAD src0_sel:WORD_1
	v_cvt_f32_f16_e32 v56, v4
	v_cvt_f32_f16_sdwa v61, v5 dst_sel:DWORD dst_unused:UNUSED_PAD src0_sel:WORD_1
	v_cvt_f32_f16_e32 v60, v5
	s_waitcnt lgkmcnt(0)
	v_cvt_f32_f16_sdwa v59, v8 dst_sel:DWORD dst_unused:UNUSED_PAD src0_sel:WORD_1
	v_cvt_f32_f16_e32 v58, v8
	v_cvt_f32_f16_sdwa v63, v9 dst_sel:DWORD dst_unused:UNUSED_PAD src0_sel:WORD_1
	v_cvt_f32_f16_e32 v62, v9
	v_ashrrev_i32_e32 v3, 31, v2
	v_pk_fma_f32 v[56:57], v[6:7], v[56:57], 0 op_sel_hi:[0,1,0]
	v_mov_b32_e32 v4, v7
	v_pk_fma_f32 v[6:7], v[6:7], v[60:61], 0 op_sel_hi:[0,1,0]
	v_lshl_add_u64 v[2:3], v[2:3], 3, v[112:113]
	v_pk_fma_f32 v[8:9], v[4:5], v[58:59], v[56:57] op_sel_hi:[0,1,1]
	v_pk_fma_f32 v[4:5], v[4:5], v[62:63], v[6:7] op_sel_hi:[0,1,1]
	v_mov_b32_e32 v1, 0
	global_store_dwordx2 v[2:3], v[8:9], off
	global_store_dwordx2 v[2:3], v[4:5], off offset:512
.LBB30_139:                             ;   in Loop: Header=BB30_12 Depth=1
	s_or_b64 exec, exec, s[8:9]
	v_cmp_gt_i32_e64 s[8:9], s95, v1
	s_mov_b64 s[12:13], -1
	s_and_saveexec_b64 s[72:73], s[8:9]
; %bb.140:                              ;   in Loop: Header=BB30_12 Depth=1
	v_cmp_eq_u32_e64 s[8:9], 0, v1
	s_orn2_b64 s[12:13], s[8:9], exec
; %bb.141:                              ;   in Loop: Header=BB30_12 Depth=1
	s_or_b64 exec, exec, s[72:73]
	s_and_b64 exec, exec, s[12:13]
	s_cbranch_execz .LBB30_209
; %bb.142:                              ;   in Loop: Header=BB30_12 Depth=1
	v_accvgpr_read_b32 v1, a48
	v_add_u32_e32 v2, v1, v77
	v_cmp_gt_i32_e64 s[8:9], s36, v2
	s_and_b64 s[12:13], s[8:9], vcc
	v_mov_b32_e32 v1, 0x47
	s_and_saveexec_b64 s[8:9], s[12:13]
	s_cbranch_execz .LBB30_144
; %bb.143:                              ;   in Loop: Header=BB30_12 Depth=1
	v_accvgpr_read_b32 v8, a69
	ds_read2st64_b32 v[4:5], v8 offset1:1
	v_accvgpr_read_b32 v1, a49
	ds_read2st64_b32 v[6:7], v1 offset0:2 offset1:35
	ds_read2st64_b32 v[8:9], v8 offset0:33 offset1:34
	v_mad_u64_u32 v[2:3], s[12:13], v2, s37, v[74:75]
	s_waitcnt lgkmcnt(2)
	v_cvt_f32_f16_sdwa v57, v4 dst_sel:DWORD dst_unused:UNUSED_PAD src0_sel:WORD_1
	v_cvt_f32_f16_e32 v56, v4
	v_cvt_f32_f16_sdwa v61, v5 dst_sel:DWORD dst_unused:UNUSED_PAD src0_sel:WORD_1
	v_cvt_f32_f16_e32 v60, v5
	s_waitcnt lgkmcnt(0)
	v_cvt_f32_f16_sdwa v59, v8 dst_sel:DWORD dst_unused:UNUSED_PAD src0_sel:WORD_1
	v_cvt_f32_f16_e32 v58, v8
	v_cvt_f32_f16_sdwa v63, v9 dst_sel:DWORD dst_unused:UNUSED_PAD src0_sel:WORD_1
	v_cvt_f32_f16_e32 v62, v9
	v_lshl_add_u32 v2, v2, 7, v12
	v_ashrrev_i32_e32 v3, 31, v2
	v_pk_fma_f32 v[56:57], v[6:7], v[56:57], 0 op_sel_hi:[0,1,0]
	v_mov_b32_e32 v4, v7
	v_pk_fma_f32 v[6:7], v[6:7], v[60:61], 0 op_sel_hi:[0,1,0]
	v_lshl_add_u64 v[2:3], v[2:3], 3, v[112:113]
	v_pk_fma_f32 v[8:9], v[4:5], v[58:59], v[56:57] op_sel_hi:[0,1,1]
	v_pk_fma_f32 v[4:5], v[4:5], v[62:63], v[6:7] op_sel_hi:[0,1,1]
	v_mov_b32_e32 v1, 0
	global_store_dwordx2 v[2:3], v[8:9], off
	global_store_dwordx2 v[2:3], v[4:5], off offset:512
.LBB30_144:                             ;   in Loop: Header=BB30_12 Depth=1
	s_or_b64 exec, exec, s[8:9]
	v_cmp_gt_i32_e64 s[8:9], s95, v1
	s_mov_b64 s[12:13], -1
	s_and_saveexec_b64 s[72:73], s[8:9]
; %bb.145:                              ;   in Loop: Header=BB30_12 Depth=1
	v_cmp_eq_u32_e64 s[8:9], 0, v1
	s_orn2_b64 s[12:13], s[8:9], exec
; %bb.146:                              ;   in Loop: Header=BB30_12 Depth=1
	s_or_b64 exec, exec, s[72:73]
	s_and_b64 exec, exec, s[12:13]
	s_cbranch_execz .LBB30_209
; %bb.147:                              ;   in Loop: Header=BB30_12 Depth=1
	v_accvgpr_read_b32 v1, a83
	v_accvgpr_read_b32 v4, a84
	v_add_u32_e32 v2, v1, v77
	v_or_b32_e32 v1, v4, v15
	v_cmp_gt_i32_e64 s[8:9], s36, v2
	v_cmp_gt_i32_e64 s[12:13], s74, v1
	s_and_b64 s[12:13], s[8:9], s[12:13]
	v_mov_b32_e32 v1, 0x47
	s_and_saveexec_b64 s[8:9], s[12:13]
	s_cbranch_execz .LBB30_149
; %bb.148:                              ;   in Loop: Header=BB30_12 Depth=1
	v_accvgpr_read_b32 v8, a70
	ds_read2st64_b32 v[4:5], v8 offset1:1
	v_accvgpr_read_b32 v6, a84
	v_accvgpr_read_b32 v1, a50
	v_mad_u64_u32 v[2:3], s[12:13], v2, s37, v[6:7]
	ds_read2st64_b32 v[6:7], v1 offset0:2 offset1:35
	ds_read2st64_b32 v[8:9], v8 offset0:33 offset1:34
	s_waitcnt lgkmcnt(2)
	v_cvt_f32_f16_sdwa v57, v4 dst_sel:DWORD dst_unused:UNUSED_PAD src0_sel:WORD_1
	v_cvt_f32_f16_e32 v56, v4
	v_cvt_f32_f16_sdwa v61, v5 dst_sel:DWORD dst_unused:UNUSED_PAD src0_sel:WORD_1
	v_cvt_f32_f16_e32 v60, v5
	s_waitcnt lgkmcnt(0)
	v_cvt_f32_f16_sdwa v59, v8 dst_sel:DWORD dst_unused:UNUSED_PAD src0_sel:WORD_1
	v_cvt_f32_f16_e32 v58, v8
	v_cvt_f32_f16_sdwa v63, v9 dst_sel:DWORD dst_unused:UNUSED_PAD src0_sel:WORD_1
	v_cvt_f32_f16_e32 v62, v9
	v_lshl_add_u32 v2, v2, 7, v12
	v_ashrrev_i32_e32 v3, 31, v2
	v_pk_fma_f32 v[56:57], v[6:7], v[56:57], 0 op_sel_hi:[0,1,0]
	v_mov_b32_e32 v4, v7
	v_pk_fma_f32 v[6:7], v[6:7], v[60:61], 0 op_sel_hi:[0,1,0]
	v_lshl_add_u64 v[2:3], v[2:3], 3, v[112:113]
	v_pk_fma_f32 v[8:9], v[4:5], v[58:59], v[56:57] op_sel_hi:[0,1,1]
	v_pk_fma_f32 v[4:5], v[4:5], v[62:63], v[6:7] op_sel_hi:[0,1,1]
	v_mov_b32_e32 v1, 0
	global_store_dwordx2 v[2:3], v[8:9], off
	global_store_dwordx2 v[2:3], v[4:5], off offset:512
.LBB30_149:                             ;   in Loop: Header=BB30_12 Depth=1
	s_or_b64 exec, exec, s[8:9]
	v_cmp_gt_i32_e64 s[8:9], s95, v1
	s_mov_b64 s[12:13], -1
	s_and_saveexec_b64 s[72:73], s[8:9]
; %bb.150:                              ;   in Loop: Header=BB30_12 Depth=1
	v_cmp_eq_u32_e64 s[8:9], 0, v1
	s_orn2_b64 s[12:13], s[8:9], exec
; %bb.151:                              ;   in Loop: Header=BB30_12 Depth=1
	s_or_b64 exec, exec, s[72:73]
	s_and_b64 exec, exec, s[12:13]
	s_cbranch_execz .LBB30_209
; %bb.152:                              ;   in Loop: Header=BB30_12 Depth=1
	v_accvgpr_read_b32 v1, a51
	v_add_u32_e32 v2, v1, v77
	v_cmp_gt_i32_e64 s[8:9], s36, v2
	s_and_b64 s[12:13], s[8:9], vcc
	v_mov_b32_e32 v1, 0x47
	s_and_saveexec_b64 s[8:9], s[12:13]
	s_cbranch_execz .LBB30_154
; %bb.153:                              ;   in Loop: Header=BB30_12 Depth=1
	v_accvgpr_read_b32 v8, a71
	ds_read2st64_b32 v[4:5], v8 offset1:1
	v_accvgpr_read_b32 v1, a52
	ds_read2st64_b32 v[6:7], v1 offset0:2 offset1:35
	ds_read2st64_b32 v[8:9], v8 offset0:33 offset1:34
	v_mad_u64_u32 v[2:3], s[12:13], v2, s37, v[74:75]
	s_waitcnt lgkmcnt(2)
	v_cvt_f32_f16_sdwa v57, v4 dst_sel:DWORD dst_unused:UNUSED_PAD src0_sel:WORD_1
	v_cvt_f32_f16_e32 v56, v4
	v_cvt_f32_f16_sdwa v61, v5 dst_sel:DWORD dst_unused:UNUSED_PAD src0_sel:WORD_1
	v_cvt_f32_f16_e32 v60, v5
	s_waitcnt lgkmcnt(0)
	v_cvt_f32_f16_sdwa v59, v8 dst_sel:DWORD dst_unused:UNUSED_PAD src0_sel:WORD_1
	v_cvt_f32_f16_e32 v58, v8
	v_cvt_f32_f16_sdwa v63, v9 dst_sel:DWORD dst_unused:UNUSED_PAD src0_sel:WORD_1
	v_cvt_f32_f16_e32 v62, v9
	v_lshl_add_u32 v2, v2, 7, v12
	v_ashrrev_i32_e32 v3, 31, v2
	v_pk_fma_f32 v[56:57], v[6:7], v[56:57], 0 op_sel_hi:[0,1,0]
	v_mov_b32_e32 v4, v7
	v_pk_fma_f32 v[6:7], v[6:7], v[60:61], 0 op_sel_hi:[0,1,0]
	v_lshl_add_u64 v[2:3], v[2:3], 3, v[112:113]
	v_pk_fma_f32 v[8:9], v[4:5], v[58:59], v[56:57] op_sel_hi:[0,1,1]
	v_pk_fma_f32 v[4:5], v[4:5], v[62:63], v[6:7] op_sel_hi:[0,1,1]
	v_mov_b32_e32 v1, 0
	global_store_dwordx2 v[2:3], v[8:9], off
	global_store_dwordx2 v[2:3], v[4:5], off offset:512
.LBB30_154:                             ;   in Loop: Header=BB30_12 Depth=1
	s_or_b64 exec, exec, s[8:9]
	v_cmp_gt_i32_e64 s[8:9], s95, v1
	s_mov_b64 s[12:13], -1
	s_and_saveexec_b64 s[72:73], s[8:9]
; %bb.155:                              ;   in Loop: Header=BB30_12 Depth=1
	v_cmp_eq_u32_e64 s[8:9], 0, v1
	s_orn2_b64 s[12:13], s[8:9], exec
; %bb.156:                              ;   in Loop: Header=BB30_12 Depth=1
	s_or_b64 exec, exec, s[72:73]
	s_and_b64 exec, exec, s[12:13]
	s_cbranch_execz .LBB30_209
; %bb.157:                              ;   in Loop: Header=BB30_12 Depth=1
	v_accvgpr_read_b32 v1, a85
	v_accvgpr_read_b32 v4, a86
	v_add_u32_e32 v2, v1, v77
	v_or_b32_e32 v1, v4, v15
	v_cmp_gt_i32_e64 s[8:9], s36, v2
	v_cmp_gt_i32_e64 s[12:13], s74, v1
	s_and_b64 s[12:13], s[8:9], s[12:13]
	v_mov_b32_e32 v1, 0x47
	s_and_saveexec_b64 s[8:9], s[12:13]
	s_cbranch_execz .LBB30_159
; %bb.158:                              ;   in Loop: Header=BB30_12 Depth=1
	v_accvgpr_read_b32 v8, a72
	ds_read2st64_b32 v[4:5], v8 offset1:1
	v_accvgpr_read_b32 v6, a86
	v_accvgpr_read_b32 v1, a53
	v_mad_u64_u32 v[2:3], s[12:13], v2, s37, v[6:7]
	ds_read2st64_b32 v[6:7], v1 offset0:2 offset1:35
	ds_read2st64_b32 v[8:9], v8 offset0:33 offset1:34
	s_waitcnt lgkmcnt(2)
	v_cvt_f32_f16_sdwa v57, v4 dst_sel:DWORD dst_unused:UNUSED_PAD src0_sel:WORD_1
	v_cvt_f32_f16_e32 v56, v4
	v_cvt_f32_f16_sdwa v61, v5 dst_sel:DWORD dst_unused:UNUSED_PAD src0_sel:WORD_1
	v_cvt_f32_f16_e32 v60, v5
	s_waitcnt lgkmcnt(0)
	v_cvt_f32_f16_sdwa v59, v8 dst_sel:DWORD dst_unused:UNUSED_PAD src0_sel:WORD_1
	v_cvt_f32_f16_e32 v58, v8
	v_cvt_f32_f16_sdwa v63, v9 dst_sel:DWORD dst_unused:UNUSED_PAD src0_sel:WORD_1
	v_cvt_f32_f16_e32 v62, v9
	v_lshl_add_u32 v2, v2, 7, v12
	v_ashrrev_i32_e32 v3, 31, v2
	v_pk_fma_f32 v[56:57], v[6:7], v[56:57], 0 op_sel_hi:[0,1,0]
	v_mov_b32_e32 v4, v7
	v_pk_fma_f32 v[6:7], v[6:7], v[60:61], 0 op_sel_hi:[0,1,0]
	v_lshl_add_u64 v[2:3], v[2:3], 3, v[112:113]
	v_pk_fma_f32 v[8:9], v[4:5], v[58:59], v[56:57] op_sel_hi:[0,1,1]
	v_pk_fma_f32 v[4:5], v[4:5], v[62:63], v[6:7] op_sel_hi:[0,1,1]
	v_mov_b32_e32 v1, 0
	global_store_dwordx2 v[2:3], v[8:9], off
	global_store_dwordx2 v[2:3], v[4:5], off offset:512
.LBB30_159:                             ;   in Loop: Header=BB30_12 Depth=1
	s_or_b64 exec, exec, s[8:9]
	v_cmp_gt_i32_e64 s[8:9], s95, v1
	s_mov_b64 s[12:13], -1
	s_and_saveexec_b64 s[72:73], s[8:9]
; %bb.160:                              ;   in Loop: Header=BB30_12 Depth=1
	v_cmp_eq_u32_e64 s[8:9], 0, v1
	s_orn2_b64 s[12:13], s[8:9], exec
; %bb.161:                              ;   in Loop: Header=BB30_12 Depth=1
	s_or_b64 exec, exec, s[72:73]
	s_and_b64 exec, exec, s[12:13]
	s_cbranch_execz .LBB30_209
; %bb.162:                              ;   in Loop: Header=BB30_12 Depth=1
	v_accvgpr_read_b32 v1, a54
	v_add_u32_e32 v2, v1, v77
	v_cmp_gt_i32_e64 s[8:9], s36, v2
	s_and_b64 s[12:13], s[8:9], vcc
	v_mov_b32_e32 v1, 0x47
	s_and_saveexec_b64 s[8:9], s[12:13]
	s_cbranch_execz .LBB30_164
; %bb.163:                              ;   in Loop: Header=BB30_12 Depth=1
	v_accvgpr_read_b32 v8, a73
	ds_read2st64_b32 v[4:5], v8 offset1:1
	v_accvgpr_read_b32 v1, a55
	ds_read2st64_b32 v[6:7], v1 offset0:2 offset1:35
	ds_read2st64_b32 v[8:9], v8 offset0:33 offset1:34
	v_mad_u64_u32 v[2:3], s[12:13], v2, s37, v[74:75]
	s_waitcnt lgkmcnt(2)
	v_cvt_f32_f16_sdwa v57, v4 dst_sel:DWORD dst_unused:UNUSED_PAD src0_sel:WORD_1
	v_cvt_f32_f16_e32 v56, v4
	v_cvt_f32_f16_sdwa v61, v5 dst_sel:DWORD dst_unused:UNUSED_PAD src0_sel:WORD_1
	v_cvt_f32_f16_e32 v60, v5
	s_waitcnt lgkmcnt(0)
	v_cvt_f32_f16_sdwa v59, v8 dst_sel:DWORD dst_unused:UNUSED_PAD src0_sel:WORD_1
	v_cvt_f32_f16_e32 v58, v8
	v_cvt_f32_f16_sdwa v63, v9 dst_sel:DWORD dst_unused:UNUSED_PAD src0_sel:WORD_1
	v_cvt_f32_f16_e32 v62, v9
	v_lshl_add_u32 v2, v2, 7, v12
	v_ashrrev_i32_e32 v3, 31, v2
	v_pk_fma_f32 v[56:57], v[6:7], v[56:57], 0 op_sel_hi:[0,1,0]
	v_mov_b32_e32 v4, v7
	v_pk_fma_f32 v[6:7], v[6:7], v[60:61], 0 op_sel_hi:[0,1,0]
	v_lshl_add_u64 v[2:3], v[2:3], 3, v[112:113]
	v_pk_fma_f32 v[8:9], v[4:5], v[58:59], v[56:57] op_sel_hi:[0,1,1]
	v_pk_fma_f32 v[4:5], v[4:5], v[62:63], v[6:7] op_sel_hi:[0,1,1]
	v_mov_b32_e32 v1, 0
	global_store_dwordx2 v[2:3], v[8:9], off
	global_store_dwordx2 v[2:3], v[4:5], off offset:512
.LBB30_164:                             ;   in Loop: Header=BB30_12 Depth=1
	s_or_b64 exec, exec, s[8:9]
	v_cmp_gt_i32_e64 s[8:9], s95, v1
	s_mov_b64 s[12:13], -1
	s_and_saveexec_b64 s[72:73], s[8:9]
; %bb.165:                              ;   in Loop: Header=BB30_12 Depth=1
	v_cmp_eq_u32_e64 s[8:9], 0, v1
	s_orn2_b64 s[12:13], s[8:9], exec
; %bb.166:                              ;   in Loop: Header=BB30_12 Depth=1
	s_or_b64 exec, exec, s[72:73]
	s_and_b64 exec, exec, s[12:13]
	s_cbranch_execz .LBB30_209
; %bb.167:                              ;   in Loop: Header=BB30_12 Depth=1
	v_accvgpr_read_b32 v1, a87
	v_accvgpr_read_b32 v4, a88
	v_add_u32_e32 v2, v1, v77
	v_or_b32_e32 v1, v4, v15
	v_cmp_gt_i32_e64 s[8:9], s36, v2
	v_cmp_gt_i32_e64 s[12:13], s74, v1
	s_and_b64 s[12:13], s[8:9], s[12:13]
	v_mov_b32_e32 v1, 0x47
	s_and_saveexec_b64 s[8:9], s[12:13]
	s_cbranch_execz .LBB30_169
; %bb.168:                              ;   in Loop: Header=BB30_12 Depth=1
	v_accvgpr_read_b32 v8, a74
	ds_read2st64_b32 v[4:5], v8 offset1:1
	v_accvgpr_read_b32 v6, a88
	v_accvgpr_read_b32 v1, a56
	v_mad_u64_u32 v[2:3], s[12:13], v2, s37, v[6:7]
	ds_read2st64_b32 v[6:7], v1 offset0:2 offset1:35
	ds_read2st64_b32 v[8:9], v8 offset0:33 offset1:34
	s_waitcnt lgkmcnt(2)
	v_cvt_f32_f16_sdwa v57, v4 dst_sel:DWORD dst_unused:UNUSED_PAD src0_sel:WORD_1
	v_cvt_f32_f16_e32 v56, v4
	v_cvt_f32_f16_sdwa v61, v5 dst_sel:DWORD dst_unused:UNUSED_PAD src0_sel:WORD_1
	v_cvt_f32_f16_e32 v60, v5
	s_waitcnt lgkmcnt(0)
	v_cvt_f32_f16_sdwa v59, v8 dst_sel:DWORD dst_unused:UNUSED_PAD src0_sel:WORD_1
	v_cvt_f32_f16_e32 v58, v8
	v_cvt_f32_f16_sdwa v63, v9 dst_sel:DWORD dst_unused:UNUSED_PAD src0_sel:WORD_1
	v_cvt_f32_f16_e32 v62, v9
	v_lshl_add_u32 v2, v2, 7, v12
	v_ashrrev_i32_e32 v3, 31, v2
	v_pk_fma_f32 v[56:57], v[6:7], v[56:57], 0 op_sel_hi:[0,1,0]
	v_mov_b32_e32 v4, v7
	v_pk_fma_f32 v[6:7], v[6:7], v[60:61], 0 op_sel_hi:[0,1,0]
	v_lshl_add_u64 v[2:3], v[2:3], 3, v[112:113]
	v_pk_fma_f32 v[8:9], v[4:5], v[58:59], v[56:57] op_sel_hi:[0,1,1]
	v_pk_fma_f32 v[4:5], v[4:5], v[62:63], v[6:7] op_sel_hi:[0,1,1]
	v_mov_b32_e32 v1, 0
	global_store_dwordx2 v[2:3], v[8:9], off
	global_store_dwordx2 v[2:3], v[4:5], off offset:512
.LBB30_169:                             ;   in Loop: Header=BB30_12 Depth=1
	s_or_b64 exec, exec, s[8:9]
	v_cmp_gt_i32_e64 s[8:9], s95, v1
	s_mov_b64 s[12:13], -1
	s_and_saveexec_b64 s[72:73], s[8:9]
; %bb.170:                              ;   in Loop: Header=BB30_12 Depth=1
	v_cmp_eq_u32_e64 s[8:9], 0, v1
	s_orn2_b64 s[12:13], s[8:9], exec
; %bb.171:                              ;   in Loop: Header=BB30_12 Depth=1
	s_or_b64 exec, exec, s[72:73]
	s_and_b64 exec, exec, s[12:13]
	s_cbranch_execz .LBB30_209
; %bb.172:                              ;   in Loop: Header=BB30_12 Depth=1
	v_accvgpr_read_b32 v1, a57
	v_add_u32_e32 v2, v1, v77
	v_cmp_gt_i32_e64 s[8:9], s36, v2
	s_and_b64 s[12:13], s[8:9], vcc
	v_mov_b32_e32 v1, 0x47
	s_and_saveexec_b64 s[8:9], s[12:13]
	s_cbranch_execz .LBB30_174
; %bb.173:                              ;   in Loop: Header=BB30_12 Depth=1
	v_accvgpr_read_b32 v8, a75
	ds_read2st64_b32 v[4:5], v8 offset1:1
	v_accvgpr_read_b32 v1, a58
	ds_read2st64_b32 v[6:7], v1 offset0:2 offset1:35
	ds_read2st64_b32 v[8:9], v8 offset0:33 offset1:34
	v_mad_u64_u32 v[2:3], s[12:13], v2, s37, v[74:75]
	s_waitcnt lgkmcnt(2)
	v_cvt_f32_f16_sdwa v57, v4 dst_sel:DWORD dst_unused:UNUSED_PAD src0_sel:WORD_1
	v_cvt_f32_f16_e32 v56, v4
	v_cvt_f32_f16_sdwa v61, v5 dst_sel:DWORD dst_unused:UNUSED_PAD src0_sel:WORD_1
	v_cvt_f32_f16_e32 v60, v5
	s_waitcnt lgkmcnt(0)
	v_cvt_f32_f16_sdwa v59, v8 dst_sel:DWORD dst_unused:UNUSED_PAD src0_sel:WORD_1
	v_cvt_f32_f16_e32 v58, v8
	v_cvt_f32_f16_sdwa v63, v9 dst_sel:DWORD dst_unused:UNUSED_PAD src0_sel:WORD_1
	v_cvt_f32_f16_e32 v62, v9
	v_lshl_add_u32 v2, v2, 7, v12
	v_ashrrev_i32_e32 v3, 31, v2
	v_pk_fma_f32 v[56:57], v[6:7], v[56:57], 0 op_sel_hi:[0,1,0]
	v_mov_b32_e32 v4, v7
	v_pk_fma_f32 v[6:7], v[6:7], v[60:61], 0 op_sel_hi:[0,1,0]
	v_lshl_add_u64 v[2:3], v[2:3], 3, v[112:113]
	v_pk_fma_f32 v[8:9], v[4:5], v[58:59], v[56:57] op_sel_hi:[0,1,1]
	v_pk_fma_f32 v[4:5], v[4:5], v[62:63], v[6:7] op_sel_hi:[0,1,1]
	v_mov_b32_e32 v1, 0
	global_store_dwordx2 v[2:3], v[8:9], off
	global_store_dwordx2 v[2:3], v[4:5], off offset:512
.LBB30_174:                             ;   in Loop: Header=BB30_12 Depth=1
	s_or_b64 exec, exec, s[8:9]
	v_cmp_gt_i32_e64 s[8:9], s95, v1
	s_mov_b64 s[12:13], -1
	s_and_saveexec_b64 s[72:73], s[8:9]
; %bb.175:                              ;   in Loop: Header=BB30_12 Depth=1
	v_cmp_eq_u32_e64 s[8:9], 0, v1
	s_orn2_b64 s[12:13], s[8:9], exec
; %bb.176:                              ;   in Loop: Header=BB30_12 Depth=1
	s_or_b64 exec, exec, s[72:73]
	s_and_b64 exec, exec, s[12:13]
	s_cbranch_execz .LBB30_209
; %bb.177:                              ;   in Loop: Header=BB30_12 Depth=1
	v_accvgpr_read_b32 v1, a89
	v_accvgpr_read_b32 v4, a90
	v_add_u32_e32 v2, v1, v77
	v_or_b32_e32 v1, v4, v15
	v_cmp_gt_i32_e64 s[8:9], s36, v2
	v_cmp_gt_i32_e64 s[12:13], s74, v1
	s_and_b64 s[12:13], s[8:9], s[12:13]
	v_mov_b32_e32 v1, 0x47
	s_and_saveexec_b64 s[8:9], s[12:13]
	s_cbranch_execz .LBB30_179
; %bb.178:                              ;   in Loop: Header=BB30_12 Depth=1
	v_accvgpr_read_b32 v8, a76
	ds_read2st64_b32 v[4:5], v8 offset1:1
	v_accvgpr_read_b32 v6, a90
	v_accvgpr_read_b32 v1, a59
	v_mad_u64_u32 v[2:3], s[12:13], v2, s37, v[6:7]
	ds_read2st64_b32 v[6:7], v1 offset0:2 offset1:35
	ds_read2st64_b32 v[8:9], v8 offset0:33 offset1:34
	s_waitcnt lgkmcnt(2)
	v_cvt_f32_f16_sdwa v57, v4 dst_sel:DWORD dst_unused:UNUSED_PAD src0_sel:WORD_1
	v_cvt_f32_f16_e32 v56, v4
	v_cvt_f32_f16_sdwa v61, v5 dst_sel:DWORD dst_unused:UNUSED_PAD src0_sel:WORD_1
	v_cvt_f32_f16_e32 v60, v5
	s_waitcnt lgkmcnt(0)
	v_cvt_f32_f16_sdwa v59, v8 dst_sel:DWORD dst_unused:UNUSED_PAD src0_sel:WORD_1
	v_cvt_f32_f16_e32 v58, v8
	v_cvt_f32_f16_sdwa v63, v9 dst_sel:DWORD dst_unused:UNUSED_PAD src0_sel:WORD_1
	v_cvt_f32_f16_e32 v62, v9
	v_lshl_add_u32 v2, v2, 7, v12
	v_ashrrev_i32_e32 v3, 31, v2
	v_pk_fma_f32 v[56:57], v[6:7], v[56:57], 0 op_sel_hi:[0,1,0]
	v_mov_b32_e32 v4, v7
	v_pk_fma_f32 v[6:7], v[6:7], v[60:61], 0 op_sel_hi:[0,1,0]
	v_lshl_add_u64 v[2:3], v[2:3], 3, v[112:113]
	v_pk_fma_f32 v[8:9], v[4:5], v[58:59], v[56:57] op_sel_hi:[0,1,1]
	v_pk_fma_f32 v[4:5], v[4:5], v[62:63], v[6:7] op_sel_hi:[0,1,1]
	v_mov_b32_e32 v1, 0
	global_store_dwordx2 v[2:3], v[8:9], off
	global_store_dwordx2 v[2:3], v[4:5], off offset:512
.LBB30_179:                             ;   in Loop: Header=BB30_12 Depth=1
	s_or_b64 exec, exec, s[8:9]
	v_cmp_gt_i32_e64 s[8:9], s95, v1
	s_mov_b64 s[12:13], -1
	s_and_saveexec_b64 s[72:73], s[8:9]
; %bb.180:                              ;   in Loop: Header=BB30_12 Depth=1
	v_cmp_eq_u32_e64 s[8:9], 0, v1
	s_orn2_b64 s[12:13], s[8:9], exec
; %bb.181:                              ;   in Loop: Header=BB30_12 Depth=1
	s_or_b64 exec, exec, s[72:73]
	s_and_b64 exec, exec, s[12:13]
	s_cbranch_execz .LBB30_209
; %bb.182:                              ;   in Loop: Header=BB30_12 Depth=1
	v_accvgpr_read_b32 v1, a60
	v_add_u32_e32 v2, v1, v77
	v_cmp_gt_i32_e64 s[8:9], s36, v2
	s_and_b64 s[12:13], s[8:9], vcc
	v_mov_b32_e32 v1, 0x47
	s_and_saveexec_b64 s[8:9], s[12:13]
	s_cbranch_execz .LBB30_184
; %bb.183:                              ;   in Loop: Header=BB30_12 Depth=1
	v_accvgpr_read_b32 v8, a77
	ds_read2st64_b32 v[4:5], v8 offset1:1
	v_accvgpr_read_b32 v1, a61
	ds_read2st64_b32 v[6:7], v1 offset0:2 offset1:35
	ds_read2st64_b32 v[8:9], v8 offset0:33 offset1:34
	v_mad_u64_u32 v[2:3], s[12:13], v2, s37, v[74:75]
	s_waitcnt lgkmcnt(2)
	v_cvt_f32_f16_sdwa v57, v4 dst_sel:DWORD dst_unused:UNUSED_PAD src0_sel:WORD_1
	v_cvt_f32_f16_e32 v56, v4
	v_cvt_f32_f16_sdwa v61, v5 dst_sel:DWORD dst_unused:UNUSED_PAD src0_sel:WORD_1
	v_cvt_f32_f16_e32 v60, v5
	s_waitcnt lgkmcnt(0)
	v_cvt_f32_f16_sdwa v59, v8 dst_sel:DWORD dst_unused:UNUSED_PAD src0_sel:WORD_1
	v_cvt_f32_f16_e32 v58, v8
	v_cvt_f32_f16_sdwa v63, v9 dst_sel:DWORD dst_unused:UNUSED_PAD src0_sel:WORD_1
	v_cvt_f32_f16_e32 v62, v9
	v_lshl_add_u32 v2, v2, 7, v12
	v_ashrrev_i32_e32 v3, 31, v2
	v_pk_fma_f32 v[56:57], v[6:7], v[56:57], 0 op_sel_hi:[0,1,0]
	v_mov_b32_e32 v4, v7
	v_pk_fma_f32 v[6:7], v[6:7], v[60:61], 0 op_sel_hi:[0,1,0]
	v_lshl_add_u64 v[2:3], v[2:3], 3, v[112:113]
	v_pk_fma_f32 v[8:9], v[4:5], v[58:59], v[56:57] op_sel_hi:[0,1,1]
	v_pk_fma_f32 v[4:5], v[4:5], v[62:63], v[6:7] op_sel_hi:[0,1,1]
	v_mov_b32_e32 v1, 0
	global_store_dwordx2 v[2:3], v[8:9], off
	global_store_dwordx2 v[2:3], v[4:5], off offset:512
.LBB30_184:                             ;   in Loop: Header=BB30_12 Depth=1
	s_or_b64 exec, exec, s[8:9]
	v_cmp_gt_i32_e64 s[8:9], s95, v1
	s_mov_b64 s[12:13], -1
	s_and_saveexec_b64 s[72:73], s[8:9]
; %bb.185:                              ;   in Loop: Header=BB30_12 Depth=1
	v_cmp_eq_u32_e64 s[8:9], 0, v1
	s_orn2_b64 s[12:13], s[8:9], exec
; %bb.186:                              ;   in Loop: Header=BB30_12 Depth=1
	s_or_b64 exec, exec, s[72:73]
	s_and_b64 exec, exec, s[12:13]
	s_cbranch_execz .LBB30_209
; %bb.187:                              ;   in Loop: Header=BB30_12 Depth=1
	v_accvgpr_read_b32 v1, a91
	v_accvgpr_read_b32 v4, a92
	v_add_u32_e32 v2, v1, v77
	v_or_b32_e32 v1, v4, v15
	v_cmp_gt_i32_e64 s[8:9], s36, v2
	v_cmp_gt_i32_e64 s[12:13], s74, v1
	s_and_b64 s[12:13], s[8:9], s[12:13]
	v_mov_b32_e32 v1, 0x47
	s_and_saveexec_b64 s[8:9], s[12:13]
	s_cbranch_execz .LBB30_189
; %bb.188:                              ;   in Loop: Header=BB30_12 Depth=1
	v_accvgpr_read_b32 v8, a78
	ds_read2st64_b32 v[4:5], v8 offset1:1
	v_accvgpr_read_b32 v6, a92
	v_accvgpr_read_b32 v1, a62
	v_mad_u64_u32 v[2:3], s[12:13], v2, s37, v[6:7]
	ds_read2st64_b32 v[6:7], v1 offset0:2 offset1:35
	ds_read2st64_b32 v[8:9], v8 offset0:33 offset1:34
	s_waitcnt lgkmcnt(2)
	v_cvt_f32_f16_sdwa v57, v4 dst_sel:DWORD dst_unused:UNUSED_PAD src0_sel:WORD_1
	v_cvt_f32_f16_e32 v56, v4
	v_cvt_f32_f16_sdwa v61, v5 dst_sel:DWORD dst_unused:UNUSED_PAD src0_sel:WORD_1
	v_cvt_f32_f16_e32 v60, v5
	s_waitcnt lgkmcnt(0)
	v_cvt_f32_f16_sdwa v59, v8 dst_sel:DWORD dst_unused:UNUSED_PAD src0_sel:WORD_1
	v_cvt_f32_f16_e32 v58, v8
	v_cvt_f32_f16_sdwa v63, v9 dst_sel:DWORD dst_unused:UNUSED_PAD src0_sel:WORD_1
	v_cvt_f32_f16_e32 v62, v9
	v_lshl_add_u32 v2, v2, 7, v12
	v_ashrrev_i32_e32 v3, 31, v2
	v_pk_fma_f32 v[56:57], v[6:7], v[56:57], 0 op_sel_hi:[0,1,0]
	v_mov_b32_e32 v4, v7
	v_pk_fma_f32 v[6:7], v[6:7], v[60:61], 0 op_sel_hi:[0,1,0]
	v_lshl_add_u64 v[2:3], v[2:3], 3, v[112:113]
	v_pk_fma_f32 v[8:9], v[4:5], v[58:59], v[56:57] op_sel_hi:[0,1,1]
	v_pk_fma_f32 v[4:5], v[4:5], v[62:63], v[6:7] op_sel_hi:[0,1,1]
	v_mov_b32_e32 v1, 0
	global_store_dwordx2 v[2:3], v[8:9], off
	global_store_dwordx2 v[2:3], v[4:5], off offset:512
.LBB30_189:                             ;   in Loop: Header=BB30_12 Depth=1
	s_or_b64 exec, exec, s[8:9]
	v_cmp_gt_i32_e64 s[8:9], s95, v1
	s_mov_b64 s[12:13], -1
	s_and_saveexec_b64 s[72:73], s[8:9]
; %bb.190:                              ;   in Loop: Header=BB30_12 Depth=1
	v_cmp_eq_u32_e64 s[8:9], 0, v1
	s_orn2_b64 s[12:13], s[8:9], exec
; %bb.191:                              ;   in Loop: Header=BB30_12 Depth=1
	s_or_b64 exec, exec, s[72:73]
	s_and_b64 exec, exec, s[12:13]
	s_cbranch_execz .LBB30_209
; %bb.192:                              ;   in Loop: Header=BB30_12 Depth=1
	v_accvgpr_read_b32 v1, a63
	v_add_u32_e32 v2, v1, v77
	v_cmp_gt_i32_e64 s[8:9], s36, v2
	s_and_b64 s[12:13], s[8:9], vcc
	v_mov_b32_e32 v1, 0x47
	s_and_saveexec_b64 s[8:9], s[12:13]
	s_cbranch_execz .LBB30_194
; %bb.193:                              ;   in Loop: Header=BB30_12 Depth=1
	v_accvgpr_read_b32 v8, a79
	ds_read2st64_b32 v[4:5], v8 offset1:1
	v_accvgpr_read_b32 v1, a64
	ds_read2st64_b32 v[6:7], v1 offset0:2 offset1:35
	ds_read2st64_b32 v[8:9], v8 offset0:33 offset1:34
	v_mad_u64_u32 v[2:3], s[12:13], v2, s37, v[74:75]
	s_waitcnt lgkmcnt(2)
	v_cvt_f32_f16_sdwa v57, v4 dst_sel:DWORD dst_unused:UNUSED_PAD src0_sel:WORD_1
	v_cvt_f32_f16_e32 v56, v4
	v_cvt_f32_f16_sdwa v61, v5 dst_sel:DWORD dst_unused:UNUSED_PAD src0_sel:WORD_1
	v_cvt_f32_f16_e32 v60, v5
	s_waitcnt lgkmcnt(0)
	v_cvt_f32_f16_sdwa v59, v8 dst_sel:DWORD dst_unused:UNUSED_PAD src0_sel:WORD_1
	v_cvt_f32_f16_e32 v58, v8
	v_cvt_f32_f16_sdwa v63, v9 dst_sel:DWORD dst_unused:UNUSED_PAD src0_sel:WORD_1
	v_cvt_f32_f16_e32 v62, v9
	v_lshl_add_u32 v2, v2, 7, v12
	v_ashrrev_i32_e32 v3, 31, v2
	v_pk_fma_f32 v[56:57], v[6:7], v[56:57], 0 op_sel_hi:[0,1,0]
	v_mov_b32_e32 v4, v7
	v_pk_fma_f32 v[6:7], v[6:7], v[60:61], 0 op_sel_hi:[0,1,0]
	v_lshl_add_u64 v[2:3], v[2:3], 3, v[112:113]
	v_pk_fma_f32 v[8:9], v[4:5], v[58:59], v[56:57] op_sel_hi:[0,1,1]
	v_pk_fma_f32 v[4:5], v[4:5], v[62:63], v[6:7] op_sel_hi:[0,1,1]
	v_mov_b32_e32 v1, 0
	global_store_dwordx2 v[2:3], v[8:9], off
	global_store_dwordx2 v[2:3], v[4:5], off offset:512
.LBB30_194:                             ;   in Loop: Header=BB30_12 Depth=1
	s_or_b64 exec, exec, s[8:9]
	v_cmp_gt_i32_e64 s[8:9], s95, v1
	s_mov_b64 s[12:13], -1
	s_and_saveexec_b64 s[72:73], s[8:9]
; %bb.195:                              ;   in Loop: Header=BB30_12 Depth=1
	v_cmp_eq_u32_e64 s[8:9], 0, v1
	s_orn2_b64 s[12:13], s[8:9], exec
; %bb.196:                              ;   in Loop: Header=BB30_12 Depth=1
	s_or_b64 exec, exec, s[72:73]
	s_and_b64 exec, exec, s[12:13]
	s_cbranch_execz .LBB30_209
; %bb.197:                              ;   in Loop: Header=BB30_12 Depth=1
	v_accvgpr_read_b32 v1, a93
	v_accvgpr_read_b32 v4, a94
	v_add_u32_e32 v2, v1, v77
	v_or_b32_e32 v1, v4, v15
	v_cmp_gt_i32_e64 s[8:9], s36, v2
	v_cmp_gt_i32_e64 s[12:13], s74, v1
	s_and_b64 s[12:13], s[8:9], s[12:13]
	v_mov_b32_e32 v1, 0x47
	s_and_saveexec_b64 s[8:9], s[12:13]
	s_cbranch_execz .LBB30_199
; %bb.198:                              ;   in Loop: Header=BB30_12 Depth=1
	v_accvgpr_read_b32 v8, a80
	ds_read2st64_b32 v[4:5], v8 offset1:1
	v_accvgpr_read_b32 v6, a94
	v_accvgpr_read_b32 v1, a65
	v_mad_u64_u32 v[2:3], s[12:13], v2, s37, v[6:7]
	ds_read2st64_b32 v[6:7], v1 offset0:2 offset1:35
	ds_read2st64_b32 v[8:9], v8 offset0:33 offset1:34
	s_waitcnt lgkmcnt(2)
	v_cvt_f32_f16_sdwa v57, v4 dst_sel:DWORD dst_unused:UNUSED_PAD src0_sel:WORD_1
	v_cvt_f32_f16_e32 v56, v4
	v_cvt_f32_f16_sdwa v61, v5 dst_sel:DWORD dst_unused:UNUSED_PAD src0_sel:WORD_1
	v_cvt_f32_f16_e32 v60, v5
	s_waitcnt lgkmcnt(0)
	v_cvt_f32_f16_sdwa v59, v8 dst_sel:DWORD dst_unused:UNUSED_PAD src0_sel:WORD_1
	v_cvt_f32_f16_e32 v58, v8
	v_cvt_f32_f16_sdwa v63, v9 dst_sel:DWORD dst_unused:UNUSED_PAD src0_sel:WORD_1
	v_cvt_f32_f16_e32 v62, v9
	v_lshl_add_u32 v2, v2, 7, v12
	v_ashrrev_i32_e32 v3, 31, v2
	v_pk_fma_f32 v[56:57], v[6:7], v[56:57], 0 op_sel_hi:[0,1,0]
	v_mov_b32_e32 v4, v7
	v_pk_fma_f32 v[6:7], v[6:7], v[60:61], 0 op_sel_hi:[0,1,0]
	v_lshl_add_u64 v[2:3], v[2:3], 3, v[112:113]
	v_pk_fma_f32 v[8:9], v[4:5], v[58:59], v[56:57] op_sel_hi:[0,1,1]
	v_pk_fma_f32 v[4:5], v[4:5], v[62:63], v[6:7] op_sel_hi:[0,1,1]
	v_mov_b32_e32 v1, 0
	global_store_dwordx2 v[2:3], v[8:9], off
	global_store_dwordx2 v[2:3], v[4:5], off offset:512
.LBB30_199:                             ;   in Loop: Header=BB30_12 Depth=1
	s_or_b64 exec, exec, s[8:9]
	v_cmp_gt_i32_e64 s[8:9], s95, v1
	s_mov_b64 s[12:13], -1
	s_and_saveexec_b64 s[72:73], s[8:9]
; %bb.200:                              ;   in Loop: Header=BB30_12 Depth=1
	v_cmp_eq_u32_e64 s[8:9], 0, v1
	s_orn2_b64 s[12:13], s[8:9], exec
; %bb.201:                              ;   in Loop: Header=BB30_12 Depth=1
	s_or_b64 exec, exec, s[72:73]
	s_and_b64 exec, exec, s[12:13]
	s_cbranch_execz .LBB30_209
; %bb.202:                              ;   in Loop: Header=BB30_12 Depth=1
	v_accvgpr_read_b32 v1, a66
	v_add_u32_e32 v2, v1, v77
	v_cmp_gt_i32_e64 s[8:9], s36, v2
	s_and_b64 s[12:13], s[8:9], vcc
	v_mov_b32_e32 v1, 0x47
	s_and_saveexec_b64 s[8:9], s[12:13]
	s_cbranch_execz .LBB30_204
; %bb.203:                              ;   in Loop: Header=BB30_12 Depth=1
	v_accvgpr_read_b32 v8, a81
	ds_read2st64_b32 v[4:5], v8 offset1:1
	v_accvgpr_read_b32 v1, a67
	ds_read2st64_b32 v[6:7], v1 offset0:2 offset1:35
	ds_read2st64_b32 v[8:9], v8 offset0:33 offset1:34
	v_mad_u64_u32 v[2:3], s[12:13], v2, s37, v[74:75]
	s_waitcnt lgkmcnt(2)
	v_cvt_f32_f16_sdwa v57, v4 dst_sel:DWORD dst_unused:UNUSED_PAD src0_sel:WORD_1
	v_cvt_f32_f16_e32 v56, v4
	v_cvt_f32_f16_sdwa v61, v5 dst_sel:DWORD dst_unused:UNUSED_PAD src0_sel:WORD_1
	v_cvt_f32_f16_e32 v60, v5
	s_waitcnt lgkmcnt(0)
	v_cvt_f32_f16_sdwa v59, v8 dst_sel:DWORD dst_unused:UNUSED_PAD src0_sel:WORD_1
	v_cvt_f32_f16_e32 v58, v8
	v_cvt_f32_f16_sdwa v63, v9 dst_sel:DWORD dst_unused:UNUSED_PAD src0_sel:WORD_1
	v_cvt_f32_f16_e32 v62, v9
	v_lshl_add_u32 v2, v2, 7, v12
	v_ashrrev_i32_e32 v3, 31, v2
	v_pk_fma_f32 v[56:57], v[6:7], v[56:57], 0 op_sel_hi:[0,1,0]
	v_mov_b32_e32 v4, v7
	v_pk_fma_f32 v[6:7], v[6:7], v[60:61], 0 op_sel_hi:[0,1,0]
	v_lshl_add_u64 v[2:3], v[2:3], 3, v[112:113]
	v_pk_fma_f32 v[8:9], v[4:5], v[58:59], v[56:57] op_sel_hi:[0,1,1]
	v_pk_fma_f32 v[4:5], v[4:5], v[62:63], v[6:7] op_sel_hi:[0,1,1]
	v_mov_b32_e32 v1, 0
	global_store_dwordx2 v[2:3], v[8:9], off
	global_store_dwordx2 v[2:3], v[4:5], off offset:512
.LBB30_204:                             ;   in Loop: Header=BB30_12 Depth=1
	s_or_b64 exec, exec, s[8:9]
	v_cmp_gt_i32_e32 vcc, s95, v1
	s_mov_b64 s[8:9], -1
	s_and_saveexec_b64 s[12:13], vcc
; %bb.205:                              ;   in Loop: Header=BB30_12 Depth=1
	v_cmp_eq_u32_e32 vcc, 0, v1
	s_orn2_b64 s[8:9], vcc, exec
; %bb.206:                              ;   in Loop: Header=BB30_12 Depth=1
	s_or_b64 exec, exec, s[12:13]
	s_and_b64 exec, exec, s[8:9]
	s_cbranch_execz .LBB30_209
; %bb.207:                              ;   in Loop: Header=BB30_12 Depth=1
	v_accvgpr_read_b32 v1, a95
	v_accvgpr_read_b32 v2, a96
	v_add_u32_e32 v1, v1, v77
	v_or_b32_e32 v2, v2, v15
	v_cmp_gt_i32_e32 vcc, s36, v1
	v_cmp_gt_i32_e64 s[8:9], s74, v2
	s_and_b64 s[8:9], vcc, s[8:9]
	s_and_b64 exec, exec, s[8:9]
	s_cbranch_execz .LBB30_209
; %bb.208:                              ;   in Loop: Header=BB30_12 Depth=1
	v_accvgpr_read_b32 v8, a82
	v_accvgpr_read_b32 v4, a96
	ds_read2st64_b32 v[2:3], v8 offset1:1
	v_mad_u64_u32 v[4:5], s[8:9], v1, s37, v[4:5]
	v_accvgpr_read_b32 v1, a68
	ds_read2st64_b32 v[6:7], v1 offset0:2 offset1:35
	ds_read2st64_b32 v[8:9], v8 offset0:33 offset1:34
	s_waitcnt lgkmcnt(2)
	v_cvt_f32_f16_sdwa v57, v2 dst_sel:DWORD dst_unused:UNUSED_PAD src0_sel:WORD_1
	v_cvt_f32_f16_e32 v56, v2
	v_cvt_f32_f16_sdwa v61, v3 dst_sel:DWORD dst_unused:UNUSED_PAD src0_sel:WORD_1
	v_cvt_f32_f16_e32 v60, v3
	s_waitcnt lgkmcnt(0)
	v_cvt_f32_f16_sdwa v59, v8 dst_sel:DWORD dst_unused:UNUSED_PAD src0_sel:WORD_1
	v_cvt_f32_f16_e32 v58, v8
	v_cvt_f32_f16_sdwa v63, v9 dst_sel:DWORD dst_unused:UNUSED_PAD src0_sel:WORD_1
	v_cvt_f32_f16_e32 v62, v9
	v_lshl_add_u32 v4, v4, 7, v12
	v_ashrrev_i32_e32 v5, 31, v4
	v_pk_fma_f32 v[56:57], v[6:7], v[56:57], 0 op_sel_hi:[0,1,0]
	v_mov_b32_e32 v2, v7
	v_pk_fma_f32 v[6:7], v[6:7], v[60:61], 0 op_sel_hi:[0,1,0]
	v_lshl_add_u64 v[4:5], v[4:5], 3, v[112:113]
	v_pk_fma_f32 v[8:9], v[2:3], v[58:59], v[56:57] op_sel_hi:[0,1,1]
	v_pk_fma_f32 v[2:3], v[2:3], v[62:63], v[6:7] op_sel_hi:[0,1,1]
	global_store_dwordx2 v[4:5], v[8:9], off
	global_store_dwordx2 v[4:5], v[2:3], off offset:512
.LBB30_209:                             ;   in Loop: Header=BB30_12 Depth=1
	s_or_b64 exec, exec, s[70:71]
	s_barrier
	s_branch .LBB30_11
.LBB30_210:                             ;   in Loop: Header=BB30_12 Depth=1
	v_cmp_le_i32_e64 s[8:9], s36, v139
	v_cmp_le_i32_e64 s[12:13], s74, v140
	v_cmp_gt_i32_e32 vcc, s74, v140
	s_or_b64 s[8:9], s[8:9], s[12:13]
	s_and_saveexec_b64 s[12:13], s[8:9]
	s_xor_b64 s[8:9], exec, s[12:13]
; %bb.211:                              ;   in Loop: Header=BB30_12 Depth=1
	v_add_u32_e32 v1, v194, v220
	ds_write2st64_b32 v1, v17, v17 offset1:1
                                        ; implicit-def: $vgpr139
; %bb.212:                              ;   in Loop: Header=BB30_12 Depth=1
	s_andn2_saveexec_b64 s[8:9], s[8:9]
	s_cbranch_execz .LBB30_214
; %bb.213:                              ;   in Loop: Header=BB30_12 Depth=1
	v_mad_u64_u32 v[2:3], s[12:13], v139, s55, v[76:77]
	v_ashrrev_i32_e32 v3, 31, v2
	v_lshl_add_u64 v[2:3], v[2:3], 3, v[132:133]
	global_load_dwordx2 v[4:5], v[2:3], off
	s_nop 0
	global_load_dwordx2 v[2:3], v[2:3], off offset:512
	s_waitcnt vmcnt(1)
	v_cvt_pk_f16_f32 v1, v4, v5
	s_waitcnt vmcnt(0)
	v_cvt_pk_f16_f32 v2, v2, v3
	v_pk_mul_f16 v1, v1, v212
	v_pk_mul_f16 v2, v2, v212
	ds_write2st64_b32 v221, v1, v2 offset1:1
.LBB30_214:                             ;   in Loop: Header=BB30_12 Depth=1
	s_or_b64 exec, exec, s[8:9]
	v_add_u32_e32 v1, v222, v77
	v_cmp_le_i32_e64 s[8:9], s36, v1
	s_xor_b64 s[12:13], vcc, -1
	s_or_b64 s[8:9], s[8:9], s[12:13]
	s_and_saveexec_b64 s[70:71], s[8:9]
	s_xor_b64 s[8:9], exec, s[70:71]
; %bb.215:                              ;   in Loop: Header=BB30_12 Depth=1
	v_add_u32_e32 v1, v194, v220
	v_add_u32_e32 v1, 64, v1
	ds_write2st64_b32 v1, v17, v17 offset0:8 offset1:9
                                        ; implicit-def: $vgpr1
; %bb.216:                              ;   in Loop: Header=BB30_12 Depth=1
	s_andn2_saveexec_b64 s[8:9], s[8:9]
	s_cbranch_execz .LBB30_218
; %bb.217:                              ;   in Loop: Header=BB30_12 Depth=1
	v_mad_u64_u32 v[2:3], s[70:71], v1, s55, v[76:77]
	v_ashrrev_i32_e32 v3, 31, v2
	v_lshl_add_u64 v[2:3], v[2:3], 3, v[132:133]
	global_load_dwordx2 v[4:5], v[2:3], off
	s_nop 0
	global_load_dwordx2 v[2:3], v[2:3], off offset:512
	s_waitcnt vmcnt(1)
	v_cvt_pk_f16_f32 v1, v4, v5
	s_waitcnt vmcnt(0)
	v_cvt_pk_f16_f32 v2, v2, v3
	v_pk_mul_f16 v1, v1, v212
	v_pk_mul_f16 v2, v2, v212
	ds_write2st64_b32 v223, v1, v2 offset1:1
.LBB30_218:                             ;   in Loop: Header=BB30_12 Depth=1
	s_or_b64 exec, exec, s[8:9]
	v_add_u32_e32 v1, v224, v77
	v_cmp_le_i32_e32 vcc, s36, v1
	s_or_b64 s[8:9], vcc, s[12:13]
	s_and_saveexec_b64 s[70:71], s[8:9]
	s_xor_b64 s[8:9], exec, s[70:71]
; %bb.219:                              ;   in Loop: Header=BB30_12 Depth=1
	v_add_u32_e32 v1, v194, v220
	v_add_u32_e32 v1, 0x80, v1
	ds_write2st64_b32 v1, v17, v17 offset0:16 offset1:17
                                        ; implicit-def: $vgpr1
; %bb.220:                              ;   in Loop: Header=BB30_12 Depth=1
	s_andn2_saveexec_b64 s[8:9], s[8:9]
	s_cbranch_execz .LBB30_222
; %bb.221:                              ;   in Loop: Header=BB30_12 Depth=1
	v_mad_u64_u32 v[2:3], s[70:71], v1, s55, v[76:77]
	v_ashrrev_i32_e32 v3, 31, v2
	v_lshl_add_u64 v[2:3], v[2:3], 3, v[132:133]
	global_load_dwordx2 v[4:5], v[2:3], off
	s_nop 0
	global_load_dwordx2 v[2:3], v[2:3], off offset:512
	s_waitcnt vmcnt(1)
	v_cvt_pk_f16_f32 v1, v4, v5
	s_waitcnt vmcnt(0)
	v_cvt_pk_f16_f32 v2, v2, v3
	v_pk_mul_f16 v1, v1, v212
	v_pk_mul_f16 v2, v2, v212
	ds_write2st64_b32 v225, v1, v2 offset1:1
.LBB30_222:                             ;   in Loop: Header=BB30_12 Depth=1
	s_or_b64 exec, exec, s[8:9]
	v_add_u32_e32 v1, v226, v77
	v_cmp_le_i32_e32 vcc, s36, v1
	s_or_b64 s[8:9], vcc, s[12:13]
	;; [unrolled: 29-line block ×3, first 2 shown]
	s_and_saveexec_b64 s[70:71], s[8:9]
	s_xor_b64 s[8:9], exec, s[70:71]
; %bb.227:                              ;   in Loop: Header=BB30_12 Depth=1
	v_add_u32_e32 v1, v194, v220
	ds_write2st64_b32 v1, v17, v17 offset0:33 offset1:34
                                        ; implicit-def: $vgpr1
; %bb.228:                              ;   in Loop: Header=BB30_12 Depth=1
	s_andn2_saveexec_b64 s[8:9], s[8:9]
	s_cbranch_execz .LBB30_230
; %bb.229:                              ;   in Loop: Header=BB30_12 Depth=1
	v_mad_u64_u32 v[2:3], s[70:71], v1, s55, v[76:77]
	v_ashrrev_i32_e32 v3, 31, v2
	v_lshl_add_u64 v[2:3], v[2:3], 3, v[132:133]
	global_load_dwordx2 v[4:5], v[2:3], off
	s_nop 0
	global_load_dwordx2 v[2:3], v[2:3], off offset:512
	s_waitcnt vmcnt(1)
	v_cvt_pk_f16_f32 v1, v4, v5
	s_waitcnt vmcnt(0)
	v_cvt_pk_f16_f32 v2, v2, v3
	v_pk_mul_f16 v1, v1, v212
	v_pk_mul_f16 v2, v2, v212
	ds_write2st64_b32 v229, v1, v2 offset1:1
.LBB30_230:                             ;   in Loop: Header=BB30_12 Depth=1
	s_or_b64 exec, exec, s[8:9]
	v_add_u32_e32 v1, v230, v77
	v_cmp_le_i32_e32 vcc, s36, v1
	s_or_b64 s[8:9], vcc, s[12:13]
	s_and_saveexec_b64 s[70:71], s[8:9]
	s_xor_b64 s[8:9], exec, s[70:71]
; %bb.231:                              ;   in Loop: Header=BB30_12 Depth=1
	v_add_u32_e32 v1, v194, v220
	v_add_u32_e32 v1, 64, v1
	ds_write2st64_b32 v1, v17, v17 offset0:41 offset1:42
                                        ; implicit-def: $vgpr1
; %bb.232:                              ;   in Loop: Header=BB30_12 Depth=1
	s_andn2_saveexec_b64 s[8:9], s[8:9]
	s_cbranch_execz .LBB30_234
; %bb.233:                              ;   in Loop: Header=BB30_12 Depth=1
	v_mad_u64_u32 v[2:3], s[70:71], v1, s55, v[76:77]
	v_ashrrev_i32_e32 v3, 31, v2
	v_lshl_add_u64 v[2:3], v[2:3], 3, v[132:133]
	global_load_dwordx2 v[4:5], v[2:3], off
	s_nop 0
	global_load_dwordx2 v[2:3], v[2:3], off offset:512
	s_waitcnt vmcnt(1)
	v_cvt_pk_f16_f32 v1, v4, v5
	s_waitcnt vmcnt(0)
	v_cvt_pk_f16_f32 v2, v2, v3
	v_pk_mul_f16 v1, v1, v212
	v_pk_mul_f16 v2, v2, v212
	ds_write2st64_b32 v231, v1, v2 offset1:1
.LBB30_234:                             ;   in Loop: Header=BB30_12 Depth=1
	s_or_b64 exec, exec, s[8:9]
	v_add_u32_e32 v1, v232, v77
	v_cmp_le_i32_e32 vcc, s36, v1
	s_or_b64 s[8:9], vcc, s[12:13]
	s_and_saveexec_b64 s[70:71], s[8:9]
	s_xor_b64 s[8:9], exec, s[70:71]
; %bb.235:                              ;   in Loop: Header=BB30_12 Depth=1
	v_add_u32_e32 v1, v194, v220
	;; [unrolled: 29-line block ×3, first 2 shown]
	v_add_u32_e32 v1, 0xc0, v1
	ds_write2st64_b32 v1, v17, v17 offset0:57 offset1:58
                                        ; implicit-def: $vgpr1
                                        ; implicit-def: $vgpr132_vgpr133
; %bb.240:                              ;   in Loop: Header=BB30_12 Depth=1
	s_andn2_saveexec_b64 s[8:9], s[8:9]
	s_cbranch_execz .LBB30_242
; %bb.241:                              ;   in Loop: Header=BB30_12 Depth=1
	v_mad_u64_u32 v[2:3], s[12:13], v1, s55, v[76:77]
	v_ashrrev_i32_e32 v3, 31, v2
	v_lshl_add_u64 v[2:3], v[2:3], 3, v[132:133]
	global_load_dwordx2 v[4:5], v[2:3], off
	s_nop 0
	global_load_dwordx2 v[2:3], v[2:3], off offset:512
	s_waitcnt vmcnt(1)
	v_cvt_pk_f16_f32 v1, v4, v5
	s_waitcnt vmcnt(0)
	v_cvt_pk_f16_f32 v2, v2, v3
	v_pk_mul_f16 v1, v1, v212
	v_pk_mul_f16 v2, v2, v212
	ds_write2st64_b32 v235, v1, v2 offset1:1
.LBB30_242:                             ;   in Loop: Header=BB30_12 Depth=1
	s_or_b64 exec, exec, s[8:9]
	s_waitcnt lgkmcnt(0)
	s_barrier
	ds_read2_b64 a[36:39], v71 offset1:4
	ds_read2_b64 a[32:35], v71 offset0:8 offset1:12
	ds_read2_b64 a[28:31], v71 offset0:16 offset1:20
	;; [unrolled: 1-line block ×7, first 2 shown]
	v_cmp_lt_i32_e32 vcc, 1, v138
	s_mov_b64 s[8:9], -1
	s_waitcnt lgkmcnt(0)
	s_barrier
	s_cbranch_vccnz .LBB30_244
; %bb.243:                              ;   in Loop: Header=BB30_12 Depth=1
	s_mov_b64 s[8:9], 0
.LBB30_244:                             ;   in Loop: Header=BB30_12 Depth=1
	v_add_u32_e32 v1, v77, v75
	v_mul_hi_u32 v2, s44, v1
	v_add_u32_e32 v2, v1, v2
	v_lshrrev_b32_e32 v2, s45, v2
	v_mul_lo_u32 v2, v2, s36
	s_andn2_b64 vcc, exec, s[8:9]
	v_sub_u32_e32 v248, v1, v2
	s_cbranch_vccnz .LBB30_280
; %bb.245:                              ;   in Loop: Header=BB30_12 Depth=1
	v_and_b32_e32 v1, 64, v211
	v_add_u32_e32 v1, 64, v1
	v_xor_b32_e32 v2, 32, v211
	v_cmp_lt_i32_e32 vcc, v2, v1
	v_accvgpr_read_b32 v4, a100
	v_accvgpr_read_b32 v5, a101
	v_cndmask_b32_e32 v2, v211, v2, vcc
	v_lshlrev_b32_e32 v250, 2, v2
	v_xor_b32_e32 v2, 16, v211
	v_cmp_lt_i32_e32 vcc, v2, v1
	v_add_u32_e32 v16, -1, v138
	v_mov_b32_e32 v68, 0
	v_cndmask_b32_e32 v1, v211, v2, vcc
	v_mad_i64_i32 v[2:3], s[8:9], s62, v248, v[126:127]
	v_lshl_add_u64 v[126:127], v[4:5], 0, v[2:3]
	v_accvgpr_read_b32 v4, a102
	v_lshl_add_u64 v[2:3], v[128:129], 0, v[130:131]
	v_accvgpr_read_b32 v5, a103
	v_lshl_add_u64 v[128:129], v[4:5], 0, v[2:3]
	v_lshl_add_u64 v[130:131], v[82:83], 0, v[2:3]
	v_lshl_add_u64 v[132:133], v[84:85], 0, v[2:3]
	v_lshl_add_u64 v[134:135], v[86:87], 0, v[2:3]
	v_lshl_add_u64 v[136:137], v[88:89], 0, v[2:3]
	v_lshl_add_u64 v[138:139], v[90:91], 0, v[2:3]
	v_lshl_add_u64 v[140:141], v[92:93], 0, v[2:3]
	v_lshl_add_u64 v[142:143], v[94:95], 0, v[2:3]
	v_lshl_add_u64 v[2:3], v[122:123], 0, v[124:125]
	v_lshlrev_b32_e32 v251, 2, v1
	v_lshl_add_u64 v[122:123], v[96:97], 0, v[2:3]
	v_lshl_add_u64 v[124:125], v[98:99], 0, v[2:3]
	;; [unrolled: 1-line block ×8, first 2 shown]
	v_mov_b32_e32 v13, 0xfeffffff
	v_mov_b32_e32 v1, 0
	;; [unrolled: 1-line block ×34, first 2 shown]
.LBB30_246:                             ;   Parent Loop BB30_12 Depth=1
                                        ; =>  This Inner Loop Header: Depth=2
	global_load_dword v2, v[126:127], off
	v_lshl_add_u64 v[6:7], v[124:125], 0, v[52:53]
	v_lshl_add_u64 v[8:9], v[144:145], 0, v[52:53]
	;; [unrolled: 1-line block ×7, first 2 shown]
	s_waitcnt vmcnt(0)
	ds_write_b32 v165, v2 offset:33792
	v_lshl_add_u64 v[2:3], v[122:123], 0, v[52:53]
	global_load_dwordx4 v[2:5], v[2:3], off
	s_waitcnt vmcnt(0)
	ds_write_b128 v156, v[2:5]
	global_load_dwordx4 v[2:5], v[6:7], off
	v_add_u32_e32 v6, 0x4000, v158
	s_waitcnt vmcnt(0)
	ds_write_b128 v213, v[2:5]
	global_load_dwordx4 v[2:5], v[8:9], off
	s_waitcnt vmcnt(0)
	ds_write_b128 v214, v[2:5]
	global_load_dwordx4 v[2:5], v[56:57], off
                                        ; implicit-def: $vgpr56
	s_waitcnt vmcnt(0)
	ds_write_b128 v215, v[2:5]
	global_load_dwordx4 v[2:5], v[72:73], off
	s_waitcnt vmcnt(0)
	ds_write_b128 v216, v[2:5]
	global_load_dwordx4 v[2:5], v[174:175], off
	;; [unrolled: 3-line block ×4, first 2 shown]
	s_waitcnt vmcnt(0)
	ds_write_b128 v219, v[2:5]
	s_waitcnt lgkmcnt(0)
	s_barrier
	ds_read2_b64 v[2:5], v158 offset1:4
	s_waitcnt lgkmcnt(0)
	v_mfma_f32_16x16x16_f16 a[0:3], v[2:3], a[36:37], 0
	v_mfma_f32_16x16x16_f16 a[0:3], v[4:5], a[38:39], a[0:3]
	ds_read2_b64 v[2:5], v158 offset0:8 offset1:12
	s_waitcnt lgkmcnt(0)
	v_mfma_f32_16x16x16_f16 a[0:3], v[2:3], a[32:33], a[0:3]
	v_mfma_f32_16x16x16_f16 a[0:3], v[4:5], a[34:35], a[0:3]
	ds_read2_b64 v[2:5], v158 offset0:16 offset1:20
	;; [unrolled: 4-line block ×8, first 2 shown]
	s_waitcnt lgkmcnt(0)
	v_mfma_f32_16x16x16_f16 a[4:7], v[2:3], a[36:37], 0
	s_nop 4
	v_accvgpr_read_b32 v35, a0
	v_cmp_nlt_f32_e64 s[8:9], |v35|, s39
	v_mfma_f32_16x16x16_f16 a[4:7], v[4:5], a[38:39], a[4:7]
	ds_read2_b64 v[2:5], v6 offset0:72 offset1:76
	s_waitcnt lgkmcnt(0)
	v_mfma_f32_16x16x16_f16 a[4:7], v[2:3], a[32:33], a[4:7]
	v_mfma_f32_16x16x16_f16 a[4:7], v[4:5], a[34:35], a[4:7]
	ds_read2_b64 v[2:5], v6 offset0:80 offset1:84
	s_waitcnt lgkmcnt(0)
	v_mfma_f32_16x16x16_f16 a[4:7], v[2:3], a[28:29], a[4:7]
	;; [unrolled: 4-line block ×6, first 2 shown]
	v_mfma_f32_16x16x16_f16 a[4:7], v[4:5], a[14:15], a[4:7]
	ds_read2_b64 v[2:5], v6 offset0:120 offset1:124
	s_waitcnt lgkmcnt(0)
	s_barrier
	v_mfma_f32_16x16x16_f16 a[4:7], v[2:3], a[8:9], a[4:7]
	v_mfma_f32_16x16x16_f16 a[4:7], v[4:5], a[10:11], a[4:7]
	s_and_saveexec_b64 s[12:13], s[8:9]
	s_xor_b64 s[8:9], exec, s[12:13]
	s_cbranch_execz .LBB30_248
; %bb.247:                              ;   in Loop: Header=BB30_246 Depth=2
	v_add_f32_e64 v2, |v35|, |v35|
	v_mul_f32_e32 v3, 0x3fb8aa3b, v2
	v_rndne_f32_e32 v4, v3
	v_sub_f32_e32 v5, v3, v4
	v_fma_f32 v3, v2, s63, -v3
	v_fmac_f32_e32 v3, 0x32a5705f, v2
	v_add_f32_e32 v3, v5, v3
	v_cvt_i32_f32_e32 v4, v4
	v_exp_f32_e32 v3, v3
	v_cmp_ngt_f32_e32 vcc, s90, v2
	v_ldexp_f32 v3, v3, v4
	s_nop 0
	v_cndmask_b32_e32 v3, 0, v3, vcc
	v_cmp_nlt_f32_e32 vcc, s91, v2
	s_nop 1
	v_cndmask_b32_e32 v2, v246, v3, vcc
	v_add_f32_e32 v2, 1.0, v2
	v_rcp_f32_e32 v2, v2
	s_nop 0
	v_fma_f32 v56, v2, -2.0, 1.0
.LBB30_248:                             ;   in Loop: Header=BB30_246 Depth=2
	s_andn2_saveexec_b64 s[8:9], s[8:9]
; %bb.249:                              ;   in Loop: Header=BB30_246 Depth=2
	v_mul_f32_e32 v2, v35, v35
	v_fmamk_f32 v3, v2, 0xbbbac73d, v245
	v_fmaak_f32 v3, v2, v3, 0xbd5c1c4e
	v_fmaak_f32 v3, v2, v3, 0x3e088382
	;; [unrolled: 1-line block ×3, first 2 shown]
	v_mul_f32_e64 v3, |v35|, v3
	v_fma_f32 v56, v2, v3, |v35|
; %bb.250:                              ;   in Loop: Header=BB30_246 Depth=2
	s_or_b64 exec, exec, s[8:9]
	v_accvgpr_read_b32 v5, a3
	v_accvgpr_read_b32 v3, a1
	;; [unrolled: 1-line block ×4, first 2 shown]
	v_cmp_nlt_f32_e64 s[8:9], |v3|, s39
                                        ; implicit-def: $vgpr2
	s_and_saveexec_b64 s[12:13], s[8:9]
	s_xor_b64 s[8:9], exec, s[12:13]
	s_cbranch_execz .LBB30_252
; %bb.251:                              ;   in Loop: Header=BB30_246 Depth=2
	v_add_f32_e64 v2, |v3|, |v3|
	v_mul_f32_e32 v6, 0x3fb8aa3b, v2
	v_rndne_f32_e32 v7, v6
	v_sub_f32_e32 v8, v6, v7
	v_fma_f32 v6, v2, s63, -v6
	v_fmac_f32_e32 v6, 0x32a5705f, v2
	v_add_f32_e32 v6, v8, v6
	v_cvt_i32_f32_e32 v7, v7
	v_exp_f32_e32 v6, v6
	v_cmp_ngt_f32_e32 vcc, s90, v2
	v_ldexp_f32 v6, v6, v7
	s_nop 0
	v_cndmask_b32_e32 v6, 0, v6, vcc
	v_cmp_nlt_f32_e32 vcc, s91, v2
	s_nop 1
	v_cndmask_b32_e32 v2, v246, v6, vcc
	v_add_f32_e32 v2, 1.0, v2
	v_rcp_f32_e32 v2, v2
	s_nop 0
	v_fma_f32 v2, v2, -2.0, 1.0
.LBB30_252:                             ;   in Loop: Header=BB30_246 Depth=2
	s_andn2_saveexec_b64 s[8:9], s[8:9]
; %bb.253:                              ;   in Loop: Header=BB30_246 Depth=2
	v_mul_f32_e32 v2, v3, v3
	v_fmamk_f32 v6, v2, 0xbbbac73d, v245
	v_fmaak_f32 v6, v2, v6, 0xbd5c1c4e
	v_fmaak_f32 v6, v2, v6, 0x3e088382
	;; [unrolled: 1-line block ×3, first 2 shown]
	v_mul_f32_e64 v6, |v3|, v6
	v_fma_f32 v2, v2, v6, |v3|
; %bb.254:                              ;   in Loop: Header=BB30_246 Depth=2
	s_or_b64 exec, exec, s[8:9]
	v_cmp_nlt_f32_e64 s[8:9], |v4|, s39
                                        ; implicit-def: $vgpr57
	s_and_saveexec_b64 s[12:13], s[8:9]
	s_xor_b64 s[8:9], exec, s[12:13]
	s_cbranch_execz .LBB30_256
; %bb.255:                              ;   in Loop: Header=BB30_246 Depth=2
	v_add_f32_e64 v6, |v4|, |v4|
	v_mul_f32_e32 v7, 0x3fb8aa3b, v6
	v_rndne_f32_e32 v8, v7
	v_sub_f32_e32 v9, v7, v8
	v_fma_f32 v7, v6, s63, -v7
	v_fmac_f32_e32 v7, 0x32a5705f, v6
	v_add_f32_e32 v7, v9, v7
	v_cvt_i32_f32_e32 v8, v8
	v_exp_f32_e32 v7, v7
	v_cmp_ngt_f32_e32 vcc, s90, v6
	v_ldexp_f32 v7, v7, v8
	s_nop 0
	v_cndmask_b32_e32 v7, 0, v7, vcc
	v_cmp_nlt_f32_e32 vcc, s91, v6
	s_nop 1
	v_cndmask_b32_e32 v6, v246, v7, vcc
	v_add_f32_e32 v6, 1.0, v6
	v_rcp_f32_e32 v6, v6
	s_nop 0
	v_fma_f32 v57, v6, -2.0, 1.0
.LBB30_256:                             ;   in Loop: Header=BB30_246 Depth=2
	s_andn2_saveexec_b64 s[8:9], s[8:9]
; %bb.257:                              ;   in Loop: Header=BB30_246 Depth=2
	v_mul_f32_e32 v6, v4, v4
	v_fmamk_f32 v7, v6, 0xbbbac73d, v245
	v_fmaak_f32 v7, v6, v7, 0xbd5c1c4e
	v_fmaak_f32 v7, v6, v7, 0x3e088382
	;; [unrolled: 1-line block ×3, first 2 shown]
	v_mul_f32_e64 v7, |v4|, v7
	v_fma_f32 v57, v6, v7, |v4|
; %bb.258:                              ;   in Loop: Header=BB30_246 Depth=2
	s_or_b64 exec, exec, s[8:9]
	v_cmp_nlt_f32_e64 s[8:9], |v5|, s39
                                        ; implicit-def: $vgpr59
	s_and_saveexec_b64 s[12:13], s[8:9]
	s_xor_b64 s[8:9], exec, s[12:13]
	s_cbranch_execz .LBB30_260
; %bb.259:                              ;   in Loop: Header=BB30_246 Depth=2
	v_add_f32_e64 v6, |v5|, |v5|
	v_mul_f32_e32 v7, 0x3fb8aa3b, v6
	v_rndne_f32_e32 v8, v7
	v_sub_f32_e32 v9, v7, v8
	v_fma_f32 v7, v6, s63, -v7
	v_fmac_f32_e32 v7, 0x32a5705f, v6
	v_add_f32_e32 v7, v9, v7
	v_cvt_i32_f32_e32 v8, v8
	v_exp_f32_e32 v7, v7
	v_cmp_ngt_f32_e32 vcc, s90, v6
	v_ldexp_f32 v7, v7, v8
	s_nop 0
	v_cndmask_b32_e32 v7, 0, v7, vcc
	v_cmp_nlt_f32_e32 vcc, s91, v6
	s_nop 1
	v_cndmask_b32_e32 v6, v246, v7, vcc
	v_add_f32_e32 v6, 1.0, v6
	v_rcp_f32_e32 v6, v6
	s_nop 0
	v_fma_f32 v59, v6, -2.0, 1.0
.LBB30_260:                             ;   in Loop: Header=BB30_246 Depth=2
	s_andn2_saveexec_b64 s[8:9], s[8:9]
; %bb.261:                              ;   in Loop: Header=BB30_246 Depth=2
	v_mul_f32_e32 v6, v5, v5
	v_fmamk_f32 v7, v6, 0xbbbac73d, v245
	v_fmaak_f32 v7, v6, v7, 0xbd5c1c4e
	v_fmaak_f32 v7, v6, v7, 0x3e088382
	;; [unrolled: 1-line block ×3, first 2 shown]
	v_mul_f32_e64 v7, |v5|, v7
	v_fma_f32 v59, v6, v7, |v5|
; %bb.262:                              ;   in Loop: Header=BB30_246 Depth=2
	s_or_b64 exec, exec, s[8:9]
	v_accvgpr_read_b32 v9, a7
	v_accvgpr_read_b32 v6, a4
	;; [unrolled: 1-line block ×4, first 2 shown]
	v_cmp_nlt_f32_e64 s[8:9], |v6|, s39
                                        ; implicit-def: $vgpr61
	s_and_saveexec_b64 s[12:13], s[8:9]
	s_xor_b64 s[8:9], exec, s[12:13]
	s_cbranch_execz .LBB30_264
; %bb.263:                              ;   in Loop: Header=BB30_246 Depth=2
	v_add_f32_e64 v61, |v6|, |v6|
	v_mul_f32_e32 v63, 0x3fb8aa3b, v61
	v_rndne_f32_e32 v67, v63
	v_sub_f32_e32 v72, v63, v67
	v_fma_f32 v63, v61, s63, -v63
	v_fmac_f32_e32 v63, 0x32a5705f, v61
	v_add_f32_e32 v63, v72, v63
	v_cvt_i32_f32_e32 v67, v67
	v_exp_f32_e32 v63, v63
	v_cmp_ngt_f32_e32 vcc, s90, v61
	v_ldexp_f32 v63, v63, v67
	s_nop 0
	v_cndmask_b32_e32 v63, 0, v63, vcc
	v_cmp_nlt_f32_e32 vcc, s91, v61
	s_nop 1
	v_cndmask_b32_e32 v61, v246, v63, vcc
	v_add_f32_e32 v61, 1.0, v61
	v_rcp_f32_e32 v61, v61
	s_nop 0
	v_fma_f32 v61, v61, -2.0, 1.0
.LBB30_264:                             ;   in Loop: Header=BB30_246 Depth=2
	s_andn2_saveexec_b64 s[8:9], s[8:9]
; %bb.265:                              ;   in Loop: Header=BB30_246 Depth=2
	v_mul_f32_e32 v61, v6, v6
	v_fmamk_f32 v63, v61, 0xbbbac73d, v245
	v_fmaak_f32 v63, v61, v63, 0xbd5c1c4e
	v_fmaak_f32 v63, v61, v63, 0x3e088382
	;; [unrolled: 1-line block ×3, first 2 shown]
	v_mul_f32_e64 v63, |v6|, v63
	v_fma_f32 v61, v61, v63, |v6|
; %bb.266:                              ;   in Loop: Header=BB30_246 Depth=2
	s_or_b64 exec, exec, s[8:9]
	v_cmp_nlt_f32_e64 s[8:9], |v7|, s39
                                        ; implicit-def: $vgpr63
	s_and_saveexec_b64 s[12:13], s[8:9]
	s_xor_b64 s[8:9], exec, s[12:13]
	s_cbranch_execz .LBB30_268
; %bb.267:                              ;   in Loop: Header=BB30_246 Depth=2
	v_add_f32_e64 v63, |v7|, |v7|
	v_mul_f32_e32 v67, 0x3fb8aa3b, v63
	v_rndne_f32_e32 v72, v67
	v_sub_f32_e32 v73, v67, v72
	v_fma_f32 v67, v63, s63, -v67
	v_fmac_f32_e32 v67, 0x32a5705f, v63
	v_add_f32_e32 v67, v73, v67
	v_cvt_i32_f32_e32 v72, v72
	v_exp_f32_e32 v67, v67
	v_cmp_ngt_f32_e32 vcc, s90, v63
	v_ldexp_f32 v67, v67, v72
	s_nop 0
	v_cndmask_b32_e32 v67, 0, v67, vcc
	v_cmp_nlt_f32_e32 vcc, s91, v63
	s_nop 1
	v_cndmask_b32_e32 v63, v246, v67, vcc
	v_add_f32_e32 v63, 1.0, v63
	v_rcp_f32_e32 v63, v63
	s_nop 0
	v_fma_f32 v63, v63, -2.0, 1.0
.LBB30_268:                             ;   in Loop: Header=BB30_246 Depth=2
	s_andn2_saveexec_b64 s[8:9], s[8:9]
; %bb.269:                              ;   in Loop: Header=BB30_246 Depth=2
	v_mul_f32_e32 v63, v7, v7
	v_fmamk_f32 v67, v63, 0xbbbac73d, v245
	v_fmaak_f32 v67, v63, v67, 0xbd5c1c4e
	v_fmaak_f32 v67, v63, v67, 0x3e088382
	;; [unrolled: 1-line block ×3, first 2 shown]
	v_mul_f32_e64 v67, |v7|, v67
	v_fma_f32 v63, v63, v67, |v7|
; %bb.270:                              ;   in Loop: Header=BB30_246 Depth=2
	s_or_b64 exec, exec, s[8:9]
	v_cmp_nlt_f32_e64 s[8:9], |v8|, s39
                                        ; implicit-def: $vgpr67
	s_and_saveexec_b64 s[12:13], s[8:9]
	s_xor_b64 s[8:9], exec, s[12:13]
	s_cbranch_execz .LBB30_272
; %bb.271:                              ;   in Loop: Header=BB30_246 Depth=2
	v_add_f32_e64 v67, |v8|, |v8|
	v_mul_f32_e32 v72, 0x3fb8aa3b, v67
	v_rndne_f32_e32 v73, v72
	v_sub_f32_e32 v78, v72, v73
	v_fma_f32 v72, v67, s63, -v72
	v_fmac_f32_e32 v72, 0x32a5705f, v67
	v_add_f32_e32 v72, v78, v72
	v_cvt_i32_f32_e32 v73, v73
	v_exp_f32_e32 v72, v72
	v_cmp_ngt_f32_e32 vcc, s90, v67
	v_ldexp_f32 v72, v72, v73
	s_nop 0
	v_cndmask_b32_e32 v72, 0, v72, vcc
	v_cmp_nlt_f32_e32 vcc, s91, v67
	s_nop 1
	v_cndmask_b32_e32 v67, v246, v72, vcc
	v_add_f32_e32 v67, 1.0, v67
	v_rcp_f32_e32 v67, v67
	s_nop 0
	v_fma_f32 v67, v67, -2.0, 1.0
.LBB30_272:                             ;   in Loop: Header=BB30_246 Depth=2
	s_andn2_saveexec_b64 s[8:9], s[8:9]
; %bb.273:                              ;   in Loop: Header=BB30_246 Depth=2
	v_mul_f32_e32 v67, v8, v8
	v_fmamk_f32 v72, v67, 0xbbbac73d, v245
	v_fmaak_f32 v72, v67, v72, 0xbd5c1c4e
	v_fmaak_f32 v72, v67, v72, 0x3e088382
	;; [unrolled: 1-line block ×3, first 2 shown]
	v_mul_f32_e64 v72, |v8|, v72
	v_fma_f32 v67, v67, v72, |v8|
; %bb.274:                              ;   in Loop: Header=BB30_246 Depth=2
	s_or_b64 exec, exec, s[8:9]
	v_cmp_nlt_f32_e64 s[8:9], |v9|, s39
                                        ; implicit-def: $vgpr72
	s_and_saveexec_b64 s[12:13], s[8:9]
	s_xor_b64 s[8:9], exec, s[12:13]
	s_cbranch_execz .LBB30_276
; %bb.275:                              ;   in Loop: Header=BB30_246 Depth=2
	v_add_f32_e64 v72, |v9|, |v9|
	v_mul_f32_e32 v73, 0x3fb8aa3b, v72
	v_rndne_f32_e32 v78, v73
	v_sub_f32_e32 v79, v73, v78
	v_fma_f32 v73, v72, s63, -v73
	v_fmac_f32_e32 v73, 0x32a5705f, v72
	v_add_f32_e32 v73, v79, v73
	v_cvt_i32_f32_e32 v78, v78
	v_exp_f32_e32 v73, v73
	v_cmp_ngt_f32_e32 vcc, s90, v72
	v_ldexp_f32 v73, v73, v78
	s_nop 0
	v_cndmask_b32_e32 v73, 0, v73, vcc
	v_cmp_nlt_f32_e32 vcc, s91, v72
	s_nop 1
	v_cndmask_b32_e32 v72, v246, v73, vcc
	v_add_f32_e32 v72, 1.0, v72
	v_rcp_f32_e32 v72, v72
	s_nop 0
	v_fma_f32 v72, v72, -2.0, 1.0
.LBB30_276:                             ;   in Loop: Header=BB30_246 Depth=2
	s_andn2_saveexec_b64 s[8:9], s[8:9]
; %bb.277:                              ;   in Loop: Header=BB30_246 Depth=2
	v_mul_f32_e32 v72, v9, v9
	v_fmamk_f32 v73, v72, 0xbbbac73d, v245
	v_fmaak_f32 v73, v72, v73, 0xbd5c1c4e
	v_fmaak_f32 v73, v72, v73, 0x3e088382
	;; [unrolled: 1-line block ×3, first 2 shown]
	v_mul_f32_e64 v73, |v9|, v73
	v_fma_f32 v72, v72, v73, |v9|
; %bb.278:                              ;   in Loop: Header=BB30_246 Depth=2
	s_or_b64 exec, exec, s[8:9]
	v_bfi_b32 v35, s92, v56, v35
	v_bfi_b32 v56, s92, v2, v3
	v_add_u32_e32 v2, 0x8400, v159
	ds_read2_b32 v[2:3], v2 offset1:1
	v_bfi_b32 v5, s92, v59, v5
	v_bfi_b32 v4, s92, v57, v4
	;; [unrolled: 1-line block ×4, first 2 shown]
	s_waitcnt lgkmcnt(0)
	v_fma_mix_f32 v4, s3, v4, v3 op_sel_hi:[0,0,1]
	v_fma_mix_f32 v3, s3, v5, v3 op_sel:[0,0,1] op_sel_hi:[0,0,1]
	ds_read_b32 v5, v166 offset:33792
	v_fma_mix_f32 v35, s3, v35, v2 op_sel_hi:[0,0,1]
	v_fma_mix_f32 v2, s3, v56, v2 op_sel:[0,0,1] op_sel_hi:[0,0,1]
	v_bfi_b32 v8, s92, v67, v8
	v_bfi_b32 v9, s92, v72, v9
	s_waitcnt lgkmcnt(0)
	v_fma_mix_f32 v56, s3, v6, v5 op_sel_hi:[0,0,1]
	ds_read_b32 v6, v167 offset:33792
	v_fma_mix_f32 v5, s3, v7, v5 op_sel:[0,0,1] op_sel_hi:[0,0,1]
	v_add_f32_e32 v7, 0x40051340, v2
	v_lshl_add_u64 v[240:241], v[134:135], 0, v[52:53]
	v_lshl_add_u64 v[242:243], v[136:137], 0, v[52:53]
	s_waitcnt lgkmcnt(0)
	v_fma_mix_f32 v57, s3, v8, v6 op_sel_hi:[0,0,1]
	v_fma_mix_f32 v59, s3, v9, v6 op_sel:[0,0,1] op_sel_hi:[0,0,1]
	v_add_f32_e32 v6, 0x40051340, v35
	v_max3_f32 v6, v13, v6, v7
	v_add_f32_e32 v7, 0x40051340, v4
	v_add_f32_e32 v8, 0x40051340, v3
	v_max3_f32 v6, v6, v7, v8
	v_add_f32_e32 v7, 0x40051340, v56
	v_add_f32_e32 v8, 0x40051340, v5
	v_max3_f32 v6, v6, v7, v8
	v_add_f32_e32 v7, 0x40051340, v57
	v_add_f32_e32 v8, 0x40051340, v59
	v_max3_f32 v6, v6, v7, v8
	ds_bpermute_b32 v7, v250, v6
	v_lshl_add_u64 v[254:255], v[138:139], 0, v[52:53]
	v_lshl_add_u64 v[78:79], v[140:141], 0, v[52:53]
	;; [unrolled: 1-line block ×3, first 2 shown]
	v_add_u32_e32 v252, -1, v252
	s_waitcnt lgkmcnt(0)
	v_max_f32_e32 v7, v7, v7
	v_max_f32_e32 v6, v6, v7
	ds_bpermute_b32 v7, v251, v6
	v_lshl_add_u64 v[126:127], v[126:127], 0, s[68:69]
	v_lshl_add_u64 v[134:135], v[134:135], 0, s[64:65]
	;; [unrolled: 1-line block ×4, first 2 shown]
	s_waitcnt lgkmcnt(0)
	v_max_f32_e32 v7, v7, v7
	v_max_f32_e32 v247, v6, v7
	v_sub_f32_e32 v6, v35, v247
	v_mul_f32_e32 v7, 0x3fb8aa3b, v6
	v_fma_f32 v8, v6, s63, -v7
	v_rndne_f32_e32 v9, v7
	v_fmac_f32_e32 v8, 0x32a5705f, v6
	v_sub_f32_e32 v7, v7, v9
	v_add_f32_e32 v7, v7, v8
	v_exp_f32_e32 v7, v7
	v_cvt_i32_f32_e32 v8, v9
	v_cmp_ngt_f32_e32 vcc, s90, v6
	v_sub_f32_e32 v2, v2, v247
	v_sub_f32_e32 v4, v4, v247
	v_ldexp_f32 v7, v7, v8
	v_cndmask_b32_e32 v7, 0, v7, vcc
	v_cmp_nlt_f32_e32 vcc, s91, v6
	v_sub_f32_e32 v3, v3, v247
	v_lshl_add_u64 v[140:141], v[140:141], 0, s[64:65]
	v_cndmask_b32_e32 v6, v246, v7, vcc
	v_mul_f32_e32 v7, 0x3fb8aa3b, v2
	v_fma_f32 v8, v2, s63, -v7
	v_rndne_f32_e32 v9, v7
	v_fmac_f32_e32 v8, 0x32a5705f, v2
	v_sub_f32_e32 v7, v7, v9
	v_add_f32_e32 v7, v7, v8
	v_exp_f32_e32 v7, v7
	v_cvt_i32_f32_e32 v8, v9
	v_cmp_ngt_f32_e32 vcc, s90, v2
	v_lshl_add_u64 v[142:143], v[142:143], 0, s[64:65]
	v_lshl_add_u64 v[122:123], v[122:123], 0, s[66:67]
	v_ldexp_f32 v7, v7, v8
	v_mul_f32_e32 v8, 0x3fb8aa3b, v4
	v_fma_f32 v9, v4, s63, -v8
	v_rndne_f32_e32 v35, v8
	v_fmac_f32_e32 v9, 0x32a5705f, v4
	v_sub_f32_e32 v8, v8, v35
	v_add_f32_e32 v8, v8, v9
	v_exp_f32_e32 v8, v8
	v_cvt_i32_f32_e32 v9, v35
	v_cndmask_b32_e32 v7, 0, v7, vcc
	v_cmp_nlt_f32_e32 vcc, s91, v2
	v_lshl_add_u64 v[124:125], v[124:125], 0, s[66:67]
	v_ldexp_f32 v8, v8, v9
	v_cndmask_b32_e32 v7, v246, v7, vcc
	v_cmp_ngt_f32_e32 vcc, s90, v4
	v_add_f32_e32 v2, v6, v7
	v_lshl_add_u64 v[144:145], v[144:145], 0, s[66:67]
	v_cndmask_b32_e32 v8, 0, v8, vcc
	v_cmp_nlt_f32_e32 vcc, s91, v4
	v_mul_f32_e32 v4, 0x3fb8aa3b, v3
	v_fma_f32 v9, v3, s63, -v4
	v_rndne_f32_e32 v35, v4
	v_fmac_f32_e32 v9, 0x32a5705f, v3
	v_sub_f32_e32 v4, v4, v35
	v_add_f32_e32 v4, v4, v9
	v_exp_f32_e32 v4, v4
	v_cvt_i32_f32_e32 v9, v35
	v_cndmask_b32_e32 v8, v246, v8, vcc
	v_cmp_ngt_f32_e32 vcc, s90, v3
	v_add_f32_e32 v2, v8, v2
	v_ldexp_f32 v4, v4, v9
	v_cndmask_b32_e32 v4, 0, v4, vcc
	v_cmp_nlt_f32_e32 vcc, s91, v3
	v_sub_f32_e32 v3, v56, v247
	v_lshl_add_u64 v[146:147], v[146:147], 0, s[66:67]
	v_cndmask_b32_e32 v9, v246, v4, vcc
	v_mul_f32_e32 v4, 0x3fb8aa3b, v3
	v_fma_f32 v35, v3, s63, -v4
	v_rndne_f32_e32 v56, v4
	v_fmac_f32_e32 v35, 0x32a5705f, v3
	v_sub_f32_e32 v4, v4, v56
	v_add_f32_e32 v4, v4, v35
	v_exp_f32_e32 v4, v4
	v_cvt_i32_f32_e32 v35, v56
	v_cmp_ngt_f32_e32 vcc, s90, v3
	v_add_f32_e32 v2, v9, v2
	v_lshl_add_u64 v[148:149], v[148:149], 0, s[66:67]
	v_ldexp_f32 v4, v4, v35
	v_cndmask_b32_e32 v4, 0, v4, vcc
	v_cmp_nlt_f32_e32 vcc, s91, v3
	v_sub_f32_e32 v3, v5, v247
	v_lshl_add_u64 v[150:151], v[150:151], 0, s[66:67]
	v_cndmask_b32_e32 v180, v246, v4, vcc
	v_mul_f32_e32 v4, 0x3fb8aa3b, v3
	v_fma_f32 v5, v3, s63, -v4
	v_rndne_f32_e32 v35, v4
	v_fmac_f32_e32 v5, 0x32a5705f, v3
	v_sub_f32_e32 v4, v4, v35
	v_add_f32_e32 v4, v4, v5
	v_exp_f32_e32 v4, v4
	v_cvt_i32_f32_e32 v5, v35
	v_cmp_ngt_f32_e32 vcc, s90, v3
	v_add_f32_e32 v2, v180, v2
	v_lshl_add_u64 v[152:153], v[152:153], 0, s[66:67]
	v_ldexp_f32 v4, v4, v5
	v_cndmask_b32_e32 v4, 0, v4, vcc
	v_cmp_nlt_f32_e32 vcc, s91, v3
	v_sub_f32_e32 v3, v57, v247
	v_lshl_add_u64 v[154:155], v[154:155], 0, s[66:67]
	v_cndmask_b32_e32 v197, v246, v4, vcc
	v_mul_f32_e32 v4, 0x3fb8aa3b, v3
	v_fma_f32 v5, v3, s63, -v4
	v_rndne_f32_e32 v35, v4
	v_fmac_f32_e32 v5, 0x32a5705f, v3
	v_sub_f32_e32 v4, v4, v35
	v_add_f32_e32 v4, v4, v5
	v_exp_f32_e32 v4, v4
	v_cvt_i32_f32_e32 v5, v35
	v_cmp_ngt_f32_e32 vcc, s90, v3
	v_add_f32_e32 v2, v197, v2
	v_ldexp_f32 v4, v4, v5
	v_cndmask_b32_e32 v4, 0, v4, vcc
	v_cmp_nlt_f32_e32 vcc, s91, v3
	v_sub_f32_e32 v3, v59, v247
	s_nop 0
	v_cndmask_b32_e32 v72, v246, v4, vcc
	v_mul_f32_e32 v4, 0x3fb8aa3b, v3
	v_fma_f32 v5, v3, s63, -v4
	v_rndne_f32_e32 v35, v4
	v_fmac_f32_e32 v5, 0x32a5705f, v3
	v_sub_f32_e32 v4, v4, v35
	v_add_f32_e32 v4, v4, v5
	v_exp_f32_e32 v4, v4
	v_cvt_i32_f32_e32 v5, v35
	v_cmp_ngt_f32_e32 vcc, s90, v3
	v_add_f32_e32 v2, v72, v2
	v_ldexp_f32 v4, v4, v5
	v_cndmask_b32_e32 v4, 0, v4, vcc
	v_cmp_nlt_f32_e32 vcc, s91, v3
	s_nop 1
	v_cndmask_b32_e32 v73, v246, v4, vcc
	v_add_f32_e32 v249, v73, v2
	v_sub_f32_e32 v2, v13, v247
	v_mul_f32_e32 v3, 0x3fb8aa3b, v2
	v_fma_f32 v4, v2, s63, -v3
	v_rndne_f32_e32 v5, v3
	v_fmac_f32_e32 v4, 0x32a5705f, v2
	v_sub_f32_e32 v3, v3, v5
	v_add_f32_e32 v3, v3, v4
	v_exp_f32_e32 v3, v3
	v_cvt_i32_f32_e32 v4, v5
	v_cmp_ngt_f32_e32 vcc, s90, v2
	v_ldexp_f32 v3, v3, v4
	s_nop 0
	v_cndmask_b32_e32 v3, 0, v3, vcc
	v_cmp_nlt_f32_e32 vcc, s91, v2
	s_nop 1
	v_cndmask_b32_e32 v3, v246, v3, vcc
	v_cmp_le_f32_e32 vcc, s93, v2
	s_nop 1
	v_cndmask_b32_e32 v2, 0, v3, vcc
	v_fmac_f32_e32 v249, v1, v2
	v_cvt_f16_f32_e32 v1, v2
	v_cmp_ne_u32_e32 vcc, 0, v252
	s_and_b64 vcc, exec, vcc
	v_mul_u32_u24_e32 v2, 0x10001, v1
	v_pk_mul_f16 v207, v207, v2
	v_pk_mul_f16 v198, v201, v2
	;; [unrolled: 1-line block ×32, first 2 shown]
	v_lshl_add_u64 v[2:3], v[128:129], 0, v[52:53]
	global_load_dwordx4 v[2:5], v[2:3], off
	v_lshl_add_u64 v[190:191], v[130:131], 0, v[52:53]
	v_lshl_add_u64 v[192:193], v[132:133], 0, v[52:53]
	v_cvt_f32_f16_e32 v58, v207
	v_cvt_f32_f16_sdwa v60, v207 dst_sel:DWORD dst_unused:UNUSED_PAD src0_sel:WORD_1
	v_cvt_f32_f16_e32 v62, v198
	v_cvt_f32_f16_sdwa v64, v198 dst_sel:DWORD dst_unused:UNUSED_PAD src0_sel:WORD_1
	v_accvgpr_write_b32 a0, v58
	v_accvgpr_write_b32 a1, v60
	;; [unrolled: 1-line block ×4, first 2 shown]
	v_lshl_add_u64 v[128:129], v[128:129], 0, s[64:65]
	v_lshl_add_u64 v[130:131], v[130:131], 0, s[64:65]
	;; [unrolled: 1-line block ×3, first 2 shown]
	s_waitcnt vmcnt(0)
	ds_write_b128 v156, v[2:5]
	global_load_dwordx4 v[2:5], v[190:191], off
	s_waitcnt vmcnt(0)
	ds_write_b128 v213, v[2:5]
	global_load_dwordx4 v[2:5], v[192:193], off
	;; [unrolled: 3-line block ×7, first 2 shown]
	s_waitcnt vmcnt(0)
	ds_write_b128 v219, v[2:5]
	s_waitcnt lgkmcnt(0)
	s_barrier
	ds_read_u16 v2, v160 offset:528
	ds_read_u16 v3, v160 offset:1056
	ds_read_u16 v4, v161
	ds_read_u16 v78, v161 offset:32
	v_cvt_pk_f16_f32 v5, v8, v9
	s_waitcnt lgkmcnt(1)
	v_perm_b32 v3, v4, v3, s94
	ds_read_u16 v4, v160
	ds_read_u16 v79, v160 offset:32
	ds_read_u16 v8, v160 offset:16896
	;; [unrolled: 1-line block ×5, first 2 shown]
	s_waitcnt lgkmcnt(5)
	v_perm_b32 v2, v2, v4, s94
	v_cvt_pk_f16_f32 v4, v6, v7
	s_nop 1
	v_mfma_f32_16x16x16_f16 a[0:3], v[2:3], v[4:5], a[0:3]
	s_nop 7
	v_accvgpr_read_b32 v2, a0
	v_accvgpr_read_b32 v3, a1
	v_accvgpr_read_b32 v6, a2
	v_accvgpr_read_b32 v7, a3
	v_cvt_f16_f32_e32 v2, v2
	v_cvt_f16_f32_e32 v3, v3
	;; [unrolled: 1-line block ×4, first 2 shown]
	v_cvt_f32_f16_e32 v62, v2
	v_cvt_f32_f16_e32 v64, v3
	;; [unrolled: 1-line block ×4, first 2 shown]
	s_waitcnt lgkmcnt(0)
	v_perm_b32 v7, v60, v58, s94
	v_perm_b32 v6, v9, v8, s94
	ds_read_u16 v58, v160 offset:560
	ds_read_u16 v60, v160 offset:1088
	v_cvt_pk_f16_f32 v3, v72, v73
	v_cvt_pk_f16_f32 v2, v180, v197
	v_accvgpr_write_b32 a0, v62
	v_accvgpr_write_b32 a1, v64
	v_accvgpr_write_b32 a2, v80
	v_accvgpr_write_b32 a3, v81
	v_cvt_f32_f16_e32 v62, v178
	v_cvt_f32_f16_sdwa v64, v178 dst_sel:DWORD dst_unused:UNUSED_PAD src0_sel:WORD_1
	v_mfma_f32_16x16x16_f16 a[0:3], v[6:7], v[2:3], a[0:3]
	v_cvt_f32_f16_e32 v80, v177
	v_cvt_f32_f16_sdwa v81, v177 dst_sel:DWORD dst_unused:UNUSED_PAD src0_sel:WORD_1
	s_waitcnt lgkmcnt(0)
	v_perm_b32 v73, v78, v60, s94
	v_perm_b32 v72, v58, v79, s94
	s_nop 2
	v_accvgpr_read_b32 v6, a0
	v_accvgpr_read_b32 v7, a1
	;; [unrolled: 1-line block ×4, first 2 shown]
	v_accvgpr_write_b32 a0, v62
	v_accvgpr_write_b32 a1, v64
	;; [unrolled: 1-line block ×4, first 2 shown]
	v_cvt_f32_f16_e32 v80, v173
	v_cvt_f32_f16_sdwa v81, v173 dst_sel:DWORD dst_unused:UNUSED_PAD src0_sel:WORD_1
	v_mfma_f32_16x16x16_f16 a[0:3], v[72:73], v[4:5], a[0:3]
	ds_read_u16 v72, v160 offset:16928
	ds_read_u16 v78, v160 offset:17456
	;; [unrolled: 1-line block ×4, first 2 shown]
	s_waitcnt lgkmcnt(2)
	v_perm_b32 v72, v78, v72, s94
	v_cvt_f32_f16_e32 v78, v174
	s_nop 0
	v_accvgpr_read_b32 v58, a0
	v_accvgpr_read_b32 v60, a1
	;; [unrolled: 1-line block ×4, first 2 shown]
	v_cvt_f16_f32_e32 v58, v58
	v_cvt_f16_f32_e32 v60, v60
	;; [unrolled: 1-line block ×4, first 2 shown]
	v_cvt_f32_f16_e32 v58, v58
	v_cvt_f32_f16_e32 v60, v60
	;; [unrolled: 1-line block ×4, first 2 shown]
	s_waitcnt lgkmcnt(0)
	v_perm_b32 v73, v79, v73, s94
	v_accvgpr_write_b32 a0, v58
	v_accvgpr_write_b32 a1, v60
	;; [unrolled: 1-line block ×4, first 2 shown]
	ds_read_u16 v58, v160 offset:64
	ds_read_u16 v60, v160 offset:592
	;; [unrolled: 1-line block ×4, first 2 shown]
	v_mfma_f32_16x16x16_f16 a[0:3], v[72:73], v[2:3], a[0:3]
	v_cvt_f32_f16_sdwa v79, v174 dst_sel:DWORD dst_unused:UNUSED_PAD src0_sel:WORD_1
	s_waitcnt lgkmcnt(2)
	v_perm_b32 v72, v60, v58, s94
	s_waitcnt lgkmcnt(0)
	v_perm_b32 v73, v64, v62, s94
	s_nop 2
	v_accvgpr_read_b32 v191, a0
	v_accvgpr_read_b32 v210, a1
	;; [unrolled: 1-line block ×4, first 2 shown]
	v_accvgpr_write_b32 a0, v78
	v_accvgpr_write_b32 a1, v79
	;; [unrolled: 1-line block ×4, first 2 shown]
	v_cvt_f32_f16_e32 v80, v203
	v_cvt_f32_f16_sdwa v81, v203 dst_sel:DWORD dst_unused:UNUSED_PAD src0_sel:WORD_1
	v_mfma_f32_16x16x16_f16 a[0:3], v[72:73], v[4:5], a[0:3]
	ds_read_u16 v72, v160 offset:16960
	ds_read_u16 v78, v160 offset:17488
	;; [unrolled: 1-line block ×4, first 2 shown]
	s_waitcnt lgkmcnt(2)
	v_perm_b32 v72, v78, v72, s94
	v_cvt_f32_f16_sdwa v78, v61 dst_sel:DWORD dst_unused:UNUSED_PAD src0_sel:WORD_1
	s_nop 0
	v_accvgpr_read_b32 v58, a0
	v_accvgpr_read_b32 v60, a1
	;; [unrolled: 1-line block ×4, first 2 shown]
	v_cvt_f16_f32_e32 v58, v58
	v_cvt_f16_f32_e32 v60, v60
	;; [unrolled: 1-line block ×4, first 2 shown]
	v_cvt_f32_f16_e32 v58, v58
	v_cvt_f32_f16_e32 v60, v60
	v_cvt_f32_f16_e32 v62, v62
	v_cvt_f32_f16_e32 v64, v64
	s_waitcnt lgkmcnt(0)
	v_perm_b32 v73, v79, v73, s94
	v_accvgpr_write_b32 a0, v58
	v_accvgpr_write_b32 a1, v60
	;; [unrolled: 1-line block ×4, first 2 shown]
	ds_read_u16 v58, v160 offset:96
	ds_read_u16 v60, v160 offset:624
	;; [unrolled: 1-line block ×4, first 2 shown]
	v_mfma_f32_16x16x16_f16 a[0:3], v[72:73], v[2:3], a[0:3]
	v_cvt_f32_f16_e32 v72, v63
	v_cvt_f32_f16_sdwa v63, v63 dst_sel:DWORD dst_unused:UNUSED_PAD src0_sel:WORD_1
	v_cvt_f32_f16_e32 v73, v61
	s_waitcnt lgkmcnt(0)
	v_perm_b32 v61, v64, v62, s94
	v_perm_b32 v60, v60, v58, s94
	s_nop 1
	v_accvgpr_read_b32 v188, a0
	v_accvgpr_read_b32 v207, a1
	;; [unrolled: 1-line block ×4, first 2 shown]
	v_accvgpr_write_b32 a0, v72
	v_accvgpr_write_b32 a1, v63
	;; [unrolled: 1-line block ×4, first 2 shown]
	ds_read_u16 v63, v160 offset:16992
	ds_read_u16 v64, v160 offset:17520
	;; [unrolled: 1-line block ×4, first 2 shown]
	v_mfma_f32_16x16x16_f16 a[0:3], v[60:61], v[4:5], a[0:3]
	v_cvt_pk_f16_f32 v188, v188, v207
	v_cvt_pk_f16_f32 v207, v6, v7
	s_nop 5
	v_accvgpr_read_b32 v58, a0
	v_accvgpr_read_b32 v60, a1
	;; [unrolled: 1-line block ×4, first 2 shown]
	v_cvt_f16_f32_e32 v58, v58
	v_cvt_f16_f32_e32 v60, v60
	;; [unrolled: 1-line block ×4, first 2 shown]
	v_cvt_f32_f16_e32 v58, v58
	v_cvt_f32_f16_e32 v78, v60
	;; [unrolled: 1-line block ×4, first 2 shown]
	s_waitcnt lgkmcnt(0)
	v_perm_b32 v61, v73, v72, s94
	v_perm_b32 v60, v64, v63, s94
	v_accvgpr_write_b32 a0, v58
	v_accvgpr_write_b32 a1, v78
	;; [unrolled: 1-line block ×4, first 2 shown]
	v_cvt_f32_f16_e32 v63, v59
	v_cvt_f32_f16_sdwa v72, v59 dst_sel:DWORD dst_unused:UNUSED_PAD src0_sel:WORD_1
	v_mfma_f32_16x16x16_f16 a[0:3], v[60:61], v[2:3], a[0:3]
	ds_read_u16 v58, v160 offset:128
	ds_read_u16 v60, v160 offset:656
	;; [unrolled: 1-line block ×4, first 2 shown]
	v_cvt_f32_f16_e32 v73, v57
	v_cvt_f32_f16_sdwa v57, v57 dst_sel:DWORD dst_unused:UNUSED_PAD src0_sel:WORD_1
	s_waitcnt lgkmcnt(2)
	v_perm_b32 v58, v60, v58, s94
	v_cvt_f32_f16_sdwa v79, v200 dst_sel:DWORD dst_unused:UNUSED_PAD src0_sel:WORD_1
	s_waitcnt lgkmcnt(0)
	v_perm_b32 v59, v62, v61, s94
	v_accvgpr_read_b32 v64, a0
	v_accvgpr_read_b32 v185, a1
	;; [unrolled: 1-line block ×4, first 2 shown]
	v_accvgpr_write_b32 a0, v63
	v_accvgpr_write_b32 a1, v72
	;; [unrolled: 1-line block ×4, first 2 shown]
	ds_read_u16 v61, v160 offset:17024
	ds_read_u16 v62, v160 offset:17552
	;; [unrolled: 1-line block ×4, first 2 shown]
	v_mfma_f32_16x16x16_f16 a[0:3], v[58:59], v[4:5], a[0:3]
	s_nop 7
	v_accvgpr_read_b32 v57, a0
	v_accvgpr_read_b32 v58, a1
	;; [unrolled: 1-line block ×4, first 2 shown]
	v_cvt_f16_f32_e32 v57, v57
	v_cvt_f16_f32_e32 v58, v58
	;; [unrolled: 1-line block ×4, first 2 shown]
	v_cvt_f32_f16_e32 v57, v57
	v_cvt_f32_f16_e32 v73, v58
	v_cvt_f32_f16_e32 v78, v59
	v_cvt_f32_f16_e32 v60, v60
	s_waitcnt lgkmcnt(0)
	v_perm_b32 v59, v72, v63, s94
	v_perm_b32 v58, v62, v61, s94
	v_accvgpr_write_b32 a0, v57
	v_accvgpr_write_b32 a1, v73
	;; [unrolled: 1-line block ×4, first 2 shown]
	v_cvt_f32_f16_e32 v61, v35
	v_cvt_f32_f16_sdwa v35, v35 dst_sel:DWORD dst_unused:UNUSED_PAD src0_sel:WORD_1
	v_mfma_f32_16x16x16_f16 a[0:3], v[58:59], v[2:3], a[0:3]
	ds_read_u16 v57, v160 offset:160
	ds_read_u16 v58, v160 offset:688
	ds_read_u16 v59, v160 offset:1216
	ds_read_u16 v60, v161 offset:160
	v_cvt_f32_f16_e32 v63, v13
	v_cvt_f32_f16_sdwa v13, v13 dst_sel:DWORD dst_unused:UNUSED_PAD src0_sel:WORD_1
	s_waitcnt lgkmcnt(2)
	v_perm_b32 v58, v58, v57, s94
	v_cvt_f32_f16_e32 v78, v200
	s_waitcnt lgkmcnt(0)
	v_perm_b32 v59, v60, v59, s94
	v_accvgpr_read_b32 v255, a0
	v_accvgpr_read_b32 v241, a1
	v_accvgpr_read_b32 v62, a2
	v_accvgpr_read_b32 v182, a3
	v_accvgpr_write_b32 a0, v61
	v_accvgpr_write_b32 a1, v35
	;; [unrolled: 1-line block ×4, first 2 shown]
	v_cvt_pk_f16_f32 v62, v62, v182
	v_cvt_pk_f16_f32 v182, v64, v185
	v_mfma_f32_16x16x16_f16 a[0:3], v[58:59], v[4:5], a[0:3]
	ds_read_u16 v60, v160 offset:17056
	ds_read_u16 v61, v160 offset:17584
	;; [unrolled: 1-line block ×4, first 2 shown]
	v_cvt_pk_f16_f32 v64, v242, v243
	v_cvt_pk_f16_f32 v185, v209, v244
	s_waitcnt lgkmcnt(0)
	v_perm_b32 v59, v63, v59, s94
	v_accvgpr_read_b32 v13, a0
	v_accvgpr_read_b32 v35, a1
	;; [unrolled: 1-line block ×4, first 2 shown]
	v_cvt_f16_f32_e32 v13, v13
	v_cvt_f16_f32_e32 v35, v35
	;; [unrolled: 1-line block ×4, first 2 shown]
	v_cvt_f32_f16_e32 v13, v13
	v_cvt_f32_f16_e32 v35, v35
	v_cvt_f32_f16_e32 v57, v57
	v_cvt_f32_f16_e32 v72, v58
	v_perm_b32 v58, v61, v60, s94
	v_accvgpr_write_b32 a0, v13
	v_accvgpr_write_b32 a1, v35
	;; [unrolled: 1-line block ×4, first 2 shown]
	v_cvt_f32_f16_sdwa v61, v56 dst_sel:DWORD dst_unused:UNUSED_PAD src0_sel:WORD_1
	v_cvt_f32_f16_e32 v63, v1
	v_mfma_f32_16x16x16_f16 a[0:3], v[58:59], v[2:3], a[0:3]
	ds_read_u16 v13, v160 offset:192
	ds_read_u16 v35, v160 offset:720
	;; [unrolled: 1-line block ×4, first 2 shown]
	v_cvt_f32_f16_e32 v59, v56
	v_cvt_f32_f16_sdwa v1, v1 dst_sel:DWORD dst_unused:UNUSED_PAD src0_sel:WORD_1
	s_waitcnt lgkmcnt(2)
	v_perm_b32 v56, v35, v13, s94
	v_cvt_f32_f16_sdwa v72, v189 dst_sel:DWORD dst_unused:UNUSED_PAD src0_sel:WORD_1
	s_waitcnt lgkmcnt(0)
	v_perm_b32 v57, v58, v57, s94
	v_accvgpr_read_b32 v240, a0
	v_accvgpr_read_b32 v60, a1
	;; [unrolled: 1-line block ×4, first 2 shown]
	v_accvgpr_write_b32 a0, v59
	v_accvgpr_write_b32 a1, v61
	;; [unrolled: 1-line block ×4, first 2 shown]
	s_nop 1
	v_mfma_f32_16x16x16_f16 a[0:3], v[56:57], v[4:5], a[0:3]
	ds_read_u16 v58, v160 offset:17088
	ds_read_u16 v59, v160 offset:17616
	;; [unrolled: 1-line block ×4, first 2 shown]
	s_waitcnt lgkmcnt(0)
	v_perm_b32 v57, v61, v57, s94
	s_nop 1
	v_accvgpr_read_b32 v1, a0
	v_accvgpr_read_b32 v13, a1
	;; [unrolled: 1-line block ×4, first 2 shown]
	v_cvt_f16_f32_e32 v1, v1
	v_cvt_f16_f32_e32 v13, v13
	;; [unrolled: 1-line block ×4, first 2 shown]
	v_cvt_f32_f16_e32 v1, v1
	v_cvt_f32_f16_e32 v13, v13
	;; [unrolled: 1-line block ×4, first 2 shown]
	v_perm_b32 v56, v59, v58, s94
	v_accvgpr_write_b32 a0, v1
	v_accvgpr_write_b32 a1, v13
	;; [unrolled: 1-line block ×4, first 2 shown]
	v_cvt_f32_f16_e32 v59, v175
	v_cvt_f32_f16_sdwa v61, v175 dst_sel:DWORD dst_unused:UNUSED_PAD src0_sel:WORD_1
	v_mfma_f32_16x16x16_f16 a[0:3], v[56:57], v[2:3], a[0:3]
	ds_read_u16 v1, v160 offset:224
	ds_read_u16 v13, v160 offset:752
	;; [unrolled: 1-line block ×4, first 2 shown]
	v_cvt_f32_f16_e32 v63, v67
	v_cvt_f32_f16_sdwa v67, v67 dst_sel:DWORD dst_unused:UNUSED_PAD src0_sel:WORD_1
	s_waitcnt lgkmcnt(0)
	v_perm_b32 v57, v56, v35, s94
	v_perm_b32 v56, v13, v1, s94
	v_accvgpr_read_b32 v58, a0
	v_accvgpr_read_b32 v193, a1
	v_accvgpr_read_b32 v192, a2
	v_accvgpr_read_b32 v190, a3
	v_accvgpr_write_b32 a0, v59
	v_accvgpr_write_b32 a1, v61
	v_accvgpr_write_b32 a2, v63
	v_accvgpr_write_b32 a3, v67
	v_cvt_pk_f16_f32 v193, v58, v193
	v_cvt_pk_f16_f32 v58, v192, v190
	v_mfma_f32_16x16x16_f16 a[0:3], v[56:57], v[4:5], a[0:3]
	v_cvt_pk_f16_f32 v190, v240, v60
	v_cvt_pk_f16_f32 v60, v179, v201
	;; [unrolled: 1-line block ×6, first 2 shown]
	s_nop 1
	v_accvgpr_read_b32 v56, a3
	v_accvgpr_read_b32 v1, a0
	;; [unrolled: 1-line block ×4, first 2 shown]
	v_cvt_f16_f32_e32 v57, v56
	ds_read_u16 v56, v160 offset:17120
	ds_read_u16 v59, v160 offset:17648
	;; [unrolled: 1-line block ×4, first 2 shown]
	v_cvt_f16_f32_e32 v1, v1
	v_cvt_f16_f32_e32 v13, v13
	v_cvt_f16_f32_e32 v35, v35
	v_cvt_f32_f16_e32 v67, v57
	v_cvt_f32_f16_e32 v1, v1
	;; [unrolled: 1-line block ×4, first 2 shown]
	s_waitcnt lgkmcnt(0)
	v_perm_b32 v57, v63, v61, s94
	v_perm_b32 v56, v59, v56, s94
	v_accvgpr_write_b32 a0, v1
	v_accvgpr_write_b32 a1, v13
	;; [unrolled: 1-line block ×4, first 2 shown]
	v_cvt_f32_f16_e32 v59, v181
	v_cvt_f32_f16_sdwa v61, v181 dst_sel:DWORD dst_unused:UNUSED_PAD src0_sel:WORD_1
	v_mfma_f32_16x16x16_f16 a[0:3], v[56:57], v[2:3], a[0:3]
	ds_read_u16 v1, v160 offset:256
	ds_read_u16 v13, v160 offset:784
	;; [unrolled: 1-line block ×4, first 2 shown]
	v_cvt_f32_f16_e32 v63, v183
	v_cvt_f32_f16_sdwa v67, v183 dst_sel:DWORD dst_unused:UNUSED_PAD src0_sel:WORD_1
	s_waitcnt lgkmcnt(0)
	v_perm_b32 v57, v56, v35, s94
	v_perm_b32 v56, v13, v1, s94
	v_accvgpr_read_b32 v199, a0
	v_accvgpr_read_b32 v180, a1
	;; [unrolled: 1-line block ×4, first 2 shown]
	v_accvgpr_write_b32 a0, v59
	v_accvgpr_write_b32 a1, v61
	;; [unrolled: 1-line block ×4, first 2 shown]
	v_cvt_pk_f16_f32 v199, v199, v180
	s_nop 0
	v_mfma_f32_16x16x16_f16 a[0:3], v[56:57], v[4:5], a[0:3]
	ds_read_u16 v59, v160 offset:17152
	ds_read_u16 v61, v160 offset:17680
	;; [unrolled: 1-line block ×4, first 2 shown]
	s_waitcnt lgkmcnt(0)
	v_perm_b32 v57, v63, v57, s94
	s_nop 1
	v_accvgpr_read_b32 v1, a0
	v_accvgpr_read_b32 v13, a1
	;; [unrolled: 1-line block ×4, first 2 shown]
	v_cvt_f16_f32_e32 v1, v1
	v_cvt_f16_f32_e32 v13, v13
	;; [unrolled: 1-line block ×4, first 2 shown]
	v_cvt_f32_f16_e32 v1, v1
	v_cvt_f32_f16_e32 v13, v13
	;; [unrolled: 1-line block ×4, first 2 shown]
	v_perm_b32 v56, v61, v59, s94
	v_accvgpr_write_b32 a0, v1
	v_accvgpr_write_b32 a1, v13
	;; [unrolled: 1-line block ×4, first 2 shown]
	v_cvt_f32_f16_e32 v59, v184
	v_cvt_f32_f16_sdwa v61, v184 dst_sel:DWORD dst_unused:UNUSED_PAD src0_sel:WORD_1
	v_mfma_f32_16x16x16_f16 a[0:3], v[56:57], v[2:3], a[0:3]
	ds_read_u16 v1, v160 offset:288
	ds_read_u16 v13, v160 offset:816
	;; [unrolled: 1-line block ×4, first 2 shown]
	v_cvt_f32_f16_e32 v63, v186
	v_cvt_f32_f16_sdwa v67, v186 dst_sel:DWORD dst_unused:UNUSED_PAD src0_sel:WORD_1
	s_waitcnt lgkmcnt(0)
	v_perm_b32 v57, v56, v35, s94
	v_perm_b32 v56, v13, v1, s94
	v_accvgpr_read_b32 v181, a0
	v_accvgpr_read_b32 v183, a1
	;; [unrolled: 1-line block ×4, first 2 shown]
	v_accvgpr_write_b32 a0, v59
	v_accvgpr_write_b32 a1, v61
	;; [unrolled: 1-line block ×4, first 2 shown]
	v_cvt_pk_f16_f32 v181, v181, v183
	v_cvt_pk_f16_f32 v183, v198, v238
	v_mfma_f32_16x16x16_f16 a[0:3], v[56:57], v[4:5], a[0:3]
	ds_read_u16 v59, v160 offset:17184
	ds_read_u16 v61, v160 offset:17712
	;; [unrolled: 1-line block ×4, first 2 shown]
	s_waitcnt lgkmcnt(0)
	v_perm_b32 v57, v63, v57, s94
	s_nop 1
	v_accvgpr_read_b32 v1, a0
	v_accvgpr_read_b32 v13, a1
	;; [unrolled: 1-line block ×4, first 2 shown]
	v_cvt_f16_f32_e32 v1, v1
	v_cvt_f16_f32_e32 v13, v13
	;; [unrolled: 1-line block ×4, first 2 shown]
	v_cvt_f32_f16_e32 v1, v1
	v_cvt_f32_f16_e32 v13, v13
	;; [unrolled: 1-line block ×4, first 2 shown]
	v_perm_b32 v56, v61, v59, s94
	v_accvgpr_write_b32 a0, v1
	v_accvgpr_write_b32 a1, v13
	v_accvgpr_write_b32 a2, v35
	v_accvgpr_write_b32 a3, v67
	v_cvt_f32_f16_e32 v59, v187
	v_cvt_f32_f16_sdwa v61, v187 dst_sel:DWORD dst_unused:UNUSED_PAD src0_sel:WORD_1
	v_mfma_f32_16x16x16_f16 a[0:3], v[56:57], v[2:3], a[0:3]
	ds_read_u16 v1, v160 offset:320
	ds_read_u16 v13, v160 offset:848
	ds_read_u16 v35, v160 offset:1376
	ds_read_u16 v56, v161 offset:320
	v_cvt_f32_f16_e32 v63, v189
	s_waitcnt lgkmcnt(0)
	v_perm_b32 v57, v56, v35, s94
	v_perm_b32 v56, v13, v1, s94
	v_accvgpr_read_b32 v184, a0
	v_accvgpr_read_b32 v186, a1
	;; [unrolled: 1-line block ×4, first 2 shown]
	v_accvgpr_write_b32 a0, v59
	v_accvgpr_write_b32 a1, v61
	;; [unrolled: 1-line block ×4, first 2 shown]
	v_cvt_pk_f16_f32 v184, v184, v186
	v_cvt_pk_f16_f32 v186, v175, v67
	v_mfma_f32_16x16x16_f16 a[0:3], v[56:57], v[4:5], a[0:3]
	ds_read_u16 v59, v160 offset:17216
	ds_read_u16 v61, v160 offset:17744
	;; [unrolled: 1-line block ×4, first 2 shown]
	s_waitcnt lgkmcnt(0)
	v_perm_b32 v57, v63, v57, s94
	s_nop 1
	v_accvgpr_read_b32 v1, a0
	v_accvgpr_read_b32 v13, a1
	;; [unrolled: 1-line block ×4, first 2 shown]
	v_cvt_f16_f32_e32 v1, v1
	v_cvt_f16_f32_e32 v13, v13
	;; [unrolled: 1-line block ×4, first 2 shown]
	v_cvt_f32_f16_e32 v1, v1
	v_cvt_f32_f16_e32 v13, v13
	;; [unrolled: 1-line block ×4, first 2 shown]
	v_perm_b32 v56, v61, v59, s94
	v_accvgpr_write_b32 a0, v1
	v_accvgpr_write_b32 a1, v13
	;; [unrolled: 1-line block ×4, first 2 shown]
	v_cvt_f32_f16_e32 v61, v239
	v_cvt_f32_f16_sdwa v63, v239 dst_sel:DWORD dst_unused:UNUSED_PAD src0_sel:WORD_1
	v_mfma_f32_16x16x16_f16 a[0:3], v[56:57], v[2:3], a[0:3]
	ds_read_u16 v13, v160 offset:352
	ds_read_u16 v35, v160 offset:880
	;; [unrolled: 1-line block ×4, first 2 shown]
	s_waitcnt lgkmcnt(2)
	v_perm_b32 v72, v35, v13, s94
	s_waitcnt lgkmcnt(0)
	v_perm_b32 v73, v59, v57, s94
	v_accvgpr_read_b32 v187, a0
	v_accvgpr_read_b32 v189, a1
	;; [unrolled: 1-line block ×4, first 2 shown]
	v_accvgpr_write_b32 a0, v61
	v_accvgpr_write_b32 a1, v63
	;; [unrolled: 1-line block ×4, first 2 shown]
	v_cvt_f32_f16_e32 v78, v202
	v_cvt_f32_f16_sdwa v79, v202 dst_sel:DWORD dst_unused:UNUSED_PAD src0_sel:WORD_1
	v_mfma_f32_16x16x16_f16 a[0:3], v[72:73], v[4:5], a[0:3]
	ds_read_u16 v61, v160 offset:17248
	ds_read_u16 v63, v160 offset:17776
	;; [unrolled: 1-line block ×4, first 2 shown]
	v_cvt_pk_f16_f32 v187, v187, v189
	v_cvt_pk_f16_f32 v189, v56, v1
	s_waitcnt lgkmcnt(0)
	v_perm_b32 v73, v73, v72, s94
	v_accvgpr_read_b32 v57, a2
	v_accvgpr_read_b32 v59, a3
	v_cvt_f16_f32_e32 v57, v57
	v_cvt_f16_f32_e32 v59, v59
	v_accvgpr_read_b32 v13, a0
	v_accvgpr_read_b32 v35, a1
	v_cvt_f16_f32_e32 v13, v13
	v_cvt_f16_f32_e32 v35, v35
	v_cvt_f32_f16_e32 v57, v57
	v_cvt_f32_f16_e32 v59, v59
	;; [unrolled: 1-line block ×4, first 2 shown]
	v_perm_b32 v72, v63, v61, s94
	v_accvgpr_write_b32 a2, v57
	v_accvgpr_write_b32 a3, v59
	ds_read_u16 v57, v160 offset:384
	ds_read_u16 v59, v160 offset:912
	;; [unrolled: 1-line block ×4, first 2 shown]
	v_accvgpr_write_b32 a0, v13
	v_accvgpr_write_b32 a1, v35
	s_nop 1
	v_mfma_f32_16x16x16_f16 a[0:3], v[72:73], v[2:3], a[0:3]
	s_waitcnt lgkmcnt(0)
	v_perm_b32 v73, v63, v61, s94
	v_perm_b32 v72, v59, v57, s94
	s_nop 4
	v_accvgpr_read_b32 v200, a0
	v_accvgpr_read_b32 v239, a1
	;; [unrolled: 1-line block ×4, first 2 shown]
	v_accvgpr_write_b32 a0, v78
	v_accvgpr_write_b32 a1, v79
	;; [unrolled: 1-line block ×4, first 2 shown]
	v_cvt_f32_f16_e32 v80, v204
	v_cvt_f32_f16_sdwa v81, v204 dst_sel:DWORD dst_unused:UNUSED_PAD src0_sel:WORD_1
	v_mfma_f32_16x16x16_f16 a[0:3], v[72:73], v[4:5], a[0:3]
	ds_read_u16 v72, v160 offset:17280
	ds_read_u16 v78, v160 offset:17808
	;; [unrolled: 1-line block ×4, first 2 shown]
	s_waitcnt lgkmcnt(2)
	v_perm_b32 v72, v78, v72, s94
	v_cvt_f32_f16_e32 v78, v205
	s_nop 0
	v_accvgpr_read_b32 v57, a0
	v_accvgpr_read_b32 v59, a1
	;; [unrolled: 1-line block ×4, first 2 shown]
	v_cvt_f16_f32_e32 v57, v57
	v_cvt_f16_f32_e32 v59, v59
	;; [unrolled: 1-line block ×4, first 2 shown]
	v_cvt_f32_f16_e32 v57, v57
	v_cvt_f32_f16_e32 v59, v59
	;; [unrolled: 1-line block ×4, first 2 shown]
	s_waitcnt lgkmcnt(0)
	v_perm_b32 v73, v79, v73, s94
	v_accvgpr_write_b32 a0, v57
	v_accvgpr_write_b32 a1, v59
	;; [unrolled: 1-line block ×4, first 2 shown]
	v_cvt_f32_f16_sdwa v79, v205 dst_sel:DWORD dst_unused:UNUSED_PAD src0_sel:WORD_1
	s_nop 0
	v_mfma_f32_16x16x16_f16 a[0:3], v[72:73], v[2:3], a[0:3]
	ds_read_u16 v61, v160 offset:416
	ds_read_u16 v63, v160 offset:944
	;; [unrolled: 1-line block ×4, first 2 shown]
	s_waitcnt lgkmcnt(0)
	v_perm_b32 v73, v73, v72, s94
	v_perm_b32 v72, v63, v61, s94
	s_nop 0
	v_accvgpr_read_b32 v202, a0
	v_accvgpr_read_b32 v203, a1
	v_accvgpr_read_b32 v57, a2
	v_accvgpr_read_b32 v59, a3
	v_accvgpr_write_b32 a0, v78
	v_accvgpr_write_b32 a1, v79
	;; [unrolled: 1-line block ×4, first 2 shown]
	ds_read_u16 v78, v160 offset:17312
	ds_read_u16 v79, v160 offset:17840
	;; [unrolled: 1-line block ×4, first 2 shown]
	v_mfma_f32_16x16x16_f16 a[0:3], v[72:73], v[4:5], a[0:3]
	v_cvt_pk_f16_f32 v202, v202, v203
	v_cvt_pk_f16_f32 v203, v57, v59
	s_nop 5
	v_accvgpr_read_b32 v61, a0
	v_accvgpr_read_b32 v63, a1
	;; [unrolled: 1-line block ×4, first 2 shown]
	v_cvt_f16_f32_e32 v61, v61
	v_cvt_f16_f32_e32 v63, v63
	;; [unrolled: 1-line block ×4, first 2 shown]
	v_cvt_f32_f16_e32 v61, v61
	v_cvt_f32_f16_e32 v63, v63
	;; [unrolled: 1-line block ×4, first 2 shown]
	s_waitcnt lgkmcnt(0)
	v_perm_b32 v73, v81, v80, s94
	v_perm_b32 v72, v79, v78, s94
	v_accvgpr_write_b32 a0, v61
	v_accvgpr_write_b32 a1, v63
	;; [unrolled: 1-line block ×4, first 2 shown]
	v_cvt_f32_f16_e32 v80, v206
	v_cvt_f32_f16_sdwa v81, v206 dst_sel:DWORD dst_unused:UNUSED_PAD src0_sel:WORD_1
	v_mfma_f32_16x16x16_f16 a[0:3], v[72:73], v[2:3], a[0:3]
	ds_read_u16 v72, v160 offset:448
	ds_read_u16 v78, v160 offset:976
	;; [unrolled: 1-line block ×4, first 2 shown]
	v_cvt_f32_f16_e32 v173, v66
	v_cvt_f32_f16_sdwa v66, v66 dst_sel:DWORD dst_unused:UNUSED_PAD src0_sel:WORD_1
	s_waitcnt lgkmcnt(2)
	v_perm_b32 v72, v78, v72, s94
	s_waitcnt lgkmcnt(0)
	v_perm_b32 v73, v79, v73, s94
	v_accvgpr_read_b32 v204, a0
	v_accvgpr_read_b32 v205, a1
	;; [unrolled: 1-line block ×4, first 2 shown]
	v_accvgpr_write_b32 a0, v80
	v_accvgpr_write_b32 a1, v81
	;; [unrolled: 1-line block ×4, first 2 shown]
	ds_read_u16 v79, v160 offset:17344
	ds_read_u16 v80, v160 offset:17872
	ds_read_u16 v81, v160 offset:18400
	ds_read_u16 v173, v161 offset:17344
	v_mfma_f32_16x16x16_f16 a[0:3], v[72:73], v[4:5], a[0:3]
	v_cvt_pk_f16_f32 v205, v204, v205
	v_cvt_pk_f16_f32 v204, v61, v63
	s_nop 5
	v_accvgpr_read_b32 v66, a0
	v_accvgpr_read_b32 v72, a1
	;; [unrolled: 1-line block ×4, first 2 shown]
	v_cvt_f16_f32_e32 v66, v66
	v_cvt_f16_f32_e32 v72, v72
	;; [unrolled: 1-line block ×4, first 2 shown]
	v_cvt_f32_f16_e32 v66, v66
	v_cvt_f32_f16_e32 v174, v72
	;; [unrolled: 1-line block ×4, first 2 shown]
	s_waitcnt lgkmcnt(0)
	v_perm_b32 v73, v173, v81, s94
	v_perm_b32 v72, v80, v79, s94
	v_accvgpr_write_b32 a0, v66
	v_accvgpr_write_b32 a1, v174
	;; [unrolled: 1-line block ×4, first 2 shown]
	v_cvt_f32_f16_e32 v80, v208
	v_cvt_f32_f16_sdwa v81, v208 dst_sel:DWORD dst_unused:UNUSED_PAD src0_sel:WORD_1
	v_mfma_f32_16x16x16_f16 a[0:3], v[72:73], v[2:3], a[0:3]
	ds_read_u16 v72, v160 offset:480
	ds_read_u16 v78, v160 offset:1008
	ds_read_u16 v73, v160 offset:1536
	ds_read_u16 v79, v161 offset:480
	v_cvt_f32_f16_e32 v176, v68
	v_cvt_f32_f16_sdwa v68, v68 dst_sel:DWORD dst_unused:UNUSED_PAD src0_sel:WORD_1
	s_waitcnt lgkmcnt(2)
	v_perm_b32 v72, v78, v72, s94
	s_waitcnt lgkmcnt(0)
	v_perm_b32 v73, v79, v73, s94
	v_accvgpr_read_b32 v66, a0
	v_accvgpr_read_b32 v206, a1
	;; [unrolled: 1-line block ×4, first 2 shown]
	v_accvgpr_write_b32 a0, v80
	v_accvgpr_write_b32 a1, v81
	;; [unrolled: 1-line block ×4, first 2 shown]
	v_cvt_pk_f16_f32 v206, v66, v206
	v_cvt_pk_f16_f32 v66, v174, v173
	v_mfma_f32_16x16x16_f16 a[0:3], v[72:73], v[4:5], a[0:3]
	s_nop 7
	v_accvgpr_read_b32 v72, a3
	v_accvgpr_read_b32 v4, a0
	;; [unrolled: 1-line block ×4, first 2 shown]
	v_cvt_f16_f32_e32 v208, v72
	ds_read_u16 v176, v160 offset:17376
	ds_read_u16 v197, v160 offset:17904
	ds_read_u16 v72, v160 offset:18432
	ds_read_u16 v73, v161 offset:17376
	v_cvt_f16_f32_e32 v4, v4
	v_cvt_f16_f32_e32 v5, v5
	;; [unrolled: 1-line block ×3, first 2 shown]
	v_cvt_f32_f16_e32 v80, v208
	v_cvt_f32_f16_e32 v78, v4
	;; [unrolled: 1-line block ×4, first 2 shown]
	s_waitcnt lgkmcnt(0)
	v_perm_b32 v5, v73, v72, s94
	v_perm_b32 v4, v197, v176, s94
	v_accvgpr_write_b32 a0, v78
	v_accvgpr_write_b32 a1, v79
	;; [unrolled: 1-line block ×4, first 2 shown]
	v_cvt_pk_f16_f32 v208, v200, v239
	v_cvt_pk_f16_f32 v200, v13, v35
	v_mfma_f32_16x16x16_f16 a[0:3], v[4:5], v[2:3], a[0:3]
	v_cvt_pk_f16_f32 v239, v178, v177
	s_barrier
	s_nop 5
	v_accvgpr_read_b32 v2, a0
	v_accvgpr_read_b32 v3, a1
	;; [unrolled: 1-line block ×4, first 2 shown]
	v_cvt_pk_f16_f32 v68, v2, v3
	v_cvt_pk_f16_f32 v176, v4, v5
	s_cbranch_vccz .LBB30_281
; %bb.279:                              ;   in Loop: Header=BB30_246 Depth=2
	v_mov_b32_e32 v1, v249
	v_mov_b32_e32 v13, v247
	s_branch .LBB30_246
.LBB30_280:                             ;   in Loop: Header=BB30_12 Depth=1
	v_mov_b32_e32 v247, 0xfeffffff
	v_mov_b32_e32 v249, 0
	;; [unrolled: 1-line block ×3, first 2 shown]
	v_mov_b64_e32 v[122:123], 0
	v_mov_b32_e32 v207, 0
	v_mov_b32_e32 v191, 0
	;; [unrolled: 1-line block ×31, first 2 shown]
	s_branch .LBB30_282
.LBB30_281:                             ;   in Loop: Header=BB30_12 Depth=1
	v_lshlrev_b32_e32 v16, 6, v16
	v_mov_b64_e32 v[122:123], v[16:17]
.LBB30_282:                             ;   in Loop: Header=BB30_12 Depth=1
	v_lshlrev_b64 v[4:5], 1, v[122:123]
	v_mad_i64_i32 v[2:3], s[8:9], v248, s38, 0
	v_lshl_add_u64 v[4:5], v[120:121], 0, v[4:5]
	v_lshl_add_u64 v[2:3], v[2:3], 1, v[4:5]
	v_lshlrev_b32_e32 v16, 1, v34
	v_lshl_add_u64 v[2:3], v[2:3], 0, v[16:17]
	global_load_dword v1, v[2:3], off
	v_mul_hi_u32 v2, v122, s34
	v_lshlrev_b32_e32 v16, 2, v14
                                        ; implicit-def: $vgpr13
	s_waitcnt vmcnt(0)
	ds_write_b32 v165, v1 offset:33792
	v_mul_lo_u32 v1, v122, s35
	v_add_u32_e32 v3, v2, v1
	v_mul_lo_u32 v2, v122, s34
	v_lshlrev_b64 v[2:3], 2, v[2:3]
	v_lshl_add_u64 v[2:3], v[118:119], 0, v[2:3]
	v_lshl_add_u64 v[4:5], v[18:19], 2, v[2:3]
	;; [unrolled: 1-line block ×11, first 2 shown]
	global_load_dwordx4 v[2:5], v[4:5], off
	v_lshl_add_u64 v[6:7], v[6:7], 0, v[16:17]
	v_lshl_add_u64 v[8:9], v[8:9], 0, v[16:17]
	;; [unrolled: 1-line block ×6, first 2 shown]
	v_add_u32_e32 v1, 0x4000, v158
	s_waitcnt vmcnt(0)
	ds_write_b128 v156, v[2:5]
	global_load_dwordx4 v[2:5], v[6:7], off
	s_waitcnt vmcnt(0)
	ds_write_b128 v213, v[2:5]
	global_load_dwordx4 v[2:5], v[8:9], off
	s_waitcnt vmcnt(0)
	ds_write_b128 v214, v[2:5]
	global_load_dwordx4 v[2:5], v[56:57], off
	s_waitcnt vmcnt(0)
	ds_write_b128 v215, v[2:5]
	global_load_dwordx4 v[2:5], v[72:73], off
	s_waitcnt vmcnt(0)
	ds_write_b128 v216, v[2:5]
	global_load_dwordx4 v[2:5], v[78:79], off
	s_waitcnt vmcnt(0)
	ds_write_b128 v217, v[2:5]
	global_load_dwordx4 v[2:5], v[80:81], off
	s_waitcnt vmcnt(0)
	ds_write_b128 v218, v[2:5]
	global_load_dwordx4 v[2:5], v[118:119], off
	s_waitcnt vmcnt(0)
	ds_write_b128 v219, v[2:5]
	s_waitcnt lgkmcnt(0)
	s_barrier
	ds_read2_b64 v[2:5], v158 offset1:4
	s_waitcnt lgkmcnt(0)
	v_mfma_f32_16x16x16_f16 a[0:3], v[2:3], a[36:37], 0
	v_mfma_f32_16x16x16_f16 a[0:3], v[4:5], a[38:39], a[0:3]
	ds_read2_b64 v[2:5], v158 offset0:8 offset1:12
	s_waitcnt lgkmcnt(0)
	v_mfma_f32_16x16x16_f16 a[0:3], v[2:3], a[32:33], a[0:3]
	v_mfma_f32_16x16x16_f16 a[0:3], v[4:5], a[34:35], a[0:3]
	ds_read2_b64 v[2:5], v158 offset0:16 offset1:20
	s_waitcnt lgkmcnt(0)
	v_mfma_f32_16x16x16_f16 a[0:3], v[2:3], a[28:29], a[0:3]
	v_mfma_f32_16x16x16_f16 a[0:3], v[4:5], a[30:31], a[0:3]
	ds_read2_b64 v[2:5], v158 offset0:24 offset1:28
	s_waitcnt lgkmcnt(0)
	v_mfma_f32_16x16x16_f16 a[0:3], v[2:3], a[24:25], a[0:3]
	v_mfma_f32_16x16x16_f16 a[0:3], v[4:5], a[26:27], a[0:3]
	ds_read2_b64 v[2:5], v158 offset0:32 offset1:36
	s_waitcnt lgkmcnt(0)
	v_mfma_f32_16x16x16_f16 a[0:3], v[2:3], a[20:21], a[0:3]
	v_mfma_f32_16x16x16_f16 a[0:3], v[4:5], a[22:23], a[0:3]
	ds_read2_b64 v[2:5], v158 offset0:40 offset1:44
	s_waitcnt lgkmcnt(0)
	v_mfma_f32_16x16x16_f16 a[0:3], v[2:3], a[16:17], a[0:3]
	v_mfma_f32_16x16x16_f16 a[0:3], v[4:5], a[18:19], a[0:3]
	ds_read2_b64 v[2:5], v158 offset0:48 offset1:52
	s_waitcnt lgkmcnt(0)
	v_mfma_f32_16x16x16_f16 a[0:3], v[2:3], a[12:13], a[0:3]
	v_mfma_f32_16x16x16_f16 a[0:3], v[4:5], a[14:15], a[0:3]
	ds_read2_b64 v[2:5], v158 offset0:56 offset1:60
	s_waitcnt lgkmcnt(0)
	v_mfma_f32_16x16x16_f16 a[0:3], v[2:3], a[8:9], a[0:3]
	v_mfma_f32_16x16x16_f16 a[0:3], v[4:5], a[10:11], a[0:3]
	ds_read2_b64 v[2:5], v1 offset0:64 offset1:68
	s_waitcnt lgkmcnt(0)
	v_mfma_f32_16x16x16_f16 a[4:7], v[2:3], a[36:37], 0
	v_mfma_f32_16x16x16_f16 a[4:7], v[4:5], a[38:39], a[4:7]
	ds_read2_b64 v[2:5], v1 offset0:72 offset1:76
	s_waitcnt lgkmcnt(0)
	v_mfma_f32_16x16x16_f16 a[4:7], v[2:3], a[32:33], a[4:7]
	v_mfma_f32_16x16x16_f16 a[4:7], v[4:5], a[34:35], a[4:7]
	ds_read2_b64 v[2:5], v1 offset0:80 offset1:84
	s_waitcnt lgkmcnt(0)
	v_mfma_f32_16x16x16_f16 a[4:7], v[2:3], a[28:29], a[4:7]
	v_mfma_f32_16x16x16_f16 a[4:7], v[4:5], a[30:31], a[4:7]
	ds_read2_b64 v[2:5], v1 offset0:88 offset1:92
	s_waitcnt lgkmcnt(0)
	v_mfma_f32_16x16x16_f16 a[4:7], v[2:3], a[24:25], a[4:7]
	v_mfma_f32_16x16x16_f16 a[4:7], v[4:5], a[26:27], a[4:7]
	ds_read2_b64 v[2:5], v1 offset0:96 offset1:100
	s_waitcnt lgkmcnt(0)
	v_mfma_f32_16x16x16_f16 a[4:7], v[2:3], a[20:21], a[4:7]
	v_mfma_f32_16x16x16_f16 a[4:7], v[4:5], a[22:23], a[4:7]
	ds_read2_b64 v[2:5], v1 offset0:104 offset1:108
	s_waitcnt lgkmcnt(0)
	v_mfma_f32_16x16x16_f16 a[4:7], v[2:3], a[16:17], a[4:7]
	v_mfma_f32_16x16x16_f16 a[4:7], v[4:5], a[18:19], a[4:7]
	ds_read2_b64 v[2:5], v1 offset0:112 offset1:116
	s_waitcnt lgkmcnt(0)
	v_mfma_f32_16x16x16_f16 a[4:7], v[2:3], a[12:13], a[4:7]
	v_mfma_f32_16x16x16_f16 a[4:7], v[4:5], a[14:15], a[4:7]
	ds_read2_b64 v[2:5], v1 offset0:120 offset1:124
	v_accvgpr_read_b32 v1, a0
	v_cmp_nlt_f32_e64 s[8:9], |v1|, s39
	s_waitcnt lgkmcnt(0)
	v_mfma_f32_16x16x16_f16 a[4:7], v[2:3], a[8:9], a[4:7]
	s_barrier
	v_mfma_f32_16x16x16_f16 a[4:7], v[4:5], a[10:11], a[4:7]
	s_and_saveexec_b64 s[12:13], s[8:9]
	s_xor_b64 s[8:9], exec, s[12:13]
	s_cbranch_execz .LBB30_284
; %bb.283:                              ;   in Loop: Header=BB30_12 Depth=1
	v_add_f32_e64 v2, |v1|, |v1|
	v_mul_f32_e32 v3, 0x3fb8aa3b, v2
	v_rndne_f32_e32 v4, v3
	v_sub_f32_e32 v5, v3, v4
	v_fma_f32 v3, v2, s63, -v3
	v_fmac_f32_e32 v3, 0x32a5705f, v2
	v_add_f32_e32 v3, v5, v3
	v_cvt_i32_f32_e32 v4, v4
	v_exp_f32_e32 v3, v3
	v_cmp_ngt_f32_e32 vcc, s90, v2
	v_ldexp_f32 v3, v3, v4
	s_nop 0
	v_cndmask_b32_e32 v3, 0, v3, vcc
	v_cmp_nlt_f32_e32 vcc, s91, v2
	s_nop 1
	v_cndmask_b32_e32 v2, v246, v3, vcc
	v_add_f32_e32 v2, 1.0, v2
	v_rcp_f32_e32 v2, v2
	s_nop 0
	v_fma_f32 v13, v2, -2.0, 1.0
.LBB30_284:                             ;   in Loop: Header=BB30_12 Depth=1
	s_andn2_saveexec_b64 s[8:9], s[8:9]
; %bb.285:                              ;   in Loop: Header=BB30_12 Depth=1
	v_mul_f32_e32 v2, v1, v1
	v_fmamk_f32 v3, v2, 0xbbbac73d, v245
	v_fmaak_f32 v3, v2, v3, 0xbd5c1c4e
	v_fmaak_f32 v3, v2, v3, 0x3e088382
	;; [unrolled: 1-line block ×3, first 2 shown]
	v_mul_f32_e64 v3, |v1|, v3
	v_fma_f32 v13, v2, v3, |v1|
; %bb.286:                              ;   in Loop: Header=BB30_12 Depth=1
	s_or_b64 exec, exec, s[8:9]
	v_accvgpr_read_b32 v5, a3
	v_accvgpr_read_b32 v3, a1
	;; [unrolled: 1-line block ×4, first 2 shown]
	v_cmp_nlt_f32_e64 s[8:9], |v3|, s39
                                        ; implicit-def: $vgpr2
	s_and_saveexec_b64 s[12:13], s[8:9]
	s_xor_b64 s[8:9], exec, s[12:13]
	s_cbranch_execz .LBB30_288
; %bb.287:                              ;   in Loop: Header=BB30_12 Depth=1
	v_add_f32_e64 v2, |v3|, |v3|
	v_mul_f32_e32 v6, 0x3fb8aa3b, v2
	v_rndne_f32_e32 v7, v6
	v_sub_f32_e32 v8, v6, v7
	v_fma_f32 v6, v2, s63, -v6
	v_fmac_f32_e32 v6, 0x32a5705f, v2
	v_add_f32_e32 v6, v8, v6
	v_cvt_i32_f32_e32 v7, v7
	v_exp_f32_e32 v6, v6
	v_cmp_ngt_f32_e32 vcc, s90, v2
	v_ldexp_f32 v6, v6, v7
	s_nop 0
	v_cndmask_b32_e32 v6, 0, v6, vcc
	v_cmp_nlt_f32_e32 vcc, s91, v2
	s_nop 1
	v_cndmask_b32_e32 v2, v246, v6, vcc
	v_add_f32_e32 v2, 1.0, v2
	v_rcp_f32_e32 v2, v2
	s_nop 0
	v_fma_f32 v2, v2, -2.0, 1.0
.LBB30_288:                             ;   in Loop: Header=BB30_12 Depth=1
	s_andn2_saveexec_b64 s[8:9], s[8:9]
; %bb.289:                              ;   in Loop: Header=BB30_12 Depth=1
	v_mul_f32_e32 v2, v3, v3
	v_fmamk_f32 v6, v2, 0xbbbac73d, v245
	v_fmaak_f32 v6, v2, v6, 0xbd5c1c4e
	v_fmaak_f32 v6, v2, v6, 0x3e088382
	v_fmaak_f32 v6, v2, v6, 0xbeaaaa99
	v_mul_f32_e64 v6, |v3|, v6
	v_fma_f32 v2, v2, v6, |v3|
; %bb.290:                              ;   in Loop: Header=BB30_12 Depth=1
	s_or_b64 exec, exec, s[8:9]
	v_cmp_nlt_f32_e64 s[8:9], |v4|, s39
                                        ; implicit-def: $vgpr35
	s_and_saveexec_b64 s[12:13], s[8:9]
	s_xor_b64 s[8:9], exec, s[12:13]
	s_cbranch_execz .LBB30_292
; %bb.291:                              ;   in Loop: Header=BB30_12 Depth=1
	v_add_f32_e64 v6, |v4|, |v4|
	v_mul_f32_e32 v7, 0x3fb8aa3b, v6
	v_rndne_f32_e32 v8, v7
	v_sub_f32_e32 v9, v7, v8
	v_fma_f32 v7, v6, s63, -v7
	v_fmac_f32_e32 v7, 0x32a5705f, v6
	v_add_f32_e32 v7, v9, v7
	v_cvt_i32_f32_e32 v8, v8
	v_exp_f32_e32 v7, v7
	v_cmp_ngt_f32_e32 vcc, s90, v6
	v_ldexp_f32 v7, v7, v8
	s_nop 0
	v_cndmask_b32_e32 v7, 0, v7, vcc
	v_cmp_nlt_f32_e32 vcc, s91, v6
	s_nop 1
	v_cndmask_b32_e32 v6, v246, v7, vcc
	v_add_f32_e32 v6, 1.0, v6
	v_rcp_f32_e32 v6, v6
	s_nop 0
	v_fma_f32 v35, v6, -2.0, 1.0
.LBB30_292:                             ;   in Loop: Header=BB30_12 Depth=1
	s_andn2_saveexec_b64 s[8:9], s[8:9]
; %bb.293:                              ;   in Loop: Header=BB30_12 Depth=1
	v_mul_f32_e32 v6, v4, v4
	v_fmamk_f32 v7, v6, 0xbbbac73d, v245
	v_fmaak_f32 v7, v6, v7, 0xbd5c1c4e
	v_fmaak_f32 v7, v6, v7, 0x3e088382
	;; [unrolled: 1-line block ×3, first 2 shown]
	v_mul_f32_e64 v7, |v4|, v7
	v_fma_f32 v35, v6, v7, |v4|
; %bb.294:                              ;   in Loop: Header=BB30_12 Depth=1
	s_or_b64 exec, exec, s[8:9]
	v_cmp_nlt_f32_e64 s[8:9], |v5|, s39
                                        ; implicit-def: $vgpr56
	s_and_saveexec_b64 s[12:13], s[8:9]
	s_xor_b64 s[8:9], exec, s[12:13]
	s_cbranch_execz .LBB30_296
; %bb.295:                              ;   in Loop: Header=BB30_12 Depth=1
	v_add_f32_e64 v6, |v5|, |v5|
	v_mul_f32_e32 v7, 0x3fb8aa3b, v6
	v_rndne_f32_e32 v8, v7
	v_sub_f32_e32 v9, v7, v8
	v_fma_f32 v7, v6, s63, -v7
	v_fmac_f32_e32 v7, 0x32a5705f, v6
	v_add_f32_e32 v7, v9, v7
	v_cvt_i32_f32_e32 v8, v8
	v_exp_f32_e32 v7, v7
	v_cmp_ngt_f32_e32 vcc, s90, v6
	v_ldexp_f32 v7, v7, v8
	s_nop 0
	v_cndmask_b32_e32 v7, 0, v7, vcc
	v_cmp_nlt_f32_e32 vcc, s91, v6
	s_nop 1
	v_cndmask_b32_e32 v6, v246, v7, vcc
	v_add_f32_e32 v6, 1.0, v6
	v_rcp_f32_e32 v6, v6
	s_nop 0
	v_fma_f32 v56, v6, -2.0, 1.0
.LBB30_296:                             ;   in Loop: Header=BB30_12 Depth=1
	s_andn2_saveexec_b64 s[8:9], s[8:9]
; %bb.297:                              ;   in Loop: Header=BB30_12 Depth=1
	v_mul_f32_e32 v6, v5, v5
	v_fmamk_f32 v7, v6, 0xbbbac73d, v245
	v_fmaak_f32 v7, v6, v7, 0xbd5c1c4e
	v_fmaak_f32 v7, v6, v7, 0x3e088382
	;; [unrolled: 1-line block ×3, first 2 shown]
	v_mul_f32_e64 v7, |v5|, v7
	v_fma_f32 v56, v6, v7, |v5|
; %bb.298:                              ;   in Loop: Header=BB30_12 Depth=1
	s_or_b64 exec, exec, s[8:9]
	v_accvgpr_read_b32 v9, a7
	v_accvgpr_read_b32 v6, a4
	;; [unrolled: 1-line block ×4, first 2 shown]
	v_cmp_nlt_f32_e64 s[8:9], |v6|, s39
                                        ; implicit-def: $vgpr57
	s_and_saveexec_b64 s[12:13], s[8:9]
	s_xor_b64 s[8:9], exec, s[12:13]
	s_cbranch_execz .LBB30_300
; %bb.299:                              ;   in Loop: Header=BB30_12 Depth=1
	v_add_f32_e64 v57, |v6|, |v6|
	v_mul_f32_e32 v59, 0x3fb8aa3b, v57
	v_rndne_f32_e32 v61, v59
	v_sub_f32_e32 v63, v59, v61
	v_fma_f32 v59, v57, s63, -v59
	v_fmac_f32_e32 v59, 0x32a5705f, v57
	v_add_f32_e32 v59, v63, v59
	v_cvt_i32_f32_e32 v61, v61
	v_exp_f32_e32 v59, v59
	v_cmp_ngt_f32_e32 vcc, s90, v57
	v_ldexp_f32 v59, v59, v61
	s_nop 0
	v_cndmask_b32_e32 v59, 0, v59, vcc
	v_cmp_nlt_f32_e32 vcc, s91, v57
	s_nop 1
	v_cndmask_b32_e32 v57, v246, v59, vcc
	v_add_f32_e32 v57, 1.0, v57
	v_rcp_f32_e32 v57, v57
	s_nop 0
	v_fma_f32 v57, v57, -2.0, 1.0
.LBB30_300:                             ;   in Loop: Header=BB30_12 Depth=1
	s_andn2_saveexec_b64 s[8:9], s[8:9]
; %bb.301:                              ;   in Loop: Header=BB30_12 Depth=1
	v_mul_f32_e32 v57, v6, v6
	v_fmamk_f32 v59, v57, 0xbbbac73d, v245
	v_fmaak_f32 v59, v57, v59, 0xbd5c1c4e
	v_fmaak_f32 v59, v57, v59, 0x3e088382
	;; [unrolled: 1-line block ×3, first 2 shown]
	v_mul_f32_e64 v59, |v6|, v59
	v_fma_f32 v57, v57, v59, |v6|
; %bb.302:                              ;   in Loop: Header=BB30_12 Depth=1
	s_or_b64 exec, exec, s[8:9]
	v_cmp_nlt_f32_e64 s[8:9], |v7|, s39
                                        ; implicit-def: $vgpr59
	s_and_saveexec_b64 s[12:13], s[8:9]
	s_xor_b64 s[8:9], exec, s[12:13]
	s_cbranch_execz .LBB30_304
; %bb.303:                              ;   in Loop: Header=BB30_12 Depth=1
	v_add_f32_e64 v59, |v7|, |v7|
	v_mul_f32_e32 v61, 0x3fb8aa3b, v59
	v_rndne_f32_e32 v63, v61
	v_sub_f32_e32 v67, v61, v63
	v_fma_f32 v61, v59, s63, -v61
	v_fmac_f32_e32 v61, 0x32a5705f, v59
	v_add_f32_e32 v61, v67, v61
	v_cvt_i32_f32_e32 v63, v63
	v_exp_f32_e32 v61, v61
	v_cmp_ngt_f32_e32 vcc, s90, v59
	v_ldexp_f32 v61, v61, v63
	s_nop 0
	v_cndmask_b32_e32 v61, 0, v61, vcc
	v_cmp_nlt_f32_e32 vcc, s91, v59
	s_nop 1
	v_cndmask_b32_e32 v59, v246, v61, vcc
	v_add_f32_e32 v59, 1.0, v59
	v_rcp_f32_e32 v59, v59
	s_nop 0
	v_fma_f32 v59, v59, -2.0, 1.0
.LBB30_304:                             ;   in Loop: Header=BB30_12 Depth=1
	s_andn2_saveexec_b64 s[8:9], s[8:9]
; %bb.305:                              ;   in Loop: Header=BB30_12 Depth=1
	v_mul_f32_e32 v59, v7, v7
	v_fmamk_f32 v61, v59, 0xbbbac73d, v245
	v_fmaak_f32 v61, v59, v61, 0xbd5c1c4e
	v_fmaak_f32 v61, v59, v61, 0x3e088382
	;; [unrolled: 1-line block ×3, first 2 shown]
	v_mul_f32_e64 v61, |v7|, v61
	v_fma_f32 v59, v59, v61, |v7|
; %bb.306:                              ;   in Loop: Header=BB30_12 Depth=1
	s_or_b64 exec, exec, s[8:9]
	v_cmp_nlt_f32_e64 s[8:9], |v8|, s39
                                        ; implicit-def: $vgpr61
	s_and_saveexec_b64 s[12:13], s[8:9]
	s_xor_b64 s[8:9], exec, s[12:13]
	s_cbranch_execz .LBB30_308
; %bb.307:                              ;   in Loop: Header=BB30_12 Depth=1
	v_add_f32_e64 v61, |v8|, |v8|
	v_mul_f32_e32 v63, 0x3fb8aa3b, v61
	v_rndne_f32_e32 v67, v63
	v_sub_f32_e32 v72, v63, v67
	v_fma_f32 v63, v61, s63, -v63
	v_fmac_f32_e32 v63, 0x32a5705f, v61
	v_add_f32_e32 v63, v72, v63
	v_cvt_i32_f32_e32 v67, v67
	v_exp_f32_e32 v63, v63
	v_cmp_ngt_f32_e32 vcc, s90, v61
	v_ldexp_f32 v63, v63, v67
	s_nop 0
	v_cndmask_b32_e32 v63, 0, v63, vcc
	v_cmp_nlt_f32_e32 vcc, s91, v61
	s_nop 1
	v_cndmask_b32_e32 v61, v246, v63, vcc
	v_add_f32_e32 v61, 1.0, v61
	v_rcp_f32_e32 v61, v61
	s_nop 0
	v_fma_f32 v61, v61, -2.0, 1.0
.LBB30_308:                             ;   in Loop: Header=BB30_12 Depth=1
	s_andn2_saveexec_b64 s[8:9], s[8:9]
; %bb.309:                              ;   in Loop: Header=BB30_12 Depth=1
	v_mul_f32_e32 v61, v8, v8
	v_fmamk_f32 v63, v61, 0xbbbac73d, v245
	v_fmaak_f32 v63, v61, v63, 0xbd5c1c4e
	v_fmaak_f32 v63, v61, v63, 0x3e088382
	;; [unrolled: 1-line block ×3, first 2 shown]
	v_mul_f32_e64 v63, |v8|, v63
	v_fma_f32 v61, v61, v63, |v8|
; %bb.310:                              ;   in Loop: Header=BB30_12 Depth=1
	s_or_b64 exec, exec, s[8:9]
	v_cmp_nlt_f32_e64 s[8:9], |v9|, s39
                                        ; implicit-def: $vgpr63
	s_and_saveexec_b64 s[12:13], s[8:9]
	s_xor_b64 s[8:9], exec, s[12:13]
	s_cbranch_execz .LBB30_312
; %bb.311:                              ;   in Loop: Header=BB30_12 Depth=1
	v_add_f32_e64 v63, |v9|, |v9|
	v_mul_f32_e32 v67, 0x3fb8aa3b, v63
	v_rndne_f32_e32 v72, v67
	v_sub_f32_e32 v73, v67, v72
	v_fma_f32 v67, v63, s63, -v67
	v_fmac_f32_e32 v67, 0x32a5705f, v63
	v_add_f32_e32 v67, v73, v67
	v_cvt_i32_f32_e32 v72, v72
	v_exp_f32_e32 v67, v67
	v_cmp_ngt_f32_e32 vcc, s90, v63
	v_ldexp_f32 v67, v67, v72
	s_nop 0
	v_cndmask_b32_e32 v67, 0, v67, vcc
	v_cmp_nlt_f32_e32 vcc, s91, v63
	s_nop 1
	v_cndmask_b32_e32 v63, v246, v67, vcc
	v_add_f32_e32 v63, 1.0, v63
	v_rcp_f32_e32 v63, v63
	s_nop 0
	v_fma_f32 v63, v63, -2.0, 1.0
.LBB30_312:                             ;   in Loop: Header=BB30_12 Depth=1
	s_andn2_saveexec_b64 s[8:9], s[8:9]
; %bb.313:                              ;   in Loop: Header=BB30_12 Depth=1
	v_mul_f32_e32 v63, v9, v9
	v_fmamk_f32 v67, v63, 0xbbbac73d, v245
	v_fmaak_f32 v67, v63, v67, 0xbd5c1c4e
	v_fmaak_f32 v67, v63, v67, 0x3e088382
	v_fmaak_f32 v67, v63, v67, 0xbeaaaa99
	v_mul_f32_e64 v67, |v9|, v67
	v_fma_f32 v63, v63, v67, |v9|
; %bb.314:                              ;   in Loop: Header=BB30_12 Depth=1
	s_or_b64 exec, exec, s[8:9]
	v_bfi_b32 v1, s92, v13, v1
	v_bfi_b32 v13, s92, v2, v3
	v_add_u32_e32 v2, 0x8400, v159
	ds_read2_b32 v[2:3], v2 offset1:1
	v_bfi_b32 v5, s92, v56, v5
	v_bfi_b32 v4, s92, v35, v4
	;; [unrolled: 1-line block ×4, first 2 shown]
	s_waitcnt lgkmcnt(0)
	v_fma_mix_f32 v4, s3, v4, v3 op_sel_hi:[0,0,1]
	v_fma_mix_f32 v3, s3, v5, v3 op_sel:[0,0,1] op_sel_hi:[0,0,1]
	ds_read_b32 v5, v166 offset:33792
	v_fma_mix_f32 v1, s3, v1, v2 op_sel_hi:[0,0,1]
	v_fma_mix_f32 v2, s3, v13, v2 op_sel:[0,0,1] op_sel_hi:[0,0,1]
	v_bfi_b32 v8, s92, v61, v8
	v_bfi_b32 v9, s92, v63, v9
	s_waitcnt lgkmcnt(0)
	v_fma_mix_f32 v13, s3, v6, v5 op_sel_hi:[0,0,1]
	ds_read_b32 v6, v167 offset:33792
	v_fma_mix_f32 v5, s3, v7, v5 op_sel:[0,0,1] op_sel_hi:[0,0,1]
	v_add_f32_e32 v7, 0x40051340, v2
	s_waitcnt lgkmcnt(0)
	v_fma_mix_f32 v35, s3, v8, v6 op_sel_hi:[0,0,1]
	v_fma_mix_f32 v9, s3, v9, v6 op_sel:[0,0,1] op_sel_hi:[0,0,1]
	v_add_f32_e32 v6, 0x40051340, v1
	v_max3_f32 v6, v247, v6, v7
	v_add_f32_e32 v7, 0x40051340, v4
	v_add_f32_e32 v8, 0x40051340, v3
	v_max3_f32 v6, v6, v7, v8
	v_add_f32_e32 v7, 0x40051340, v13
	;; [unrolled: 3-line block ×3, first 2 shown]
	v_add_f32_e32 v8, 0x40051340, v9
	v_max3_f32 v6, v6, v7, v8
	v_and_b32_e32 v7, 64, v211
	v_add_u32_e32 v8, 64, v7
	v_xor_b32_e32 v7, 32, v211
	v_cmp_lt_i32_e32 vcc, v7, v8
	s_nop 1
	v_cndmask_b32_e32 v7, v211, v7, vcc
	v_lshlrev_b32_e32 v7, 2, v7
	ds_bpermute_b32 v56, v7, v6
	s_waitcnt lgkmcnt(0)
	v_max_f32_e32 v56, v56, v56
	v_max_f32_e32 v6, v6, v56
	v_xor_b32_e32 v56, 16, v211
	v_cmp_lt_i32_e32 vcc, v56, v8
	s_nop 1
	v_cndmask_b32_e32 v8, v211, v56, vcc
	v_lshlrev_b32_e32 v8, 2, v8
	ds_bpermute_b32 v56, v8, v6
	s_waitcnt lgkmcnt(0)
	v_max_f32_e32 v56, v56, v56
	v_max_f32_e32 v6, v6, v56
	v_sub_f32_e32 v1, v1, v6
	v_mul_f32_e32 v56, 0x3fb8aa3b, v1
	v_fma_f32 v57, v1, s63, -v56
	v_rndne_f32_e32 v59, v56
	v_fmac_f32_e32 v57, 0x32a5705f, v1
	v_sub_f32_e32 v56, v56, v59
	v_add_f32_e32 v56, v56, v57
	v_exp_f32_e32 v56, v56
	v_cvt_i32_f32_e32 v57, v59
	v_cmp_ngt_f32_e32 vcc, s90, v1
	v_ldexp_f32 v56, v56, v57
	s_nop 0
	v_cndmask_b32_e32 v56, 0, v56, vcc
	v_cmp_nlt_f32_e32 vcc, s91, v1
	v_sub_f32_e32 v1, v2, v6
	v_mul_f32_e32 v2, 0x3fb8aa3b, v1
	v_cndmask_b32_e32 v118, v246, v56, vcc
	v_fma_f32 v56, v1, s63, -v2
	v_rndne_f32_e32 v57, v2
	v_fmac_f32_e32 v56, 0x32a5705f, v1
	v_sub_f32_e32 v2, v2, v57
	v_add_f32_e32 v2, v2, v56
	v_exp_f32_e32 v2, v2
	v_cvt_i32_f32_e32 v56, v57
	v_cmp_ngt_f32_e32 vcc, s90, v1
	v_ldexp_f32 v2, v2, v56
	s_nop 0
	v_cndmask_b32_e32 v2, 0, v2, vcc
	v_cmp_nlt_f32_e32 vcc, s91, v1
	s_nop 1
	v_cndmask_b32_e32 v119, v246, v2, vcc
	v_sub_f32_e32 v2, v4, v6
	v_mul_f32_e32 v4, 0x3fb8aa3b, v2
	v_fma_f32 v56, v2, s63, -v4
	v_rndne_f32_e32 v57, v4
	v_fmac_f32_e32 v56, 0x32a5705f, v2
	v_sub_f32_e32 v4, v4, v57
	v_add_f32_e32 v4, v4, v56
	v_exp_f32_e32 v4, v4
	v_cvt_i32_f32_e32 v56, v57
	v_cmp_ngt_f32_e32 vcc, s90, v2
	v_add_f32_e32 v1, v118, v119
	v_ldexp_f32 v4, v4, v56
	v_cndmask_b32_e32 v4, 0, v4, vcc
	v_cmp_nlt_f32_e32 vcc, s91, v2
	v_sub_f32_e32 v2, v3, v6
	v_mul_f32_e32 v3, 0x3fb8aa3b, v2
	v_cndmask_b32_e32 v120, v246, v4, vcc
	v_fma_f32 v4, v2, s63, -v3
	v_rndne_f32_e32 v56, v3
	v_fmac_f32_e32 v4, 0x32a5705f, v2
	v_sub_f32_e32 v3, v3, v56
	v_add_f32_e32 v3, v3, v4
	v_exp_f32_e32 v3, v3
	v_cvt_i32_f32_e32 v4, v56
	v_cmp_ngt_f32_e32 vcc, s90, v2
	v_add_f32_e32 v1, v120, v1
	v_ldexp_f32 v3, v3, v4
	v_cndmask_b32_e32 v3, 0, v3, vcc
	v_cmp_nlt_f32_e32 vcc, s91, v2
	v_sub_f32_e32 v2, v13, v6
	s_nop 0
	v_cndmask_b32_e32 v124, v246, v3, vcc
	v_mul_f32_e32 v3, 0x3fb8aa3b, v2
	v_fma_f32 v4, v2, s63, -v3
	v_rndne_f32_e32 v13, v3
	v_fmac_f32_e32 v4, 0x32a5705f, v2
	v_sub_f32_e32 v3, v3, v13
	v_add_f32_e32 v3, v3, v4
	v_exp_f32_e32 v3, v3
	v_cvt_i32_f32_e32 v4, v13
	v_cmp_ngt_f32_e32 vcc, s90, v2
	v_add_f32_e32 v1, v124, v1
	v_ldexp_f32 v3, v3, v4
	v_cndmask_b32_e32 v3, 0, v3, vcc
	v_cmp_nlt_f32_e32 vcc, s91, v2
	v_sub_f32_e32 v2, v5, v6
	s_nop 0
	v_cndmask_b32_e32 v125, v246, v3, vcc
	v_mul_f32_e32 v3, 0x3fb8aa3b, v2
	;; [unrolled: 16-line block ×4, first 2 shown]
	v_fma_f32 v4, v2, s63, -v3
	v_rndne_f32_e32 v5, v3
	v_fmac_f32_e32 v4, 0x32a5705f, v2
	v_sub_f32_e32 v3, v3, v5
	v_add_f32_e32 v3, v3, v4
	v_exp_f32_e32 v3, v3
	v_cvt_i32_f32_e32 v4, v5
	v_cmp_ngt_f32_e32 vcc, s90, v2
	v_add_f32_e32 v1, v127, v1
	v_ldexp_f32 v3, v3, v4
	v_cndmask_b32_e32 v3, 0, v3, vcc
	v_cmp_nlt_f32_e32 vcc, s91, v2
	s_nop 1
	v_cndmask_b32_e32 v72, v246, v3, vcc
	v_add_f32_e32 v9, v72, v1
	v_sub_f32_e32 v1, v247, v6
	v_mul_f32_e32 v2, 0x3fb8aa3b, v1
	v_fma_f32 v3, v1, s63, -v2
	v_rndne_f32_e32 v4, v2
	v_fmac_f32_e32 v3, 0x32a5705f, v1
	v_sub_f32_e32 v2, v2, v4
	v_add_f32_e32 v2, v2, v3
	v_exp_f32_e32 v2, v2
	v_cvt_i32_f32_e32 v3, v4
	v_cmp_ngt_f32_e32 vcc, s90, v1
	v_ldexp_f32 v2, v2, v3
	s_nop 0
	v_cndmask_b32_e32 v2, 0, v2, vcc
	v_cmp_nlt_f32_e32 vcc, s91, v1
	v_mul_hi_u32 v3, v122, s14
	s_nop 0
	v_cndmask_b32_e32 v2, v246, v2, vcc
	v_cmp_le_f32_e32 vcc, s93, v1
	s_nop 1
	v_cndmask_b32_e32 v1, 0, v2, vcc
	v_fmac_f32_e32 v9, v249, v1
	v_cvt_f16_f32_e32 v1, v1
	ds_bpermute_b32 v7, v7, v9
	v_cmp_ne_u64_e32 vcc, 0, v[114:115]
	s_and_b64 s[12:13], s[0:1], vcc
	v_mul_u32_u24_e32 v2, 0x10001, v1
	v_pk_mul_f16 v128, v207, v2
	v_pk_mul_f16 v73, v201, v2
	;; [unrolled: 1-line block ×32, first 2 shown]
	v_mul_lo_u32 v2, v122, s15
	v_add_u32_e32 v3, v3, v2
	v_mul_lo_u32 v2, v122, s14
	v_lshlrev_b64 v[2:3], 2, v[2:3]
	v_lshl_add_u64 v[2:3], v[116:117], 0, v[2:3]
	v_lshl_add_u64 v[4:5], v[36:37], 2, v[2:3]
	;; [unrolled: 1-line block ×11, first 2 shown]
	global_load_dwordx4 v[2:5], v[4:5], off
	v_lshl_add_u64 v[78:79], v[78:79], 0, v[16:17]
	v_lshl_add_u64 v[80:81], v[80:81], 0, v[16:17]
	;; [unrolled: 1-line block ×6, first 2 shown]
	v_cvt_f32_f16_e32 v16, v128
	v_cvt_f32_f16_sdwa v66, v128 dst_sel:DWORD dst_unused:UNUSED_PAD src0_sel:WORD_1
	v_cvt_f32_f16_e32 v68, v73
	v_cvt_f32_f16_sdwa v73, v73 dst_sel:DWORD dst_unused:UNUSED_PAD src0_sel:WORD_1
	v_accvgpr_write_b32 a0, v16
	v_accvgpr_write_b32 a1, v66
	;; [unrolled: 1-line block ×4, first 2 shown]
	s_waitcnt lgkmcnt(0)
	v_add_f32_e32 v7, v9, v7
	ds_bpermute_b32 v9, v8, v7
	s_waitcnt lgkmcnt(0)
	v_add_f32_e32 v7, v7, v9
	s_waitcnt vmcnt(0)
	ds_write_b128 v156, v[2:5]
	global_load_dwordx4 v[2:5], v[78:79], off
	s_waitcnt vmcnt(0)
	ds_write_b128 v213, v[2:5]
	global_load_dwordx4 v[2:5], v[80:81], off
	;; [unrolled: 3-line block ×7, first 2 shown]
	s_waitcnt vmcnt(0)
	ds_write_b128 v219, v[2:5]
	s_waitcnt lgkmcnt(0)
	s_barrier
	ds_read_u16 v2, v160 offset:528
	ds_read_u16 v3, v160 offset:1056
	ds_read_u16 v4, v161
	ds_read_u16 v80, v161 offset:32
	v_cvt_pk_f16_f32 v5, v120, v124
	s_waitcnt lgkmcnt(1)
	v_perm_b32 v3, v4, v3, s94
	ds_read_u16 v4, v160
	ds_read_u16 v81, v160 offset:32
	ds_read_u16 v68, v160 offset:16896
	;; [unrolled: 1-line block ×5, first 2 shown]
	s_waitcnt lgkmcnt(5)
	v_perm_b32 v2, v2, v4, s94
	v_cvt_pk_f16_f32 v4, v118, v119
	s_waitcnt lgkmcnt(0)
	v_perm_b32 v79, v79, v78, s94
	v_perm_b32 v78, v73, v68, s94
	v_mfma_f32_16x16x16_f16 a[0:3], v[2:3], v[4:5], a[0:3]
	s_nop 7
	v_accvgpr_read_b32 v2, a0
	v_accvgpr_read_b32 v3, a1
	;; [unrolled: 1-line block ×4, first 2 shown]
	v_cvt_f16_f32_e32 v2, v2
	v_cvt_f16_f32_e32 v3, v3
	;; [unrolled: 1-line block ×4, first 2 shown]
	v_cvt_f32_f16_e32 v116, v2
	v_cvt_f32_f16_e32 v117, v3
	;; [unrolled: 1-line block ×4, first 2 shown]
	v_cvt_pk_f16_f32 v3, v127, v72
	v_cvt_pk_f16_f32 v2, v125, v126
	v_accvgpr_write_b32 a0, v116
	v_accvgpr_write_b32 a1, v117
	;; [unrolled: 1-line block ×4, first 2 shown]
	v_cvt_f32_f16_e32 v116, v121
	v_cvt_f32_f16_sdwa v121, v121 dst_sel:DWORD dst_unused:UNUSED_PAD src0_sel:WORD_1
	v_mfma_f32_16x16x16_f16 a[0:3], v[78:79], v[2:3], a[0:3]
	v_cvt_f32_f16_e32 v78, v123
	v_cvt_f32_f16_sdwa v79, v123 dst_sel:DWORD dst_unused:UNUSED_PAD src0_sel:WORD_1
	s_nop 5
	v_accvgpr_read_b32 v16, a2
	v_accvgpr_read_b32 v66, a3
	v_cvt_f16_f32_e32 v16, v16
	v_cvt_f16_f32_e32 v66, v66
	v_accvgpr_read_b32 v117, a0
	v_accvgpr_read_b32 v118, a1
	v_accvgpr_write_b32 a0, v78
	v_perm_b32 v16, v66, v16, s94
	ds_read_u16 v66, v160 offset:560
	ds_read_u16 v68, v160 offset:1088
	v_accvgpr_write_b32 a1, v79
	v_accvgpr_write_b32 a2, v116
	v_accvgpr_write_b32 a3, v121
	s_waitcnt lgkmcnt(1)
	v_perm_b32 v72, v66, v81, s94
	s_waitcnt lgkmcnt(0)
	v_perm_b32 v73, v80, v68, s94
	ds_read_u16 v78, v160 offset:16928
	ds_read_u16 v79, v160 offset:17456
	;; [unrolled: 1-line block ×4, first 2 shown]
	v_mfma_f32_16x16x16_f16 a[0:3], v[72:73], v[4:5], a[0:3]
	v_cvt_f16_f32_e32 v119, v117
	v_cvt_f16_f32_e32 v120, v118
	v_perm_b32 v119, v120, v119, s94
	s_nop 4
	v_accvgpr_read_b32 v66, a0
	v_accvgpr_read_b32 v68, a1
	;; [unrolled: 1-line block ×4, first 2 shown]
	v_cvt_f16_f32_e32 v66, v66
	v_cvt_f16_f32_e32 v68, v68
	;; [unrolled: 1-line block ×4, first 2 shown]
	v_cvt_f32_f16_e32 v66, v66
	v_cvt_f32_f16_e32 v68, v68
	;; [unrolled: 1-line block ×4, first 2 shown]
	s_waitcnt lgkmcnt(0)
	v_perm_b32 v73, v81, v80, s94
	v_perm_b32 v72, v79, v78, s94
	v_accvgpr_write_b32 a0, v66
	v_accvgpr_write_b32 a1, v68
	;; [unrolled: 1-line block ×4, first 2 shown]
	v_cvt_f32_f16_e32 v78, v63
	v_cvt_f32_f16_sdwa v63, v63 dst_sel:DWORD dst_unused:UNUSED_PAD src0_sel:WORD_1
	v_mfma_f32_16x16x16_f16 a[0:3], v[72:73], v[2:3], a[0:3]
	v_cvt_f32_f16_e32 v79, v61
	v_cvt_f32_f16_sdwa v61, v61 dst_sel:DWORD dst_unused:UNUSED_PAD src0_sel:WORD_1
	v_cvt_f32_f16_e32 v80, v139
	v_cvt_f32_f16_sdwa v81, v139 dst_sel:DWORD dst_unused:UNUSED_PAD src0_sel:WORD_1
	s_nop 3
	v_accvgpr_read_b32 v66, a2
	v_accvgpr_read_b32 v68, a3
	v_cvt_f16_f32_e32 v66, v66
	v_cvt_f16_f32_e32 v68, v68
	v_accvgpr_read_b32 v122, a0
	v_accvgpr_read_b32 v123, a1
	v_accvgpr_write_b32 a0, v78
	v_perm_b32 v116, v68, v66, s94
	ds_read_u16 v66, v160 offset:64
	ds_read_u16 v68, v160 offset:592
	;; [unrolled: 1-line block ×4, first 2 shown]
	v_accvgpr_write_b32 a1, v63
	v_accvgpr_write_b32 a2, v79
	;; [unrolled: 1-line block ×3, first 2 shown]
	v_cvt_f16_f32_e32 v124, v122
	s_waitcnt lgkmcnt(0)
	v_perm_b32 v73, v73, v72, s94
	v_perm_b32 v72, v68, v66, s94
	v_cvt_f16_f32_e32 v125, v123
	v_perm_b32 v124, v125, v124, s94
	v_mfma_f32_16x16x16_f16 a[0:3], v[72:73], v[4:5], a[0:3]
	ds_read_u16 v72, v160 offset:16960
	ds_read_u16 v78, v160 offset:17488
	ds_read_u16 v73, v160 offset:18016
	ds_read_u16 v79, v161 offset:16960
	s_waitcnt lgkmcnt(2)
	v_perm_b32 v72, v78, v72, s94
	v_cvt_f32_f16_e32 v78, v59
	s_nop 0
	v_accvgpr_read_b32 v61, a0
	v_accvgpr_read_b32 v63, a1
	;; [unrolled: 1-line block ×4, first 2 shown]
	v_cvt_f16_f32_e32 v61, v61
	v_cvt_f16_f32_e32 v63, v63
	v_cvt_f16_f32_e32 v66, v66
	v_cvt_f16_f32_e32 v68, v68
	v_cvt_f32_f16_e32 v61, v61
	v_cvt_f32_f16_e32 v63, v63
	;; [unrolled: 1-line block ×4, first 2 shown]
	s_waitcnt lgkmcnt(0)
	v_perm_b32 v73, v79, v73, s94
	v_accvgpr_write_b32 a0, v61
	v_accvgpr_write_b32 a1, v63
	;; [unrolled: 1-line block ×4, first 2 shown]
	v_cvt_f32_f16_sdwa v59, v59 dst_sel:DWORD dst_unused:UNUSED_PAD src0_sel:WORD_1
	v_cvt_f32_f16_e32 v79, v57
	v_mfma_f32_16x16x16_f16 a[0:3], v[72:73], v[2:3], a[0:3]
	v_cvt_f32_f16_sdwa v57, v57 dst_sel:DWORD dst_unused:UNUSED_PAD src0_sel:WORD_1
	s_nop 6
	v_accvgpr_read_b32 v61, a2
	v_accvgpr_read_b32 v63, a3
	v_cvt_f16_f32_e32 v61, v61
	v_cvt_f16_f32_e32 v63, v63
	v_accvgpr_read_b32 v127, a0
	v_accvgpr_read_b32 v128, a1
	v_accvgpr_write_b32 a0, v78
	v_perm_b32 v121, v63, v61, s94
	ds_read_u16 v61, v160 offset:96
	ds_read_u16 v63, v160 offset:624
	ds_read_u16 v66, v160 offset:1152
	ds_read_u16 v68, v161 offset:96
	v_accvgpr_write_b32 a1, v59
	v_accvgpr_write_b32 a2, v79
	s_waitcnt lgkmcnt(2)
	v_perm_b32 v72, v63, v61, s94
	v_accvgpr_write_b32 a3, v57
	s_waitcnt lgkmcnt(0)
	v_perm_b32 v73, v68, v66, s94
	v_cvt_f32_f16_e32 v78, v146
	v_cvt_f32_f16_sdwa v79, v146 dst_sel:DWORD dst_unused:UNUSED_PAD src0_sel:WORD_1
	v_mfma_f32_16x16x16_f16 a[0:3], v[72:73], v[4:5], a[0:3]
	ds_read_u16 v66, v160 offset:16992
	ds_read_u16 v68, v160 offset:17520
	;; [unrolled: 1-line block ×4, first 2 shown]
	v_cvt_f16_f32_e32 v129, v127
	v_cvt_f16_f32_e32 v130, v128
	s_nop 1
	v_accvgpr_read_b32 v57, a0
	v_accvgpr_read_b32 v59, a1
	;; [unrolled: 1-line block ×4, first 2 shown]
	v_cvt_f16_f32_e32 v57, v57
	v_cvt_f16_f32_e32 v59, v59
	;; [unrolled: 1-line block ×4, first 2 shown]
	v_cvt_f32_f16_e32 v57, v57
	v_cvt_f32_f16_e32 v59, v59
	;; [unrolled: 1-line block ×4, first 2 shown]
	s_waitcnt lgkmcnt(0)
	v_perm_b32 v73, v73, v72, s94
	v_perm_b32 v72, v68, v66, s94
	v_accvgpr_write_b32 a0, v57
	v_accvgpr_write_b32 a1, v59
	;; [unrolled: 1-line block ×4, first 2 shown]
	v_cvt_f32_f16_e32 v66, v35
	v_cvt_f32_f16_sdwa v35, v35 dst_sel:DWORD dst_unused:UNUSED_PAD src0_sel:WORD_1
	v_mfma_f32_16x16x16_f16 a[0:3], v[72:73], v[2:3], a[0:3]
	v_cvt_f32_f16_e32 v68, v13
	v_cvt_f32_f16_sdwa v13, v13 dst_sel:DWORD dst_unused:UNUSED_PAD src0_sel:WORD_1
	v_perm_b32 v129, v130, v129, s94
	s_nop 4
	v_accvgpr_read_b32 v57, a2
	v_accvgpr_read_b32 v59, a3
	v_cvt_f16_f32_e32 v57, v57
	v_cvt_f16_f32_e32 v59, v59
	v_accvgpr_read_b32 v134, a0
	v_accvgpr_read_b32 v135, a1
	v_accvgpr_write_b32 a0, v66
	v_perm_b32 v126, v59, v57, s94
	ds_read_u16 v57, v160 offset:128
	ds_read_u16 v59, v160 offset:656
	;; [unrolled: 1-line block ×4, first 2 shown]
	v_accvgpr_write_b32 a1, v35
	v_accvgpr_write_b32 a2, v68
	s_waitcnt lgkmcnt(2)
	v_perm_b32 v72, v59, v57, s94
	v_accvgpr_write_b32 a3, v13
	s_waitcnt lgkmcnt(0)
	v_perm_b32 v73, v63, v61, s94
	ds_read_u16 v61, v160 offset:17024
	ds_read_u16 v63, v160 offset:17552
	;; [unrolled: 1-line block ×4, first 2 shown]
	v_mfma_f32_16x16x16_f16 a[0:3], v[72:73], v[4:5], a[0:3]
	s_waitcnt lgkmcnt(0)
	v_perm_b32 v73, v68, v66, s94
	v_perm_b32 v72, v63, v61, s94
	v_cvt_f32_f16_e32 v61, v56
	v_cvt_f32_f16_sdwa v63, v56 dst_sel:DWORD dst_unused:UNUSED_PAD src0_sel:WORD_1
	v_cvt_f32_f16_e32 v66, v1
	s_nop 1
	v_accvgpr_read_b32 v13, a0
	v_accvgpr_read_b32 v35, a1
	;; [unrolled: 1-line block ×4, first 2 shown]
	v_cvt_f16_f32_e32 v13, v13
	v_cvt_f16_f32_e32 v35, v35
	;; [unrolled: 1-line block ×4, first 2 shown]
	v_cvt_f32_f16_e32 v13, v13
	v_cvt_f32_f16_e32 v35, v35
	;; [unrolled: 1-line block ×4, first 2 shown]
	v_accvgpr_write_b32 a0, v13
	v_accvgpr_write_b32 a1, v35
	;; [unrolled: 1-line block ×4, first 2 shown]
	v_cvt_f32_f16_sdwa v1, v1 dst_sel:DWORD dst_unused:UNUSED_PAD src0_sel:WORD_1
	v_cvt_f16_f32_e32 v136, v134
	v_mfma_f32_16x16x16_f16 a[0:3], v[72:73], v[2:3], a[0:3]
	v_cvt_f32_f16_sdwa v72, v151 dst_sel:DWORD dst_unused:UNUSED_PAD src0_sel:WORD_1
	v_cvt_f16_f32_e32 v137, v135
	s_nop 5
	v_accvgpr_read_b32 v13, a2
	v_accvgpr_read_b32 v35, a3
	v_cvt_f16_f32_e32 v13, v13
	v_cvt_f16_f32_e32 v35, v35
	v_accvgpr_read_b32 v141, a0
	v_accvgpr_read_b32 v142, a1
	v_accvgpr_write_b32 a0, v61
	v_perm_b32 v131, v35, v13, s94
	ds_read_u16 v13, v160 offset:160
	ds_read_u16 v35, v160 offset:688
	;; [unrolled: 1-line block ×4, first 2 shown]
	v_accvgpr_write_b32 a1, v63
	v_accvgpr_write_b32 a2, v66
	s_waitcnt lgkmcnt(2)
	v_perm_b32 v56, v35, v13, s94
	v_accvgpr_write_b32 a3, v1
	s_waitcnt lgkmcnt(0)
	v_perm_b32 v57, v59, v57, s94
	v_cvt_f16_f32_e32 v143, v141
	v_cvt_f16_f32_e32 v144, v142
	v_mfma_f32_16x16x16_f16 a[0:3], v[56:57], v[4:5], a[0:3]
	ds_read_u16 v59, v160 offset:17056
	ds_read_u16 v61, v160 offset:17584
	;; [unrolled: 1-line block ×4, first 2 shown]
	s_waitcnt lgkmcnt(0)
	v_perm_b32 v57, v63, v57, s94
	s_nop 1
	v_accvgpr_read_b32 v1, a0
	v_accvgpr_read_b32 v13, a1
	;; [unrolled: 1-line block ×4, first 2 shown]
	v_cvt_f16_f32_e32 v1, v1
	v_cvt_f16_f32_e32 v13, v13
	;; [unrolled: 1-line block ×4, first 2 shown]
	v_cvt_f32_f16_e32 v1, v1
	v_cvt_f32_f16_e32 v13, v13
	;; [unrolled: 1-line block ×4, first 2 shown]
	v_perm_b32 v56, v61, v59, s94
	v_accvgpr_write_b32 a0, v1
	v_accvgpr_write_b32 a1, v13
	;; [unrolled: 1-line block ×4, first 2 shown]
	v_cvt_f32_f16_e32 v59, v67
	v_cvt_f32_f16_sdwa v61, v67 dst_sel:DWORD dst_unused:UNUSED_PAD src0_sel:WORD_1
	v_mfma_f32_16x16x16_f16 a[0:3], v[56:57], v[2:3], a[0:3]
	v_cvt_f32_f16_e32 v63, v64
	v_cvt_f32_f16_sdwa v64, v64 dst_sel:DWORD dst_unused:UNUSED_PAD src0_sel:WORD_1
	v_cvt_f32_f16_sdwa v67, v177 dst_sel:DWORD dst_unused:UNUSED_PAD src0_sel:WORD_1
	s_nop 4
	v_accvgpr_read_b32 v1, a2
	v_accvgpr_read_b32 v13, a3
	v_cvt_f16_f32_e32 v1, v1
	v_cvt_f16_f32_e32 v13, v13
	v_accvgpr_read_b32 v148, a0
	v_accvgpr_read_b32 v149, a1
	v_accvgpr_write_b32 a0, v59
	v_perm_b32 v138, v13, v1, s94
	ds_read_u16 v1, v160 offset:192
	ds_read_u16 v13, v160 offset:720
	;; [unrolled: 1-line block ×4, first 2 shown]
	v_accvgpr_write_b32 a1, v61
	v_accvgpr_write_b32 a2, v63
	;; [unrolled: 1-line block ×3, first 2 shown]
	v_cvt_f16_f32_e32 v68, v148
	s_waitcnt lgkmcnt(0)
	v_perm_b32 v57, v56, v35, s94
	v_perm_b32 v56, v13, v1, s94
	v_cvt_f16_f32_e32 v150, v149
	v_perm_b32 v68, v150, v68, s94
	v_mfma_f32_16x16x16_f16 a[0:3], v[56:57], v[4:5], a[0:3]
	ds_read_u16 v59, v160 offset:17088
	ds_read_u16 v61, v160 offset:17616
	;; [unrolled: 1-line block ×4, first 2 shown]
	s_waitcnt lgkmcnt(0)
	v_perm_b32 v57, v63, v57, s94
	s_nop 1
	v_accvgpr_read_b32 v1, a0
	v_accvgpr_read_b32 v13, a1
	;; [unrolled: 1-line block ×4, first 2 shown]
	v_cvt_f16_f32_e32 v1, v1
	v_cvt_f16_f32_e32 v13, v13
	;; [unrolled: 1-line block ×4, first 2 shown]
	v_cvt_f32_f16_e32 v1, v1
	v_cvt_f32_f16_e32 v13, v13
	;; [unrolled: 1-line block ×4, first 2 shown]
	v_perm_b32 v56, v61, v59, s94
	v_accvgpr_write_b32 a0, v1
	v_accvgpr_write_b32 a1, v13
	;; [unrolled: 1-line block ×4, first 2 shown]
	v_cvt_f32_f16_e32 v59, v178
	v_cvt_f32_f16_sdwa v61, v178 dst_sel:DWORD dst_unused:UNUSED_PAD src0_sel:WORD_1
	v_mfma_f32_16x16x16_f16 a[0:3], v[56:57], v[2:3], a[0:3]
	v_cvt_f32_f16_e32 v63, v177
	s_nop 6
	v_accvgpr_read_b32 v1, a2
	v_accvgpr_read_b32 v13, a3
	v_cvt_f16_f32_e32 v1, v1
	v_cvt_f16_f32_e32 v13, v13
	v_accvgpr_read_b32 v66, a0
	v_accvgpr_read_b32 v153, a1
	v_accvgpr_write_b32 a0, v59
	v_perm_b32 v145, v13, v1, s94
	ds_read_u16 v1, v160 offset:224
	ds_read_u16 v13, v160 offset:752
	;; [unrolled: 1-line block ×4, first 2 shown]
	v_accvgpr_write_b32 a1, v61
	v_accvgpr_write_b32 a2, v63
	;; [unrolled: 1-line block ×3, first 2 shown]
	v_cvt_f16_f32_e32 v64, v66
	s_waitcnt lgkmcnt(0)
	v_perm_b32 v57, v56, v35, s94
	v_perm_b32 v56, v13, v1, s94
	v_cvt_f16_f32_e32 v154, v153
	v_perm_b32 v64, v154, v64, s94
	v_mfma_f32_16x16x16_f16 a[0:3], v[56:57], v[4:5], a[0:3]
	s_nop 7
	v_accvgpr_read_b32 v56, a3
	v_accvgpr_read_b32 v1, a0
	;; [unrolled: 1-line block ×4, first 2 shown]
	v_cvt_f16_f32_e32 v57, v56
	ds_read_u16 v56, v160 offset:17120
	ds_read_u16 v59, v160 offset:17648
	;; [unrolled: 1-line block ×4, first 2 shown]
	v_cvt_f16_f32_e32 v1, v1
	v_cvt_f16_f32_e32 v13, v13
	;; [unrolled: 1-line block ×3, first 2 shown]
	v_cvt_f32_f16_e32 v67, v57
	v_cvt_f32_f16_e32 v1, v1
	;; [unrolled: 1-line block ×4, first 2 shown]
	s_waitcnt lgkmcnt(0)
	v_perm_b32 v57, v63, v61, s94
	v_perm_b32 v56, v59, v56, s94
	v_accvgpr_write_b32 a0, v1
	v_accvgpr_write_b32 a1, v13
	;; [unrolled: 1-line block ×4, first 2 shown]
	v_cvt_f32_f16_e32 v59, v188
	v_cvt_f32_f16_sdwa v61, v188 dst_sel:DWORD dst_unused:UNUSED_PAD src0_sel:WORD_1
	v_mfma_f32_16x16x16_f16 a[0:3], v[56:57], v[2:3], a[0:3]
	v_cvt_f32_f16_e32 v63, v58
	v_cvt_f32_f16_sdwa v58, v58 dst_sel:DWORD dst_unused:UNUSED_PAD src0_sel:WORD_1
	v_cvt_f32_f16_sdwa v67, v155 dst_sel:DWORD dst_unused:UNUSED_PAD src0_sel:WORD_1
	s_nop 4
	v_accvgpr_read_b32 v1, a2
	v_accvgpr_read_b32 v13, a3
	v_cvt_f16_f32_e32 v1, v1
	v_cvt_f16_f32_e32 v13, v13
	v_accvgpr_read_b32 v181, a0
	v_accvgpr_read_b32 v183, a1
	v_accvgpr_write_b32 a0, v59
	v_perm_b32 v184, v13, v1, s94
	ds_read_u16 v1, v160 offset:256
	ds_read_u16 v13, v160 offset:784
	ds_read_u16 v35, v160 offset:1312
	ds_read_u16 v56, v161 offset:256
	v_accvgpr_write_b32 a1, v61
	v_accvgpr_write_b32 a2, v63
	v_accvgpr_write_b32 a3, v58
	v_cvt_f16_f32_e32 v176, v181
	s_waitcnt lgkmcnt(0)
	v_perm_b32 v57, v56, v35, s94
	v_perm_b32 v56, v13, v1, s94
	v_cvt_f16_f32_e32 v186, v183
	s_nop 0
	v_mfma_f32_16x16x16_f16 a[0:3], v[56:57], v[4:5], a[0:3]
	ds_read_u16 v58, v160 offset:17152
	ds_read_u16 v59, v160 offset:17680
	ds_read_u16 v57, v160 offset:18208
	ds_read_u16 v61, v161 offset:17152
	s_waitcnt lgkmcnt(0)
	v_perm_b32 v57, v61, v57, s94
	s_nop 1
	v_accvgpr_read_b32 v1, a0
	v_accvgpr_read_b32 v13, a1
	v_accvgpr_read_b32 v35, a2
	v_accvgpr_read_b32 v56, a3
	v_cvt_f16_f32_e32 v1, v1
	v_cvt_f16_f32_e32 v13, v13
	v_cvt_f16_f32_e32 v35, v35
	v_cvt_f16_f32_e32 v56, v56
	v_cvt_f32_f16_e32 v1, v1
	v_cvt_f32_f16_e32 v13, v13
	v_cvt_f32_f16_e32 v35, v35
	v_cvt_f32_f16_e32 v63, v56
	v_perm_b32 v56, v59, v58, s94
	v_accvgpr_write_b32 a0, v1
	v_accvgpr_write_b32 a1, v13
	v_accvgpr_write_b32 a2, v35
	v_accvgpr_write_b32 a3, v63
	v_cvt_f32_f16_e32 v59, v179
	v_cvt_f32_f16_sdwa v61, v179 dst_sel:DWORD dst_unused:UNUSED_PAD src0_sel:WORD_1
	v_mfma_f32_16x16x16_f16 a[0:3], v[56:57], v[2:3], a[0:3]
	v_cvt_f32_f16_e32 v63, v60
	v_cvt_f32_f16_sdwa v60, v60 dst_sel:DWORD dst_unused:UNUSED_PAD src0_sel:WORD_1
	s_nop 5
	v_accvgpr_read_b32 v1, a2
	v_accvgpr_read_b32 v13, a3
	v_cvt_f16_f32_e32 v1, v1
	v_cvt_f16_f32_e32 v13, v13
	v_accvgpr_read_b32 v187, a0
	v_accvgpr_read_b32 v188, a1
	v_accvgpr_write_b32 a0, v59
	v_perm_b32 v58, v13, v1, s94
	ds_read_u16 v1, v160 offset:288
	ds_read_u16 v13, v160 offset:816
	ds_read_u16 v35, v160 offset:1344
	ds_read_u16 v56, v161 offset:288
	v_accvgpr_write_b32 a1, v61
	v_accvgpr_write_b32 a2, v63
	v_accvgpr_write_b32 a3, v60
	v_cvt_f16_f32_e32 v189, v187
	s_waitcnt lgkmcnt(0)
	v_perm_b32 v57, v56, v35, s94
	v_perm_b32 v56, v13, v1, s94
	v_cvt_f16_f32_e32 v190, v188
	s_nop 0
	v_mfma_f32_16x16x16_f16 a[0:3], v[56:57], v[4:5], a[0:3]
	ds_read_u16 v59, v160 offset:17184
	ds_read_u16 v60, v160 offset:17712
	ds_read_u16 v57, v160 offset:18240
	ds_read_u16 v61, v161 offset:17184
	s_waitcnt lgkmcnt(0)
	v_perm_b32 v57, v61, v57, s94
	s_nop 1
	v_accvgpr_read_b32 v1, a0
	v_accvgpr_read_b32 v13, a1
	v_accvgpr_read_b32 v35, a2
	v_accvgpr_read_b32 v56, a3
	v_cvt_f16_f32_e32 v1, v1
	v_cvt_f16_f32_e32 v13, v13
	v_cvt_f16_f32_e32 v35, v35
	v_cvt_f16_f32_e32 v56, v56
	v_cvt_f32_f16_e32 v1, v1
	v_cvt_f32_f16_e32 v13, v13
	v_cvt_f32_f16_e32 v35, v35
	v_cvt_f32_f16_e32 v63, v56
	v_perm_b32 v56, v60, v59, s94
	v_accvgpr_write_b32 a0, v1
	v_accvgpr_write_b32 a1, v13
	v_accvgpr_write_b32 a2, v35
	v_accvgpr_write_b32 a3, v63
	v_cvt_f32_f16_e32 v59, v182
	v_cvt_f32_f16_sdwa v61, v182 dst_sel:DWORD dst_unused:UNUSED_PAD src0_sel:WORD_1
	v_mfma_f32_16x16x16_f16 a[0:3], v[56:57], v[2:3], a[0:3]
	v_cvt_f32_f16_e32 v63, v62
	;; [unrolled: 52-line block ×3, first 2 shown]
	s_nop 6
	v_accvgpr_read_b32 v1, a2
	v_accvgpr_read_b32 v13, a3
	v_cvt_f16_f32_e32 v1, v1
	v_cvt_f16_f32_e32 v13, v13
	v_accvgpr_read_b32 v182, a0
	v_accvgpr_read_b32 v199, a1
	v_accvgpr_write_b32 a0, v59
	v_perm_b32 v62, v13, v1, s94
	ds_read_u16 v1, v160 offset:352
	ds_read_u16 v13, v160 offset:880
	;; [unrolled: 1-line block ×4, first 2 shown]
	v_accvgpr_write_b32 a1, v61
	v_accvgpr_write_b32 a2, v63
	;; [unrolled: 1-line block ×3, first 2 shown]
	v_cvt_f16_f32_e32 v177, v182
	s_waitcnt lgkmcnt(0)
	v_perm_b32 v57, v56, v35, s94
	v_perm_b32 v56, v13, v1, s94
	v_cvt_f16_f32_e32 v178, v199
	s_nop 0
	v_mfma_f32_16x16x16_f16 a[0:3], v[56:57], v[4:5], a[0:3]
	ds_read_u16 v59, v160 offset:17248
	ds_read_u16 v61, v160 offset:17776
	;; [unrolled: 1-line block ×4, first 2 shown]
	s_waitcnt lgkmcnt(0)
	v_perm_b32 v57, v63, v57, s94
	s_nop 1
	v_accvgpr_read_b32 v1, a0
	v_accvgpr_read_b32 v13, a1
	;; [unrolled: 1-line block ×4, first 2 shown]
	v_cvt_f16_f32_e32 v1, v1
	v_cvt_f16_f32_e32 v13, v13
	;; [unrolled: 1-line block ×4, first 2 shown]
	v_cvt_f32_f16_e32 v1, v1
	v_cvt_f32_f16_e32 v13, v13
	v_cvt_f32_f16_e32 v35, v35
	v_cvt_f32_f16_e32 v67, v56
	v_perm_b32 v56, v61, v59, s94
	v_accvgpr_write_b32 a0, v1
	v_accvgpr_write_b32 a1, v13
	;; [unrolled: 1-line block ×4, first 2 shown]
	v_cvt_f32_f16_e32 v59, v152
	v_cvt_f32_f16_sdwa v61, v152 dst_sel:DWORD dst_unused:UNUSED_PAD src0_sel:WORD_1
	v_mfma_f32_16x16x16_f16 a[0:3], v[56:57], v[2:3], a[0:3]
	v_cvt_f32_f16_e32 v63, v151
	s_nop 6
	v_accvgpr_read_b32 v1, a2
	v_accvgpr_read_b32 v13, a3
	v_cvt_f16_f32_e32 v1, v1
	v_cvt_f16_f32_e32 v13, v13
	v_accvgpr_read_b32 v180, a0
	v_accvgpr_read_b32 v185, a1
	v_accvgpr_write_b32 a0, v59
	v_perm_b32 v155, v13, v1, s94
	ds_read_u16 v1, v160 offset:384
	ds_read_u16 v13, v160 offset:912
	;; [unrolled: 1-line block ×4, first 2 shown]
	v_accvgpr_write_b32 a1, v61
	v_accvgpr_write_b32 a2, v63
	;; [unrolled: 1-line block ×3, first 2 shown]
	v_cvt_f16_f32_e32 v67, v180
	s_waitcnt lgkmcnt(0)
	v_perm_b32 v57, v56, v35, s94
	v_perm_b32 v56, v13, v1, s94
	v_cvt_f16_f32_e32 v175, v185
	s_nop 0
	v_mfma_f32_16x16x16_f16 a[0:3], v[56:57], v[4:5], a[0:3]
	ds_read_u16 v59, v160 offset:17280
	ds_read_u16 v61, v160 offset:17808
	;; [unrolled: 1-line block ×4, first 2 shown]
	s_waitcnt lgkmcnt(0)
	v_perm_b32 v57, v63, v57, s94
	s_nop 1
	v_accvgpr_read_b32 v1, a0
	v_accvgpr_read_b32 v13, a1
	;; [unrolled: 1-line block ×4, first 2 shown]
	v_cvt_f16_f32_e32 v1, v1
	v_cvt_f16_f32_e32 v13, v13
	;; [unrolled: 1-line block ×4, first 2 shown]
	v_cvt_f32_f16_e32 v1, v1
	v_cvt_f32_f16_e32 v13, v13
	;; [unrolled: 1-line block ×4, first 2 shown]
	v_perm_b32 v56, v61, v59, s94
	v_accvgpr_write_b32 a0, v1
	v_accvgpr_write_b32 a1, v13
	;; [unrolled: 1-line block ×4, first 2 shown]
	v_cvt_f32_f16_e32 v61, v147
	v_cvt_f32_f16_sdwa v63, v147 dst_sel:DWORD dst_unused:UNUSED_PAD src0_sel:WORD_1
	v_mfma_f32_16x16x16_f16 a[0:3], v[56:57], v[2:3], a[0:3]
	s_nop 7
	v_accvgpr_read_b32 v13, a2
	v_accvgpr_read_b32 v35, a3
	v_cvt_f16_f32_e32 v13, v13
	v_cvt_f16_f32_e32 v35, v35
	v_accvgpr_read_b32 v152, a0
	v_accvgpr_read_b32 v56, a1
	v_accvgpr_write_b32 a0, v61
	v_perm_b32 v151, v35, v13, s94
	ds_read_u16 v13, v160 offset:416
	ds_read_u16 v35, v160 offset:944
	;; [unrolled: 1-line block ×4, first 2 shown]
	v_accvgpr_write_b32 a1, v63
	v_accvgpr_write_b32 a2, v78
	s_waitcnt lgkmcnt(2)
	v_perm_b32 v72, v35, v13, s94
	v_accvgpr_write_b32 a3, v79
	s_waitcnt lgkmcnt(0)
	v_perm_b32 v73, v59, v57, s94
	v_cvt_f32_f16_e32 v78, v140
	v_cvt_f32_f16_sdwa v79, v140 dst_sel:DWORD dst_unused:UNUSED_PAD src0_sel:WORD_1
	v_mfma_f32_16x16x16_f16 a[0:3], v[72:73], v[4:5], a[0:3]
	ds_read_u16 v61, v160 offset:17312
	ds_read_u16 v63, v160 offset:17840
	;; [unrolled: 1-line block ×4, first 2 shown]
	v_cvt_f16_f32_e32 v1, v152
	v_cvt_f16_f32_e32 v198, v56
	s_nop 1
	v_accvgpr_read_b32 v13, a0
	v_accvgpr_read_b32 v35, a1
	;; [unrolled: 1-line block ×4, first 2 shown]
	v_cvt_f16_f32_e32 v13, v13
	v_cvt_f16_f32_e32 v35, v35
	;; [unrolled: 1-line block ×4, first 2 shown]
	v_cvt_f32_f16_e32 v13, v13
	v_cvt_f32_f16_e32 v35, v35
	v_cvt_f32_f16_e32 v57, v57
	v_cvt_f32_f16_e32 v59, v59
	s_waitcnt lgkmcnt(0)
	v_perm_b32 v73, v73, v72, s94
	v_perm_b32 v72, v63, v61, s94
	v_accvgpr_write_b32 a0, v13
	v_accvgpr_write_b32 a1, v35
	;; [unrolled: 1-line block ×4, first 2 shown]
	v_perm_b32 v1, v198, v1, s94
	s_nop 0
	v_mfma_f32_16x16x16_f16 a[0:3], v[72:73], v[2:3], a[0:3]
	s_nop 7
	v_accvgpr_read_b32 v57, a2
	v_accvgpr_read_b32 v59, a3
	v_cvt_f16_f32_e32 v57, v57
	v_cvt_f16_f32_e32 v59, v59
	v_accvgpr_read_b32 v13, a0
	v_accvgpr_read_b32 v35, a1
	v_accvgpr_write_b32 a0, v78
	v_perm_b32 v146, v59, v57, s94
	ds_read_u16 v57, v160 offset:448
	ds_read_u16 v59, v160 offset:976
	;; [unrolled: 1-line block ×4, first 2 shown]
	v_accvgpr_write_b32 a1, v79
	v_accvgpr_write_b32 a2, v80
	s_waitcnt lgkmcnt(2)
	v_perm_b32 v72, v59, v57, s94
	v_accvgpr_write_b32 a3, v81
	s_waitcnt lgkmcnt(0)
	v_perm_b32 v73, v63, v61, s94
	v_cvt_f32_f16_e32 v80, v132
	v_cvt_f32_f16_sdwa v81, v132 dst_sel:DWORD dst_unused:UNUSED_PAD src0_sel:WORD_1
	v_mfma_f32_16x16x16_f16 a[0:3], v[72:73], v[4:5], a[0:3]
	ds_read_u16 v72, v160 offset:17344
	ds_read_u16 v78, v160 offset:17872
	;; [unrolled: 1-line block ×4, first 2 shown]
	v_cvt_f16_f32_e32 v147, v13
	v_cvt_f16_f32_e32 v200, v35
	s_nop 1
	v_accvgpr_read_b32 v57, a0
	v_accvgpr_read_b32 v59, a1
	v_accvgpr_read_b32 v61, a2
	v_accvgpr_read_b32 v63, a3
	v_cvt_f16_f32_e32 v57, v57
	v_cvt_f16_f32_e32 v59, v59
	;; [unrolled: 1-line block ×4, first 2 shown]
	v_cvt_f32_f16_e32 v57, v57
	v_cvt_f32_f16_e32 v59, v59
	;; [unrolled: 1-line block ×4, first 2 shown]
	s_waitcnt lgkmcnt(0)
	v_perm_b32 v73, v79, v73, s94
	v_perm_b32 v72, v78, v72, s94
	v_accvgpr_write_b32 a0, v57
	v_accvgpr_write_b32 a1, v59
	;; [unrolled: 1-line block ×4, first 2 shown]
	v_cvt_f32_f16_e32 v78, v133
	v_cvt_f32_f16_sdwa v79, v133 dst_sel:DWORD dst_unused:UNUSED_PAD src0_sel:WORD_1
	v_mfma_f32_16x16x16_f16 a[0:3], v[72:73], v[2:3], a[0:3]
	s_nop 7
	v_accvgpr_read_b32 v61, a2
	v_accvgpr_read_b32 v63, a3
	v_cvt_f16_f32_e32 v61, v61
	v_cvt_f16_f32_e32 v63, v63
	v_accvgpr_read_b32 v140, a0
	v_accvgpr_read_b32 v201, a1
	v_accvgpr_write_b32 a0, v78
	v_perm_b32 v139, v63, v61, s94
	ds_read_u16 v61, v160 offset:480
	ds_read_u16 v63, v160 offset:1008
	;; [unrolled: 1-line block ×4, first 2 shown]
	v_accvgpr_write_b32 a1, v79
	v_accvgpr_write_b32 a2, v80
	;; [unrolled: 1-line block ×3, first 2 shown]
	v_cvt_f16_f32_e32 v57, v140
	s_waitcnt lgkmcnt(0)
	v_perm_b32 v73, v73, v72, s94
	v_perm_b32 v72, v63, v61, s94
	v_cvt_f16_f32_e32 v59, v201
	v_perm_b32 v9, v59, v57, s94
	v_mfma_f32_16x16x16_f16 a[0:3], v[72:73], v[4:5], a[0:3]
	v_perm_b32 v57, v200, v147, s94
	v_perm_b32 v59, v175, v67, s94
	;; [unrolled: 1-line block ×3, first 2 shown]
	s_nop 4
	v_accvgpr_read_b32 v63, a3
	v_accvgpr_read_b32 v4, a0
	;; [unrolled: 1-line block ×4, first 2 shown]
	v_cvt_f16_f32_e32 v132, v63
	ds_read_u16 v63, v160 offset:17376
	ds_read_u16 v133, v160 offset:17904
	;; [unrolled: 1-line block ×4, first 2 shown]
	v_cvt_f16_f32_e32 v4, v4
	v_cvt_f16_f32_e32 v5, v5
	;; [unrolled: 1-line block ×3, first 2 shown]
	v_cvt_f32_f16_e32 v78, v132
	v_cvt_f32_f16_e32 v72, v4
	;; [unrolled: 1-line block ×4, first 2 shown]
	s_waitcnt lgkmcnt(0)
	v_perm_b32 v5, v174, v173, s94
	v_perm_b32 v4, v133, v63, s94
	v_accvgpr_write_b32 a0, v72
	v_accvgpr_write_b32 a1, v73
	;; [unrolled: 1-line block ×4, first 2 shown]
	v_perm_b32 v72, v186, v176, s94
	v_perm_b32 v73, v144, v143, s94
	v_mfma_f32_16x16x16_f16 a[0:3], v[4:5], v[2:3], a[0:3]
	v_perm_b32 v132, v137, v136, s94
	s_barrier
	s_nop 5
	v_accvgpr_read_b32 v2, a0
	v_accvgpr_read_b32 v3, a1
	;; [unrolled: 1-line block ×4, first 2 shown]
	v_cvt_f16_f32_e32 v5, v2
	v_cvt_f16_f32_e32 v61, v3
	;; [unrolled: 1-line block ×4, first 2 shown]
	v_perm_b32 v5, v61, v5, s94
	v_perm_b32 v61, v178, v177, s94
	;; [unrolled: 1-line block ×4, first 2 shown]
	s_and_saveexec_b64 s[8:9], s[12:13]
	s_cbranch_execz .LBB30_316
; %bb.315:                              ;   in Loop: Header=BB30_12 Depth=1
	v_lshlrev_b32_e32 v1, 2, v70
	v_readfirstlane_b32 s12, v114
	v_readfirstlane_b32 s13, v115
	v_cvt_pk_f16_f32 v13, v13, v35
	v_max_f32_e32 v35, v6, v6
	v_cvt_pk_f16_f32 v2, v2, v3
	v_cvt_pk_f16_f32 v5, v117, v118
	;; [unrolled: 1-line block ×3, first 2 shown]
	global_load_dword v1, v1, s[12:13]
	v_cvt_pk_f16_f32 v57, v127, v128
	v_cvt_pk_f16_f32 v59, v134, v135
	;; [unrolled: 1-line block ×12, first 2 shown]
	s_waitcnt vmcnt(0)
	v_max_f32_e32 v68, v1, v1
	v_max_f32_e32 v78, v35, v68
	v_sub_f32_e32 v6, v6, v78
	v_sub_f32_e32 v1, v1, v78
	v_mul_f32_e32 v35, 0x3fb8aa3b, v6
	v_mul_f32_e32 v68, 0x3fb8aa3b, v1
	v_fma_f32 v72, v6, s63, -v35
	v_rndne_f32_e32 v73, v35
	v_fma_f32 v79, v1, s63, -v68
	v_rndne_f32_e32 v115, v68
	v_fmac_f32_e32 v72, 0x32a5705f, v6
	v_sub_f32_e32 v35, v35, v73
	v_fmac_f32_e32 v79, 0x32a5705f, v1
	v_sub_f32_e32 v68, v68, v115
	v_add_f32_e32 v35, v35, v72
	v_cvt_i32_f32_e32 v73, v73
	v_add_f32_e32 v68, v68, v79
	v_exp_f32_e32 v35, v35
	v_cvt_i32_f32_e32 v115, v115
	v_exp_f32_e32 v68, v68
	v_cmp_ngt_f32_e32 vcc, s90, v6
	v_ldexp_f32 v3, v35, v73
	v_ldexp_f32 v35, v68, v115
	v_cndmask_b32_e32 v3, 0, v3, vcc
	v_cmp_ngt_f32_e32 vcc, s90, v1
	s_nop 1
	v_cndmask_b32_e32 v35, 0, v35, vcc
	v_cmp_nlt_f32_e32 vcc, s91, v6
	s_nop 1
	v_cndmask_b32_e32 v3, v246, v3, vcc
	v_cmp_le_f32_e32 vcc, s93, v6
	s_nop 1
	v_cndmask_b32_e32 v3, 0, v3, vcc
	v_cvt_f16_f32_e32 v6, v3
	v_cmp_nlt_f32_e32 vcc, s91, v1
	s_nop 1
	v_cndmask_b32_e32 v79, v246, v35, vcc
	v_fmac_f32_e32 v79, v7, v3
	v_mul_u32_u24_e32 v3, 0x10001, v6
	v_pk_mul_f16 v119, v5, v3
	v_pk_mul_f16 v16, v16, v3
	;; [unrolled: 1-line block ×32, first 2 shown]
	v_mov_b64_e32 v[6:7], v[78:79]
.LBB30_316:                             ;   in Loop: Header=BB30_12 Depth=1
	s_or_b64 exec, exec, s[8:9]
	s_and_saveexec_b64 s[8:9], s[4:5]
; %bb.317:                              ;   in Loop: Header=BB30_12 Depth=1
	v_add_u32_e32 v2, 0, v168
	ds_write2_b32 v2, v6, v7 offset0:128 offset1:129
; %bb.318:                              ;   in Loop: Header=BB30_12 Depth=1
	s_or_b64 exec, exec, s[8:9]
	s_waitcnt lgkmcnt(0)
	s_barrier
	s_and_saveexec_b64 s[8:9], s[10:11]
	s_xor_b64 s[8:9], exec, s[8:9]
	s_cbranch_execz .LBB30_320
; %bb.319:                              ;   in Loop: Header=BB30_12 Depth=1
	s_barrier
                                        ; implicit-def: $vgpr8
.LBB30_320:                             ;   in Loop: Header=BB30_12 Depth=1
	s_andn2_saveexec_b64 s[8:9], s[8:9]
	s_cbranch_execz .LBB30_324
; %bb.321:                              ;   in Loop: Header=BB30_12 Depth=1
	v_add_u32_e32 v6, 0, v169
	ds_read_b64 v[2:3], v6 offset:512
	s_waitcnt lgkmcnt(0)
	s_barrier
	ds_bpermute_b32 v7, v8, v2
	v_max_f32_e32 v13, v2, v2
	s_waitcnt lgkmcnt(0)
	v_max_f32_e32 v7, v7, v7
	v_max_f32_e32 v7, v13, v7
	v_sub_f32_e32 v2, v2, v7
	v_mul_f32_e32 v7, 0x3fb8aa3b, v2
	v_fma_f32 v13, v2, s63, -v7
	v_rndne_f32_e32 v35, v7
	v_fmac_f32_e32 v13, 0x32a5705f, v2
	v_sub_f32_e32 v7, v7, v35
	v_add_f32_e32 v7, v7, v13
	v_cvt_i32_f32_e32 v35, v35
	v_exp_f32_e32 v7, v7
	v_cmp_ngt_f32_e32 vcc, s90, v2
	v_ldexp_f32 v7, v7, v35
	s_nop 0
	v_cndmask_b32_e32 v7, 0, v7, vcc
	v_cmp_nlt_f32_e32 vcc, s91, v2
	s_nop 1
	v_cndmask_b32_e32 v2, v246, v7, vcc
	v_mul_f32_e32 v3, v3, v2
	ds_bpermute_b32 v7, v8, v3
	s_and_saveexec_b64 s[12:13], s[6:7]
	s_cbranch_execz .LBB30_323
; %bb.322:                              ;   in Loop: Header=BB30_12 Depth=1
	s_waitcnt lgkmcnt(0)
	v_add_f32_e32 v3, v3, v7
	ds_write_b64 v6, v[2:3] offset:512
.LBB30_323:                             ;   in Loop: Header=BB30_12 Depth=1
	s_or_b64 exec, exec, s[12:13]
.LBB30_324:                             ;   in Loop: Header=BB30_12 Depth=1
	s_or_b64 exec, exec, s[8:9]
	v_add_u32_e32 v2, v157, v170
	ds_write2_b32 v2, v119, v16 offset1:1
	ds_write2_b32 v2, v124, v116 offset0:8 offset1:9
	ds_write2_b32 v2, v129, v121 offset0:16 offset1:17
	;; [unrolled: 1-line block ×15, first 2 shown]
	s_waitcnt lgkmcnt(0)
	s_barrier
	s_and_saveexec_b64 s[70:71], s[0:1]
	s_cbranch_execz .LBB30_10
; %bb.325:                              ;   in Loop: Header=BB30_12 Depth=1
	v_add_u32_e32 v1, v236, v77
	v_or_b32_e32 v2, v74, v15
	v_cmp_gt_i32_e32 vcc, s36, v1
	v_cmp_gt_i32_e64 s[8:9], s74, v2
	s_and_b64 s[72:73], vcc, s[8:9]
	v_mov_b32_e32 v2, 0x47
	s_and_saveexec_b64 s[12:13], s[72:73]
	s_cbranch_execz .LBB30_327
; %bb.326:                              ;   in Loop: Header=BB30_12 Depth=1
	ds_read2st64_b32 v[2:3], v195 offset1:1
	ds_read2st64_b32 v[4:5], v195 offset0:33 offset1:34
	ds_read2_b32 v[6:7], v171 offset0:128 offset1:129
	ds_read_b32 v8, v171 offset:8960
	v_mad_u64_u32 v[60:61], s[72:73], v1, s37, v[74:75]
	s_waitcnt lgkmcnt(3)
	v_cvt_f32_f16_sdwa v57, v2 dst_sel:DWORD dst_unused:UNUSED_PAD src0_sel:WORD_1
	v_cvt_f32_f16_e32 v56, v2
	s_waitcnt lgkmcnt(2)
	v_cvt_f32_f16_sdwa v59, v4 dst_sel:DWORD dst_unused:UNUSED_PAD src0_sel:WORD_1
	v_cvt_f32_f16_e32 v58, v4
	v_cvt_f32_f16_sdwa v61, v3 dst_sel:DWORD dst_unused:UNUSED_PAD src0_sel:WORD_1
	s_waitcnt lgkmcnt(1)
	v_pk_fma_f32 v[56:57], v[6:7], v[56:57], 0 op_sel_hi:[0,1,0]
	s_waitcnt lgkmcnt(0)
	v_pk_fma_f32 v[56:57], v[8:9], v[58:59], v[56:57] op_sel_hi:[0,1,1]
	v_div_scale_f32 v1, s[72:73], v7, v7, v57
	v_rcp_f32_e32 v2, v1
	v_lshl_add_u32 v58, v60, 7, v12
	v_cvt_f32_f16_e32 v60, v3
	v_cvt_f32_f16_sdwa v3, v5 dst_sel:DWORD dst_unused:UNUSED_PAD src0_sel:WORD_1
	v_fma_f32 v4, -v1, v2, 1.0
	v_fmac_f32_e32 v2, v4, v2
	v_div_scale_f32 v4, vcc, v57, v7, v57
	v_mul_f32_e32 v9, v4, v2
	v_fma_f32 v13, -v1, v9, v4
	v_fmac_f32_e32 v9, v13, v2
	v_fma_f32 v1, -v1, v9, v4
	v_div_scale_f32 v4, s[72:73], v7, v7, v56
	v_rcp_f32_e32 v13, v4
	v_div_fmas_f32 v1, v1, v2, v9
	v_div_fixup_f32 v9, v1, v7, v57
	v_cvt_f32_f16_e32 v2, v5
	v_fma_f32 v1, -v4, v13, 1.0
	v_fmac_f32_e32 v13, v1, v13
	v_div_scale_f32 v1, vcc, v56, v7, v56
	v_mul_f32_e32 v16, v1, v13
	v_fma_f32 v35, -v4, v16, v1
	v_fmac_f32_e32 v16, v35, v13
	v_fma_f32 v1, -v4, v16, v1
	v_pk_fma_f32 v[4:5], v[6:7], v[60:61], 0 op_sel_hi:[0,1,0]
	v_pk_fma_f32 v[2:3], v[8:9], v[2:3], v[4:5] op_sel_hi:[0,1,1]
	v_div_scale_f32 v4, s[72:73], v7, v7, v3
	v_rcp_f32_e32 v5, v4
	v_div_fmas_f32 v1, v1, v13, v16
	v_div_fixup_f32 v8, v1, v7, v56
	v_ashrrev_i32_e32 v59, 31, v58
	v_fma_f32 v1, -v4, v5, 1.0
	v_fmac_f32_e32 v5, v1, v5
	v_div_scale_f32 v1, vcc, v3, v7, v3
	v_lshl_add_u64 v[58:59], v[58:59], 3, v[112:113]
	v_mul_f32_e32 v6, v1, v5
	global_store_dwordx2 v[58:59], v[8:9], off
	v_fma_f32 v8, -v4, v6, v1
	v_fmac_f32_e32 v6, v8, v5
	v_fma_f32 v1, -v4, v6, v1
	v_div_scale_f32 v4, s[72:73], v7, v7, v2
	v_rcp_f32_e32 v8, v4
	v_div_fmas_f32 v1, v1, v5, v6
	v_div_fixup_f32 v3, v1, v7, v3
	v_fma_f32 v1, -v4, v8, 1.0
	v_fmac_f32_e32 v8, v1, v8
	v_div_scale_f32 v1, vcc, v2, v7, v2
	v_mul_f32_e32 v5, v1, v8
	v_fma_f32 v6, -v4, v5, v1
	v_fmac_f32_e32 v5, v6, v8
	v_fma_f32 v1, -v4, v5, v1
	v_div_fmas_f32 v1, v1, v8, v5
	v_div_fixup_f32 v2, v1, v7, v2
	global_store_dwordx2 v[58:59], v[2:3], off offset:512
	v_mov_b32_e32 v2, 0
.LBB30_327:                             ;   in Loop: Header=BB30_12 Depth=1
	s_or_b64 exec, exec, s[12:13]
	v_cmp_gt_i32_e32 vcc, s95, v2
	s_mov_b64 s[12:13], -1
	s_and_saveexec_b64 s[72:73], vcc
; %bb.328:                              ;   in Loop: Header=BB30_12 Depth=1
	v_cmp_eq_u32_e32 vcc, 0, v2
	s_orn2_b64 s[12:13], vcc, exec
; %bb.329:                              ;   in Loop: Header=BB30_12 Depth=1
	s_or_b64 exec, exec, s[72:73]
	s_and_b64 exec, exec, s[12:13]
	s_cbranch_execz .LBB30_10
; %bb.330:                              ;   in Loop: Header=BB30_12 Depth=1
	v_add_u32_e32 v1, v237, v77
	v_or_b32_e32 v2, v54, v15
	v_cmp_gt_i32_e32 vcc, s36, v1
	v_cmp_gt_i32_e64 s[12:13], s74, v2
	s_and_b64 s[72:73], vcc, s[12:13]
	v_mov_b32_e32 v2, 0x47
	s_and_saveexec_b64 s[12:13], s[72:73]
	s_cbranch_execz .LBB30_332
; %bb.331:                              ;   in Loop: Header=BB30_12 Depth=1
	ds_read2st64_b32 v[2:3], v196 offset1:1
	ds_read2st64_b32 v[4:5], v196 offset0:33 offset1:34
	ds_read2_b32 v[6:7], v172 offset0:128 offset1:129
	ds_read_b32 v8, v172 offset:8960
	v_mad_u64_u32 v[60:61], s[72:73], v1, s37, v[54:55]
	s_waitcnt lgkmcnt(3)
	v_cvt_f32_f16_sdwa v57, v2 dst_sel:DWORD dst_unused:UNUSED_PAD src0_sel:WORD_1
	v_cvt_f32_f16_e32 v56, v2
	s_waitcnt lgkmcnt(2)
	v_cvt_f32_f16_sdwa v59, v4 dst_sel:DWORD dst_unused:UNUSED_PAD src0_sel:WORD_1
	v_cvt_f32_f16_e32 v58, v4
	v_cvt_f32_f16_sdwa v61, v3 dst_sel:DWORD dst_unused:UNUSED_PAD src0_sel:WORD_1
	s_waitcnt lgkmcnt(1)
	v_pk_fma_f32 v[56:57], v[6:7], v[56:57], 0 op_sel_hi:[0,1,0]
	s_waitcnt lgkmcnt(0)
	v_pk_fma_f32 v[56:57], v[8:9], v[58:59], v[56:57] op_sel_hi:[0,1,1]
	v_div_scale_f32 v1, s[72:73], v7, v7, v57
	v_rcp_f32_e32 v2, v1
	v_lshl_add_u32 v58, v60, 7, v12
	v_cvt_f32_f16_e32 v60, v3
	v_cvt_f32_f16_sdwa v3, v5 dst_sel:DWORD dst_unused:UNUSED_PAD src0_sel:WORD_1
	v_fma_f32 v4, -v1, v2, 1.0
	v_fmac_f32_e32 v2, v4, v2
	v_div_scale_f32 v4, vcc, v57, v7, v57
	v_mul_f32_e32 v9, v4, v2
	v_fma_f32 v13, -v1, v9, v4
	v_fmac_f32_e32 v9, v13, v2
	v_fma_f32 v1, -v1, v9, v4
	v_div_scale_f32 v4, s[72:73], v7, v7, v56
	v_rcp_f32_e32 v13, v4
	v_div_fmas_f32 v1, v1, v2, v9
	v_div_fixup_f32 v9, v1, v7, v57
	v_cvt_f32_f16_e32 v2, v5
	v_fma_f32 v1, -v4, v13, 1.0
	v_fmac_f32_e32 v13, v1, v13
	v_div_scale_f32 v1, vcc, v56, v7, v56
	v_mul_f32_e32 v16, v1, v13
	v_fma_f32 v35, -v4, v16, v1
	v_fmac_f32_e32 v16, v35, v13
	v_fma_f32 v1, -v4, v16, v1
	v_pk_fma_f32 v[4:5], v[6:7], v[60:61], 0 op_sel_hi:[0,1,0]
	v_pk_fma_f32 v[2:3], v[8:9], v[2:3], v[4:5] op_sel_hi:[0,1,1]
	v_div_scale_f32 v4, s[72:73], v7, v7, v3
	v_rcp_f32_e32 v5, v4
	v_div_fmas_f32 v1, v1, v13, v16
	v_div_fixup_f32 v8, v1, v7, v56
	v_ashrrev_i32_e32 v59, 31, v58
	v_fma_f32 v1, -v4, v5, 1.0
	v_fmac_f32_e32 v5, v1, v5
	v_div_scale_f32 v1, vcc, v3, v7, v3
	v_lshl_add_u64 v[58:59], v[58:59], 3, v[112:113]
	v_mul_f32_e32 v6, v1, v5
	global_store_dwordx2 v[58:59], v[8:9], off
	v_fma_f32 v8, -v4, v6, v1
	v_fmac_f32_e32 v6, v8, v5
	v_fma_f32 v1, -v4, v6, v1
	v_div_scale_f32 v4, s[72:73], v7, v7, v2
	v_rcp_f32_e32 v8, v4
	v_div_fmas_f32 v1, v1, v5, v6
	v_div_fixup_f32 v3, v1, v7, v3
	v_fma_f32 v1, -v4, v8, 1.0
	v_fmac_f32_e32 v8, v1, v8
	v_div_scale_f32 v1, vcc, v2, v7, v2
	v_mul_f32_e32 v5, v1, v8
	v_fma_f32 v6, -v4, v5, v1
	v_fmac_f32_e32 v5, v6, v8
	v_fma_f32 v1, -v4, v5, v1
	v_div_fmas_f32 v1, v1, v8, v5
	v_div_fixup_f32 v2, v1, v7, v2
	global_store_dwordx2 v[58:59], v[2:3], off offset:512
	v_mov_b32_e32 v2, 0
.LBB30_332:                             ;   in Loop: Header=BB30_12 Depth=1
	s_or_b64 exec, exec, s[12:13]
	v_cmp_gt_i32_e32 vcc, s95, v2
	s_mov_b64 s[12:13], -1
	s_and_saveexec_b64 s[72:73], vcc
; %bb.333:                              ;   in Loop: Header=BB30_12 Depth=1
	v_cmp_eq_u32_e32 vcc, 0, v2
	s_orn2_b64 s[12:13], vcc, exec
; %bb.334:                              ;   in Loop: Header=BB30_12 Depth=1
	s_or_b64 exec, exec, s[72:73]
	s_and_b64 exec, exec, s[12:13]
	s_cbranch_execz .LBB30_10
; %bb.335:                              ;   in Loop: Header=BB30_12 Depth=1
	v_accvgpr_read_b32 v1, a48
	v_add_u32_e32 v1, v1, v77
	v_cmp_gt_i32_e32 vcc, s36, v1
	s_and_b64 s[72:73], vcc, s[8:9]
	v_mov_b32_e32 v2, 0x47
	s_and_saveexec_b64 s[12:13], s[72:73]
	s_cbranch_execz .LBB30_337
; %bb.336:                              ;   in Loop: Header=BB30_12 Depth=1
	v_accvgpr_read_b32 v4, a69
	ds_read2st64_b32 v[2:3], v4 offset1:1
	ds_read2st64_b32 v[4:5], v4 offset0:33 offset1:34
	v_accvgpr_read_b32 v8, a49
	ds_read2_b32 v[6:7], v8 offset0:128 offset1:129
	ds_read_b32 v8, v8 offset:8960
	v_mad_u64_u32 v[60:61], s[72:73], v1, s37, v[74:75]
	s_waitcnt lgkmcnt(3)
	v_cvt_f32_f16_sdwa v57, v2 dst_sel:DWORD dst_unused:UNUSED_PAD src0_sel:WORD_1
	v_cvt_f32_f16_e32 v56, v2
	s_waitcnt lgkmcnt(2)
	v_cvt_f32_f16_sdwa v59, v4 dst_sel:DWORD dst_unused:UNUSED_PAD src0_sel:WORD_1
	v_cvt_f32_f16_e32 v58, v4
	v_cvt_f32_f16_sdwa v61, v3 dst_sel:DWORD dst_unused:UNUSED_PAD src0_sel:WORD_1
	s_waitcnt lgkmcnt(1)
	v_pk_fma_f32 v[56:57], v[6:7], v[56:57], 0 op_sel_hi:[0,1,0]
	s_waitcnt lgkmcnt(0)
	v_pk_fma_f32 v[56:57], v[8:9], v[58:59], v[56:57] op_sel_hi:[0,1,1]
	v_div_scale_f32 v1, s[72:73], v7, v7, v57
	v_rcp_f32_e32 v2, v1
	v_lshl_add_u32 v58, v60, 7, v12
	v_cvt_f32_f16_e32 v60, v3
	v_cvt_f32_f16_sdwa v3, v5 dst_sel:DWORD dst_unused:UNUSED_PAD src0_sel:WORD_1
	v_fma_f32 v4, -v1, v2, 1.0
	v_fmac_f32_e32 v2, v4, v2
	v_div_scale_f32 v4, vcc, v57, v7, v57
	v_mul_f32_e32 v9, v4, v2
	v_fma_f32 v13, -v1, v9, v4
	v_fmac_f32_e32 v9, v13, v2
	v_fma_f32 v1, -v1, v9, v4
	v_div_scale_f32 v4, s[72:73], v7, v7, v56
	v_rcp_f32_e32 v13, v4
	v_div_fmas_f32 v1, v1, v2, v9
	v_div_fixup_f32 v9, v1, v7, v57
	v_cvt_f32_f16_e32 v2, v5
	v_fma_f32 v1, -v4, v13, 1.0
	v_fmac_f32_e32 v13, v1, v13
	v_div_scale_f32 v1, vcc, v56, v7, v56
	v_mul_f32_e32 v16, v1, v13
	v_fma_f32 v35, -v4, v16, v1
	v_fmac_f32_e32 v16, v35, v13
	v_fma_f32 v1, -v4, v16, v1
	v_pk_fma_f32 v[4:5], v[6:7], v[60:61], 0 op_sel_hi:[0,1,0]
	v_pk_fma_f32 v[2:3], v[8:9], v[2:3], v[4:5] op_sel_hi:[0,1,1]
	v_div_scale_f32 v4, s[72:73], v7, v7, v3
	v_rcp_f32_e32 v5, v4
	v_div_fmas_f32 v1, v1, v13, v16
	v_div_fixup_f32 v8, v1, v7, v56
	v_ashrrev_i32_e32 v59, 31, v58
	v_fma_f32 v1, -v4, v5, 1.0
	v_fmac_f32_e32 v5, v1, v5
	v_div_scale_f32 v1, vcc, v3, v7, v3
	v_lshl_add_u64 v[58:59], v[58:59], 3, v[112:113]
	v_mul_f32_e32 v6, v1, v5
	global_store_dwordx2 v[58:59], v[8:9], off
	v_fma_f32 v8, -v4, v6, v1
	v_fmac_f32_e32 v6, v8, v5
	v_fma_f32 v1, -v4, v6, v1
	v_div_scale_f32 v4, s[72:73], v7, v7, v2
	v_rcp_f32_e32 v8, v4
	v_div_fmas_f32 v1, v1, v5, v6
	v_div_fixup_f32 v3, v1, v7, v3
	v_fma_f32 v1, -v4, v8, 1.0
	v_fmac_f32_e32 v8, v1, v8
	v_div_scale_f32 v1, vcc, v2, v7, v2
	v_mul_f32_e32 v5, v1, v8
	v_fma_f32 v6, -v4, v5, v1
	v_fmac_f32_e32 v5, v6, v8
	v_fma_f32 v1, -v4, v5, v1
	v_div_fmas_f32 v1, v1, v8, v5
	v_div_fixup_f32 v2, v1, v7, v2
	global_store_dwordx2 v[58:59], v[2:3], off offset:512
	v_mov_b32_e32 v2, 0
.LBB30_337:                             ;   in Loop: Header=BB30_12 Depth=1
	s_or_b64 exec, exec, s[12:13]
	v_cmp_gt_i32_e32 vcc, s95, v2
	s_mov_b64 s[12:13], -1
	s_and_saveexec_b64 s[72:73], vcc
; %bb.338:                              ;   in Loop: Header=BB30_12 Depth=1
	v_cmp_eq_u32_e32 vcc, 0, v2
	s_orn2_b64 s[12:13], vcc, exec
; %bb.339:                              ;   in Loop: Header=BB30_12 Depth=1
	s_or_b64 exec, exec, s[72:73]
	s_and_b64 exec, exec, s[12:13]
	s_cbranch_execz .LBB30_10
; %bb.340:                              ;   in Loop: Header=BB30_12 Depth=1
	v_accvgpr_read_b32 v1, a83
	v_accvgpr_read_b32 v2, a84
	v_add_u32_e32 v1, v1, v77
	v_or_b32_e32 v2, v2, v15
	v_cmp_gt_i32_e32 vcc, s36, v1
	v_cmp_gt_i32_e64 s[12:13], s74, v2
	s_and_b64 s[72:73], vcc, s[12:13]
	v_mov_b32_e32 v2, 0x47
	s_and_saveexec_b64 s[12:13], s[72:73]
	s_cbranch_execz .LBB30_342
; %bb.341:                              ;   in Loop: Header=BB30_12 Depth=1
	v_accvgpr_read_b32 v4, a70
	ds_read2st64_b32 v[2:3], v4 offset1:1
	ds_read2st64_b32 v[4:5], v4 offset0:33 offset1:34
	v_accvgpr_read_b32 v8, a50
	ds_read2_b32 v[6:7], v8 offset0:128 offset1:129
	ds_read_b32 v8, v8 offset:8960
	s_waitcnt lgkmcnt(3)
	v_cvt_f32_f16_sdwa v57, v2 dst_sel:DWORD dst_unused:UNUSED_PAD src0_sel:WORD_1
	v_cvt_f32_f16_e32 v56, v2
	s_waitcnt lgkmcnt(2)
	v_cvt_f32_f16_sdwa v59, v4 dst_sel:DWORD dst_unused:UNUSED_PAD src0_sel:WORD_1
	v_cvt_f32_f16_e32 v58, v4
	v_accvgpr_read_b32 v2, a84
	s_waitcnt lgkmcnt(1)
	v_pk_fma_f32 v[56:57], v[6:7], v[56:57], 0 op_sel_hi:[0,1,0]
	v_mad_u64_u32 v[60:61], s[72:73], v1, s37, v[2:3]
	s_waitcnt lgkmcnt(0)
	v_pk_fma_f32 v[56:57], v[8:9], v[58:59], v[56:57] op_sel_hi:[0,1,1]
	v_div_scale_f32 v1, s[72:73], v7, v7, v57
	v_rcp_f32_e32 v2, v1
	v_lshl_add_u32 v58, v60, 7, v12
	v_cvt_f32_f16_sdwa v61, v3 dst_sel:DWORD dst_unused:UNUSED_PAD src0_sel:WORD_1
	v_cvt_f32_f16_e32 v60, v3
	v_fma_f32 v4, -v1, v2, 1.0
	v_fmac_f32_e32 v2, v4, v2
	v_div_scale_f32 v4, vcc, v57, v7, v57
	v_mul_f32_e32 v9, v4, v2
	v_fma_f32 v13, -v1, v9, v4
	v_fmac_f32_e32 v9, v13, v2
	v_fma_f32 v1, -v1, v9, v4
	v_div_scale_f32 v4, s[72:73], v7, v7, v56
	v_rcp_f32_e32 v13, v4
	v_div_fmas_f32 v1, v1, v2, v9
	v_div_fixup_f32 v9, v1, v7, v57
	v_cvt_f32_f16_sdwa v3, v5 dst_sel:DWORD dst_unused:UNUSED_PAD src0_sel:WORD_1
	v_fma_f32 v1, -v4, v13, 1.0
	v_fmac_f32_e32 v13, v1, v13
	v_div_scale_f32 v1, vcc, v56, v7, v56
	v_mul_f32_e32 v16, v1, v13
	v_cvt_f32_f16_e32 v2, v5
	v_fma_f32 v35, -v4, v16, v1
	v_fmac_f32_e32 v16, v35, v13
	v_fma_f32 v1, -v4, v16, v1
	v_pk_fma_f32 v[4:5], v[6:7], v[60:61], 0 op_sel_hi:[0,1,0]
	v_pk_fma_f32 v[2:3], v[8:9], v[2:3], v[4:5] op_sel_hi:[0,1,1]
	v_div_scale_f32 v4, s[72:73], v7, v7, v3
	v_rcp_f32_e32 v5, v4
	v_div_fmas_f32 v1, v1, v13, v16
	v_div_fixup_f32 v8, v1, v7, v56
	v_ashrrev_i32_e32 v59, 31, v58
	v_fma_f32 v1, -v4, v5, 1.0
	v_fmac_f32_e32 v5, v1, v5
	v_div_scale_f32 v1, vcc, v3, v7, v3
	v_lshl_add_u64 v[58:59], v[58:59], 3, v[112:113]
	v_mul_f32_e32 v6, v1, v5
	global_store_dwordx2 v[58:59], v[8:9], off
	v_fma_f32 v8, -v4, v6, v1
	v_fmac_f32_e32 v6, v8, v5
	v_fma_f32 v1, -v4, v6, v1
	v_div_scale_f32 v4, s[72:73], v7, v7, v2
	v_rcp_f32_e32 v8, v4
	v_div_fmas_f32 v1, v1, v5, v6
	v_div_fixup_f32 v3, v1, v7, v3
	v_fma_f32 v1, -v4, v8, 1.0
	v_fmac_f32_e32 v8, v1, v8
	v_div_scale_f32 v1, vcc, v2, v7, v2
	v_mul_f32_e32 v5, v1, v8
	v_fma_f32 v6, -v4, v5, v1
	v_fmac_f32_e32 v5, v6, v8
	v_fma_f32 v1, -v4, v5, v1
	v_div_fmas_f32 v1, v1, v8, v5
	v_div_fixup_f32 v2, v1, v7, v2
	global_store_dwordx2 v[58:59], v[2:3], off offset:512
	v_mov_b32_e32 v2, 0
.LBB30_342:                             ;   in Loop: Header=BB30_12 Depth=1
	s_or_b64 exec, exec, s[12:13]
	v_cmp_gt_i32_e32 vcc, s95, v2
	s_mov_b64 s[12:13], -1
	s_and_saveexec_b64 s[72:73], vcc
; %bb.343:                              ;   in Loop: Header=BB30_12 Depth=1
	v_cmp_eq_u32_e32 vcc, 0, v2
	s_orn2_b64 s[12:13], vcc, exec
; %bb.344:                              ;   in Loop: Header=BB30_12 Depth=1
	s_or_b64 exec, exec, s[72:73]
	s_and_b64 exec, exec, s[12:13]
	s_cbranch_execz .LBB30_10
; %bb.345:                              ;   in Loop: Header=BB30_12 Depth=1
	v_accvgpr_read_b32 v1, a51
	v_add_u32_e32 v1, v1, v77
	v_cmp_gt_i32_e32 vcc, s36, v1
	s_and_b64 s[72:73], vcc, s[8:9]
	v_mov_b32_e32 v2, 0x47
	s_and_saveexec_b64 s[12:13], s[72:73]
	s_cbranch_execz .LBB30_347
; %bb.346:                              ;   in Loop: Header=BB30_12 Depth=1
	v_accvgpr_read_b32 v4, a71
	ds_read2st64_b32 v[2:3], v4 offset1:1
	ds_read2st64_b32 v[4:5], v4 offset0:33 offset1:34
	v_accvgpr_read_b32 v8, a52
	ds_read2_b32 v[6:7], v8 offset0:128 offset1:129
	ds_read_b32 v8, v8 offset:8960
	v_mad_u64_u32 v[60:61], s[72:73], v1, s37, v[74:75]
	s_waitcnt lgkmcnt(3)
	v_cvt_f32_f16_sdwa v57, v2 dst_sel:DWORD dst_unused:UNUSED_PAD src0_sel:WORD_1
	v_cvt_f32_f16_e32 v56, v2
	s_waitcnt lgkmcnt(2)
	v_cvt_f32_f16_sdwa v59, v4 dst_sel:DWORD dst_unused:UNUSED_PAD src0_sel:WORD_1
	v_cvt_f32_f16_e32 v58, v4
	v_cvt_f32_f16_sdwa v61, v3 dst_sel:DWORD dst_unused:UNUSED_PAD src0_sel:WORD_1
	s_waitcnt lgkmcnt(1)
	v_pk_fma_f32 v[56:57], v[6:7], v[56:57], 0 op_sel_hi:[0,1,0]
	s_waitcnt lgkmcnt(0)
	v_pk_fma_f32 v[56:57], v[8:9], v[58:59], v[56:57] op_sel_hi:[0,1,1]
	v_div_scale_f32 v1, s[72:73], v7, v7, v57
	v_rcp_f32_e32 v2, v1
	v_lshl_add_u32 v58, v60, 7, v12
	v_cvt_f32_f16_e32 v60, v3
	v_cvt_f32_f16_sdwa v3, v5 dst_sel:DWORD dst_unused:UNUSED_PAD src0_sel:WORD_1
	v_fma_f32 v4, -v1, v2, 1.0
	v_fmac_f32_e32 v2, v4, v2
	v_div_scale_f32 v4, vcc, v57, v7, v57
	v_mul_f32_e32 v9, v4, v2
	v_fma_f32 v13, -v1, v9, v4
	v_fmac_f32_e32 v9, v13, v2
	v_fma_f32 v1, -v1, v9, v4
	v_div_scale_f32 v4, s[72:73], v7, v7, v56
	v_rcp_f32_e32 v13, v4
	v_div_fmas_f32 v1, v1, v2, v9
	v_div_fixup_f32 v9, v1, v7, v57
	v_cvt_f32_f16_e32 v2, v5
	v_fma_f32 v1, -v4, v13, 1.0
	v_fmac_f32_e32 v13, v1, v13
	v_div_scale_f32 v1, vcc, v56, v7, v56
	v_mul_f32_e32 v16, v1, v13
	v_fma_f32 v35, -v4, v16, v1
	v_fmac_f32_e32 v16, v35, v13
	v_fma_f32 v1, -v4, v16, v1
	v_pk_fma_f32 v[4:5], v[6:7], v[60:61], 0 op_sel_hi:[0,1,0]
	v_pk_fma_f32 v[2:3], v[8:9], v[2:3], v[4:5] op_sel_hi:[0,1,1]
	v_div_scale_f32 v4, s[72:73], v7, v7, v3
	v_rcp_f32_e32 v5, v4
	v_div_fmas_f32 v1, v1, v13, v16
	v_div_fixup_f32 v8, v1, v7, v56
	v_ashrrev_i32_e32 v59, 31, v58
	v_fma_f32 v1, -v4, v5, 1.0
	v_fmac_f32_e32 v5, v1, v5
	v_div_scale_f32 v1, vcc, v3, v7, v3
	v_lshl_add_u64 v[58:59], v[58:59], 3, v[112:113]
	v_mul_f32_e32 v6, v1, v5
	global_store_dwordx2 v[58:59], v[8:9], off
	v_fma_f32 v8, -v4, v6, v1
	v_fmac_f32_e32 v6, v8, v5
	v_fma_f32 v1, -v4, v6, v1
	v_div_scale_f32 v4, s[72:73], v7, v7, v2
	v_rcp_f32_e32 v8, v4
	v_div_fmas_f32 v1, v1, v5, v6
	v_div_fixup_f32 v3, v1, v7, v3
	v_fma_f32 v1, -v4, v8, 1.0
	v_fmac_f32_e32 v8, v1, v8
	v_div_scale_f32 v1, vcc, v2, v7, v2
	v_mul_f32_e32 v5, v1, v8
	v_fma_f32 v6, -v4, v5, v1
	v_fmac_f32_e32 v5, v6, v8
	v_fma_f32 v1, -v4, v5, v1
	v_div_fmas_f32 v1, v1, v8, v5
	v_div_fixup_f32 v2, v1, v7, v2
	global_store_dwordx2 v[58:59], v[2:3], off offset:512
	v_mov_b32_e32 v2, 0
.LBB30_347:                             ;   in Loop: Header=BB30_12 Depth=1
	s_or_b64 exec, exec, s[12:13]
	v_cmp_gt_i32_e32 vcc, s95, v2
	s_mov_b64 s[12:13], -1
	s_and_saveexec_b64 s[72:73], vcc
; %bb.348:                              ;   in Loop: Header=BB30_12 Depth=1
	v_cmp_eq_u32_e32 vcc, 0, v2
	s_orn2_b64 s[12:13], vcc, exec
; %bb.349:                              ;   in Loop: Header=BB30_12 Depth=1
	s_or_b64 exec, exec, s[72:73]
	s_and_b64 exec, exec, s[12:13]
	s_cbranch_execz .LBB30_10
; %bb.350:                              ;   in Loop: Header=BB30_12 Depth=1
	v_accvgpr_read_b32 v1, a85
	v_accvgpr_read_b32 v2, a86
	v_add_u32_e32 v1, v1, v77
	v_or_b32_e32 v2, v2, v15
	v_cmp_gt_i32_e32 vcc, s36, v1
	v_cmp_gt_i32_e64 s[12:13], s74, v2
	s_and_b64 s[72:73], vcc, s[12:13]
	v_mov_b32_e32 v2, 0x47
	s_and_saveexec_b64 s[12:13], s[72:73]
	s_cbranch_execz .LBB30_352
; %bb.351:                              ;   in Loop: Header=BB30_12 Depth=1
	v_accvgpr_read_b32 v4, a72
	ds_read2st64_b32 v[2:3], v4 offset1:1
	ds_read2st64_b32 v[4:5], v4 offset0:33 offset1:34
	v_accvgpr_read_b32 v8, a53
	ds_read2_b32 v[6:7], v8 offset0:128 offset1:129
	ds_read_b32 v8, v8 offset:8960
	s_waitcnt lgkmcnt(3)
	v_cvt_f32_f16_sdwa v57, v2 dst_sel:DWORD dst_unused:UNUSED_PAD src0_sel:WORD_1
	v_cvt_f32_f16_e32 v56, v2
	s_waitcnt lgkmcnt(2)
	v_cvt_f32_f16_sdwa v59, v4 dst_sel:DWORD dst_unused:UNUSED_PAD src0_sel:WORD_1
	v_cvt_f32_f16_e32 v58, v4
	v_accvgpr_read_b32 v2, a86
	s_waitcnt lgkmcnt(1)
	v_pk_fma_f32 v[56:57], v[6:7], v[56:57], 0 op_sel_hi:[0,1,0]
	v_mad_u64_u32 v[60:61], s[72:73], v1, s37, v[2:3]
	s_waitcnt lgkmcnt(0)
	v_pk_fma_f32 v[56:57], v[8:9], v[58:59], v[56:57] op_sel_hi:[0,1,1]
	v_div_scale_f32 v1, s[72:73], v7, v7, v57
	v_rcp_f32_e32 v2, v1
	v_lshl_add_u32 v58, v60, 7, v12
	v_cvt_f32_f16_sdwa v61, v3 dst_sel:DWORD dst_unused:UNUSED_PAD src0_sel:WORD_1
	v_cvt_f32_f16_e32 v60, v3
	v_fma_f32 v4, -v1, v2, 1.0
	v_fmac_f32_e32 v2, v4, v2
	v_div_scale_f32 v4, vcc, v57, v7, v57
	v_mul_f32_e32 v9, v4, v2
	v_fma_f32 v13, -v1, v9, v4
	v_fmac_f32_e32 v9, v13, v2
	v_fma_f32 v1, -v1, v9, v4
	v_div_scale_f32 v4, s[72:73], v7, v7, v56
	v_rcp_f32_e32 v13, v4
	v_div_fmas_f32 v1, v1, v2, v9
	v_div_fixup_f32 v9, v1, v7, v57
	v_cvt_f32_f16_sdwa v3, v5 dst_sel:DWORD dst_unused:UNUSED_PAD src0_sel:WORD_1
	v_fma_f32 v1, -v4, v13, 1.0
	v_fmac_f32_e32 v13, v1, v13
	v_div_scale_f32 v1, vcc, v56, v7, v56
	v_mul_f32_e32 v16, v1, v13
	v_cvt_f32_f16_e32 v2, v5
	v_fma_f32 v35, -v4, v16, v1
	v_fmac_f32_e32 v16, v35, v13
	v_fma_f32 v1, -v4, v16, v1
	v_pk_fma_f32 v[4:5], v[6:7], v[60:61], 0 op_sel_hi:[0,1,0]
	v_pk_fma_f32 v[2:3], v[8:9], v[2:3], v[4:5] op_sel_hi:[0,1,1]
	v_div_scale_f32 v4, s[72:73], v7, v7, v3
	v_rcp_f32_e32 v5, v4
	v_div_fmas_f32 v1, v1, v13, v16
	v_div_fixup_f32 v8, v1, v7, v56
	v_ashrrev_i32_e32 v59, 31, v58
	v_fma_f32 v1, -v4, v5, 1.0
	v_fmac_f32_e32 v5, v1, v5
	v_div_scale_f32 v1, vcc, v3, v7, v3
	v_lshl_add_u64 v[58:59], v[58:59], 3, v[112:113]
	v_mul_f32_e32 v6, v1, v5
	global_store_dwordx2 v[58:59], v[8:9], off
	v_fma_f32 v8, -v4, v6, v1
	v_fmac_f32_e32 v6, v8, v5
	v_fma_f32 v1, -v4, v6, v1
	v_div_scale_f32 v4, s[72:73], v7, v7, v2
	v_rcp_f32_e32 v8, v4
	v_div_fmas_f32 v1, v1, v5, v6
	v_div_fixup_f32 v3, v1, v7, v3
	v_fma_f32 v1, -v4, v8, 1.0
	v_fmac_f32_e32 v8, v1, v8
	v_div_scale_f32 v1, vcc, v2, v7, v2
	v_mul_f32_e32 v5, v1, v8
	v_fma_f32 v6, -v4, v5, v1
	v_fmac_f32_e32 v5, v6, v8
	v_fma_f32 v1, -v4, v5, v1
	v_div_fmas_f32 v1, v1, v8, v5
	v_div_fixup_f32 v2, v1, v7, v2
	global_store_dwordx2 v[58:59], v[2:3], off offset:512
	v_mov_b32_e32 v2, 0
.LBB30_352:                             ;   in Loop: Header=BB30_12 Depth=1
	s_or_b64 exec, exec, s[12:13]
	v_cmp_gt_i32_e32 vcc, s95, v2
	s_mov_b64 s[12:13], -1
	s_and_saveexec_b64 s[72:73], vcc
; %bb.353:                              ;   in Loop: Header=BB30_12 Depth=1
	v_cmp_eq_u32_e32 vcc, 0, v2
	s_orn2_b64 s[12:13], vcc, exec
; %bb.354:                              ;   in Loop: Header=BB30_12 Depth=1
	s_or_b64 exec, exec, s[72:73]
	s_and_b64 exec, exec, s[12:13]
	s_cbranch_execz .LBB30_10
; %bb.355:                              ;   in Loop: Header=BB30_12 Depth=1
	v_accvgpr_read_b32 v1, a54
	v_add_u32_e32 v1, v1, v77
	v_cmp_gt_i32_e32 vcc, s36, v1
	s_and_b64 s[72:73], vcc, s[8:9]
	v_mov_b32_e32 v2, 0x47
	s_and_saveexec_b64 s[12:13], s[72:73]
	s_cbranch_execz .LBB30_357
; %bb.356:                              ;   in Loop: Header=BB30_12 Depth=1
	v_accvgpr_read_b32 v4, a73
	ds_read2st64_b32 v[2:3], v4 offset1:1
	ds_read2st64_b32 v[4:5], v4 offset0:33 offset1:34
	v_accvgpr_read_b32 v8, a55
	ds_read2_b32 v[6:7], v8 offset0:128 offset1:129
	ds_read_b32 v8, v8 offset:8960
	v_mad_u64_u32 v[60:61], s[72:73], v1, s37, v[74:75]
	s_waitcnt lgkmcnt(3)
	v_cvt_f32_f16_sdwa v57, v2 dst_sel:DWORD dst_unused:UNUSED_PAD src0_sel:WORD_1
	v_cvt_f32_f16_e32 v56, v2
	s_waitcnt lgkmcnt(2)
	v_cvt_f32_f16_sdwa v59, v4 dst_sel:DWORD dst_unused:UNUSED_PAD src0_sel:WORD_1
	v_cvt_f32_f16_e32 v58, v4
	v_cvt_f32_f16_sdwa v61, v3 dst_sel:DWORD dst_unused:UNUSED_PAD src0_sel:WORD_1
	s_waitcnt lgkmcnt(1)
	v_pk_fma_f32 v[56:57], v[6:7], v[56:57], 0 op_sel_hi:[0,1,0]
	s_waitcnt lgkmcnt(0)
	v_pk_fma_f32 v[56:57], v[8:9], v[58:59], v[56:57] op_sel_hi:[0,1,1]
	v_div_scale_f32 v1, s[72:73], v7, v7, v57
	v_rcp_f32_e32 v2, v1
	v_lshl_add_u32 v58, v60, 7, v12
	v_cvt_f32_f16_e32 v60, v3
	v_cvt_f32_f16_sdwa v3, v5 dst_sel:DWORD dst_unused:UNUSED_PAD src0_sel:WORD_1
	v_fma_f32 v4, -v1, v2, 1.0
	v_fmac_f32_e32 v2, v4, v2
	v_div_scale_f32 v4, vcc, v57, v7, v57
	v_mul_f32_e32 v9, v4, v2
	v_fma_f32 v13, -v1, v9, v4
	v_fmac_f32_e32 v9, v13, v2
	v_fma_f32 v1, -v1, v9, v4
	v_div_scale_f32 v4, s[72:73], v7, v7, v56
	v_rcp_f32_e32 v13, v4
	v_div_fmas_f32 v1, v1, v2, v9
	v_div_fixup_f32 v9, v1, v7, v57
	v_cvt_f32_f16_e32 v2, v5
	v_fma_f32 v1, -v4, v13, 1.0
	v_fmac_f32_e32 v13, v1, v13
	v_div_scale_f32 v1, vcc, v56, v7, v56
	v_mul_f32_e32 v16, v1, v13
	v_fma_f32 v35, -v4, v16, v1
	v_fmac_f32_e32 v16, v35, v13
	v_fma_f32 v1, -v4, v16, v1
	v_pk_fma_f32 v[4:5], v[6:7], v[60:61], 0 op_sel_hi:[0,1,0]
	v_pk_fma_f32 v[2:3], v[8:9], v[2:3], v[4:5] op_sel_hi:[0,1,1]
	v_div_scale_f32 v4, s[72:73], v7, v7, v3
	v_rcp_f32_e32 v5, v4
	v_div_fmas_f32 v1, v1, v13, v16
	v_div_fixup_f32 v8, v1, v7, v56
	v_ashrrev_i32_e32 v59, 31, v58
	v_fma_f32 v1, -v4, v5, 1.0
	v_fmac_f32_e32 v5, v1, v5
	v_div_scale_f32 v1, vcc, v3, v7, v3
	v_lshl_add_u64 v[58:59], v[58:59], 3, v[112:113]
	v_mul_f32_e32 v6, v1, v5
	global_store_dwordx2 v[58:59], v[8:9], off
	v_fma_f32 v8, -v4, v6, v1
	v_fmac_f32_e32 v6, v8, v5
	v_fma_f32 v1, -v4, v6, v1
	v_div_scale_f32 v4, s[72:73], v7, v7, v2
	v_rcp_f32_e32 v8, v4
	v_div_fmas_f32 v1, v1, v5, v6
	v_div_fixup_f32 v3, v1, v7, v3
	v_fma_f32 v1, -v4, v8, 1.0
	v_fmac_f32_e32 v8, v1, v8
	v_div_scale_f32 v1, vcc, v2, v7, v2
	v_mul_f32_e32 v5, v1, v8
	v_fma_f32 v6, -v4, v5, v1
	v_fmac_f32_e32 v5, v6, v8
	v_fma_f32 v1, -v4, v5, v1
	v_div_fmas_f32 v1, v1, v8, v5
	v_div_fixup_f32 v2, v1, v7, v2
	global_store_dwordx2 v[58:59], v[2:3], off offset:512
	v_mov_b32_e32 v2, 0
.LBB30_357:                             ;   in Loop: Header=BB30_12 Depth=1
	s_or_b64 exec, exec, s[12:13]
	v_cmp_gt_i32_e32 vcc, s95, v2
	s_mov_b64 s[12:13], -1
	s_and_saveexec_b64 s[72:73], vcc
; %bb.358:                              ;   in Loop: Header=BB30_12 Depth=1
	v_cmp_eq_u32_e32 vcc, 0, v2
	s_orn2_b64 s[12:13], vcc, exec
; %bb.359:                              ;   in Loop: Header=BB30_12 Depth=1
	s_or_b64 exec, exec, s[72:73]
	s_and_b64 exec, exec, s[12:13]
	s_cbranch_execz .LBB30_10
; %bb.360:                              ;   in Loop: Header=BB30_12 Depth=1
	v_accvgpr_read_b32 v1, a87
	v_accvgpr_read_b32 v2, a88
	v_add_u32_e32 v1, v1, v77
	v_or_b32_e32 v2, v2, v15
	v_cmp_gt_i32_e32 vcc, s36, v1
	v_cmp_gt_i32_e64 s[12:13], s74, v2
	s_and_b64 s[72:73], vcc, s[12:13]
	v_mov_b32_e32 v2, 0x47
	s_and_saveexec_b64 s[12:13], s[72:73]
	s_cbranch_execz .LBB30_362
; %bb.361:                              ;   in Loop: Header=BB30_12 Depth=1
	v_accvgpr_read_b32 v4, a74
	ds_read2st64_b32 v[2:3], v4 offset1:1
	ds_read2st64_b32 v[4:5], v4 offset0:33 offset1:34
	v_accvgpr_read_b32 v8, a56
	ds_read2_b32 v[6:7], v8 offset0:128 offset1:129
	ds_read_b32 v8, v8 offset:8960
	s_waitcnt lgkmcnt(3)
	v_cvt_f32_f16_sdwa v57, v2 dst_sel:DWORD dst_unused:UNUSED_PAD src0_sel:WORD_1
	v_cvt_f32_f16_e32 v56, v2
	s_waitcnt lgkmcnt(2)
	v_cvt_f32_f16_sdwa v59, v4 dst_sel:DWORD dst_unused:UNUSED_PAD src0_sel:WORD_1
	v_cvt_f32_f16_e32 v58, v4
	v_accvgpr_read_b32 v2, a88
	s_waitcnt lgkmcnt(1)
	v_pk_fma_f32 v[56:57], v[6:7], v[56:57], 0 op_sel_hi:[0,1,0]
	v_mad_u64_u32 v[60:61], s[72:73], v1, s37, v[2:3]
	s_waitcnt lgkmcnt(0)
	v_pk_fma_f32 v[56:57], v[8:9], v[58:59], v[56:57] op_sel_hi:[0,1,1]
	v_div_scale_f32 v1, s[72:73], v7, v7, v57
	v_rcp_f32_e32 v2, v1
	v_lshl_add_u32 v58, v60, 7, v12
	v_cvt_f32_f16_sdwa v61, v3 dst_sel:DWORD dst_unused:UNUSED_PAD src0_sel:WORD_1
	v_cvt_f32_f16_e32 v60, v3
	v_fma_f32 v4, -v1, v2, 1.0
	v_fmac_f32_e32 v2, v4, v2
	v_div_scale_f32 v4, vcc, v57, v7, v57
	v_mul_f32_e32 v9, v4, v2
	v_fma_f32 v13, -v1, v9, v4
	v_fmac_f32_e32 v9, v13, v2
	v_fma_f32 v1, -v1, v9, v4
	v_div_scale_f32 v4, s[72:73], v7, v7, v56
	v_rcp_f32_e32 v13, v4
	v_div_fmas_f32 v1, v1, v2, v9
	v_div_fixup_f32 v9, v1, v7, v57
	v_cvt_f32_f16_sdwa v3, v5 dst_sel:DWORD dst_unused:UNUSED_PAD src0_sel:WORD_1
	v_fma_f32 v1, -v4, v13, 1.0
	v_fmac_f32_e32 v13, v1, v13
	v_div_scale_f32 v1, vcc, v56, v7, v56
	v_mul_f32_e32 v16, v1, v13
	v_cvt_f32_f16_e32 v2, v5
	v_fma_f32 v35, -v4, v16, v1
	v_fmac_f32_e32 v16, v35, v13
	v_fma_f32 v1, -v4, v16, v1
	v_pk_fma_f32 v[4:5], v[6:7], v[60:61], 0 op_sel_hi:[0,1,0]
	v_pk_fma_f32 v[2:3], v[8:9], v[2:3], v[4:5] op_sel_hi:[0,1,1]
	v_div_scale_f32 v4, s[72:73], v7, v7, v3
	v_rcp_f32_e32 v5, v4
	v_div_fmas_f32 v1, v1, v13, v16
	v_div_fixup_f32 v8, v1, v7, v56
	v_ashrrev_i32_e32 v59, 31, v58
	v_fma_f32 v1, -v4, v5, 1.0
	v_fmac_f32_e32 v5, v1, v5
	v_div_scale_f32 v1, vcc, v3, v7, v3
	v_lshl_add_u64 v[58:59], v[58:59], 3, v[112:113]
	v_mul_f32_e32 v6, v1, v5
	global_store_dwordx2 v[58:59], v[8:9], off
	v_fma_f32 v8, -v4, v6, v1
	v_fmac_f32_e32 v6, v8, v5
	v_fma_f32 v1, -v4, v6, v1
	v_div_scale_f32 v4, s[72:73], v7, v7, v2
	v_rcp_f32_e32 v8, v4
	v_div_fmas_f32 v1, v1, v5, v6
	v_div_fixup_f32 v3, v1, v7, v3
	v_fma_f32 v1, -v4, v8, 1.0
	v_fmac_f32_e32 v8, v1, v8
	v_div_scale_f32 v1, vcc, v2, v7, v2
	v_mul_f32_e32 v5, v1, v8
	v_fma_f32 v6, -v4, v5, v1
	v_fmac_f32_e32 v5, v6, v8
	v_fma_f32 v1, -v4, v5, v1
	v_div_fmas_f32 v1, v1, v8, v5
	v_div_fixup_f32 v2, v1, v7, v2
	global_store_dwordx2 v[58:59], v[2:3], off offset:512
	v_mov_b32_e32 v2, 0
.LBB30_362:                             ;   in Loop: Header=BB30_12 Depth=1
	s_or_b64 exec, exec, s[12:13]
	v_cmp_gt_i32_e32 vcc, s95, v2
	s_mov_b64 s[12:13], -1
	s_and_saveexec_b64 s[72:73], vcc
; %bb.363:                              ;   in Loop: Header=BB30_12 Depth=1
	v_cmp_eq_u32_e32 vcc, 0, v2
	s_orn2_b64 s[12:13], vcc, exec
; %bb.364:                              ;   in Loop: Header=BB30_12 Depth=1
	s_or_b64 exec, exec, s[72:73]
	s_and_b64 exec, exec, s[12:13]
	s_cbranch_execz .LBB30_10
; %bb.365:                              ;   in Loop: Header=BB30_12 Depth=1
	v_accvgpr_read_b32 v1, a57
	v_add_u32_e32 v1, v1, v77
	v_cmp_gt_i32_e32 vcc, s36, v1
	s_and_b64 s[72:73], vcc, s[8:9]
	v_mov_b32_e32 v2, 0x47
	s_and_saveexec_b64 s[12:13], s[72:73]
	s_cbranch_execz .LBB30_367
; %bb.366:                              ;   in Loop: Header=BB30_12 Depth=1
	v_accvgpr_read_b32 v4, a75
	ds_read2st64_b32 v[2:3], v4 offset1:1
	ds_read2st64_b32 v[4:5], v4 offset0:33 offset1:34
	v_accvgpr_read_b32 v8, a58
	ds_read2_b32 v[6:7], v8 offset0:128 offset1:129
	ds_read_b32 v8, v8 offset:8960
	v_mad_u64_u32 v[60:61], s[72:73], v1, s37, v[74:75]
	s_waitcnt lgkmcnt(3)
	v_cvt_f32_f16_sdwa v57, v2 dst_sel:DWORD dst_unused:UNUSED_PAD src0_sel:WORD_1
	v_cvt_f32_f16_e32 v56, v2
	s_waitcnt lgkmcnt(2)
	v_cvt_f32_f16_sdwa v59, v4 dst_sel:DWORD dst_unused:UNUSED_PAD src0_sel:WORD_1
	v_cvt_f32_f16_e32 v58, v4
	v_cvt_f32_f16_sdwa v61, v3 dst_sel:DWORD dst_unused:UNUSED_PAD src0_sel:WORD_1
	s_waitcnt lgkmcnt(1)
	v_pk_fma_f32 v[56:57], v[6:7], v[56:57], 0 op_sel_hi:[0,1,0]
	s_waitcnt lgkmcnt(0)
	v_pk_fma_f32 v[56:57], v[8:9], v[58:59], v[56:57] op_sel_hi:[0,1,1]
	v_div_scale_f32 v1, s[72:73], v7, v7, v57
	v_rcp_f32_e32 v2, v1
	v_lshl_add_u32 v58, v60, 7, v12
	v_cvt_f32_f16_e32 v60, v3
	v_cvt_f32_f16_sdwa v3, v5 dst_sel:DWORD dst_unused:UNUSED_PAD src0_sel:WORD_1
	v_fma_f32 v4, -v1, v2, 1.0
	v_fmac_f32_e32 v2, v4, v2
	v_div_scale_f32 v4, vcc, v57, v7, v57
	v_mul_f32_e32 v9, v4, v2
	v_fma_f32 v13, -v1, v9, v4
	v_fmac_f32_e32 v9, v13, v2
	v_fma_f32 v1, -v1, v9, v4
	v_div_scale_f32 v4, s[72:73], v7, v7, v56
	v_rcp_f32_e32 v13, v4
	v_div_fmas_f32 v1, v1, v2, v9
	v_div_fixup_f32 v9, v1, v7, v57
	v_cvt_f32_f16_e32 v2, v5
	v_fma_f32 v1, -v4, v13, 1.0
	v_fmac_f32_e32 v13, v1, v13
	v_div_scale_f32 v1, vcc, v56, v7, v56
	v_mul_f32_e32 v16, v1, v13
	v_fma_f32 v35, -v4, v16, v1
	v_fmac_f32_e32 v16, v35, v13
	v_fma_f32 v1, -v4, v16, v1
	v_pk_fma_f32 v[4:5], v[6:7], v[60:61], 0 op_sel_hi:[0,1,0]
	v_pk_fma_f32 v[2:3], v[8:9], v[2:3], v[4:5] op_sel_hi:[0,1,1]
	v_div_scale_f32 v4, s[72:73], v7, v7, v3
	v_rcp_f32_e32 v5, v4
	v_div_fmas_f32 v1, v1, v13, v16
	v_div_fixup_f32 v8, v1, v7, v56
	v_ashrrev_i32_e32 v59, 31, v58
	v_fma_f32 v1, -v4, v5, 1.0
	v_fmac_f32_e32 v5, v1, v5
	v_div_scale_f32 v1, vcc, v3, v7, v3
	v_lshl_add_u64 v[58:59], v[58:59], 3, v[112:113]
	v_mul_f32_e32 v6, v1, v5
	global_store_dwordx2 v[58:59], v[8:9], off
	v_fma_f32 v8, -v4, v6, v1
	v_fmac_f32_e32 v6, v8, v5
	v_fma_f32 v1, -v4, v6, v1
	v_div_scale_f32 v4, s[72:73], v7, v7, v2
	v_rcp_f32_e32 v8, v4
	v_div_fmas_f32 v1, v1, v5, v6
	v_div_fixup_f32 v3, v1, v7, v3
	v_fma_f32 v1, -v4, v8, 1.0
	v_fmac_f32_e32 v8, v1, v8
	v_div_scale_f32 v1, vcc, v2, v7, v2
	v_mul_f32_e32 v5, v1, v8
	v_fma_f32 v6, -v4, v5, v1
	v_fmac_f32_e32 v5, v6, v8
	v_fma_f32 v1, -v4, v5, v1
	v_div_fmas_f32 v1, v1, v8, v5
	v_div_fixup_f32 v2, v1, v7, v2
	global_store_dwordx2 v[58:59], v[2:3], off offset:512
	v_mov_b32_e32 v2, 0
.LBB30_367:                             ;   in Loop: Header=BB30_12 Depth=1
	s_or_b64 exec, exec, s[12:13]
	v_cmp_gt_i32_e32 vcc, s95, v2
	s_mov_b64 s[12:13], -1
	s_and_saveexec_b64 s[72:73], vcc
; %bb.368:                              ;   in Loop: Header=BB30_12 Depth=1
	v_cmp_eq_u32_e32 vcc, 0, v2
	s_orn2_b64 s[12:13], vcc, exec
; %bb.369:                              ;   in Loop: Header=BB30_12 Depth=1
	s_or_b64 exec, exec, s[72:73]
	s_and_b64 exec, exec, s[12:13]
	s_cbranch_execz .LBB30_10
; %bb.370:                              ;   in Loop: Header=BB30_12 Depth=1
	v_accvgpr_read_b32 v1, a89
	v_accvgpr_read_b32 v2, a90
	v_add_u32_e32 v1, v1, v77
	v_or_b32_e32 v2, v2, v15
	v_cmp_gt_i32_e32 vcc, s36, v1
	v_cmp_gt_i32_e64 s[12:13], s74, v2
	s_and_b64 s[72:73], vcc, s[12:13]
	v_mov_b32_e32 v2, 0x47
	s_and_saveexec_b64 s[12:13], s[72:73]
	s_cbranch_execz .LBB30_372
; %bb.371:                              ;   in Loop: Header=BB30_12 Depth=1
	v_accvgpr_read_b32 v4, a76
	ds_read2st64_b32 v[2:3], v4 offset1:1
	ds_read2st64_b32 v[4:5], v4 offset0:33 offset1:34
	v_accvgpr_read_b32 v8, a59
	ds_read2_b32 v[6:7], v8 offset0:128 offset1:129
	ds_read_b32 v8, v8 offset:8960
	s_waitcnt lgkmcnt(3)
	v_cvt_f32_f16_sdwa v57, v2 dst_sel:DWORD dst_unused:UNUSED_PAD src0_sel:WORD_1
	v_cvt_f32_f16_e32 v56, v2
	s_waitcnt lgkmcnt(2)
	v_cvt_f32_f16_sdwa v59, v4 dst_sel:DWORD dst_unused:UNUSED_PAD src0_sel:WORD_1
	v_cvt_f32_f16_e32 v58, v4
	v_accvgpr_read_b32 v2, a90
	s_waitcnt lgkmcnt(1)
	v_pk_fma_f32 v[56:57], v[6:7], v[56:57], 0 op_sel_hi:[0,1,0]
	v_mad_u64_u32 v[60:61], s[72:73], v1, s37, v[2:3]
	s_waitcnt lgkmcnt(0)
	v_pk_fma_f32 v[56:57], v[8:9], v[58:59], v[56:57] op_sel_hi:[0,1,1]
	v_div_scale_f32 v1, s[72:73], v7, v7, v57
	v_rcp_f32_e32 v2, v1
	v_lshl_add_u32 v58, v60, 7, v12
	v_cvt_f32_f16_sdwa v61, v3 dst_sel:DWORD dst_unused:UNUSED_PAD src0_sel:WORD_1
	v_cvt_f32_f16_e32 v60, v3
	v_fma_f32 v4, -v1, v2, 1.0
	v_fmac_f32_e32 v2, v4, v2
	v_div_scale_f32 v4, vcc, v57, v7, v57
	v_mul_f32_e32 v9, v4, v2
	v_fma_f32 v13, -v1, v9, v4
	v_fmac_f32_e32 v9, v13, v2
	v_fma_f32 v1, -v1, v9, v4
	v_div_scale_f32 v4, s[72:73], v7, v7, v56
	v_rcp_f32_e32 v13, v4
	v_div_fmas_f32 v1, v1, v2, v9
	v_div_fixup_f32 v9, v1, v7, v57
	v_cvt_f32_f16_sdwa v3, v5 dst_sel:DWORD dst_unused:UNUSED_PAD src0_sel:WORD_1
	v_fma_f32 v1, -v4, v13, 1.0
	v_fmac_f32_e32 v13, v1, v13
	v_div_scale_f32 v1, vcc, v56, v7, v56
	v_mul_f32_e32 v16, v1, v13
	v_cvt_f32_f16_e32 v2, v5
	v_fma_f32 v35, -v4, v16, v1
	v_fmac_f32_e32 v16, v35, v13
	v_fma_f32 v1, -v4, v16, v1
	v_pk_fma_f32 v[4:5], v[6:7], v[60:61], 0 op_sel_hi:[0,1,0]
	v_pk_fma_f32 v[2:3], v[8:9], v[2:3], v[4:5] op_sel_hi:[0,1,1]
	v_div_scale_f32 v4, s[72:73], v7, v7, v3
	v_rcp_f32_e32 v5, v4
	v_div_fmas_f32 v1, v1, v13, v16
	v_div_fixup_f32 v8, v1, v7, v56
	v_ashrrev_i32_e32 v59, 31, v58
	v_fma_f32 v1, -v4, v5, 1.0
	v_fmac_f32_e32 v5, v1, v5
	v_div_scale_f32 v1, vcc, v3, v7, v3
	v_lshl_add_u64 v[58:59], v[58:59], 3, v[112:113]
	v_mul_f32_e32 v6, v1, v5
	global_store_dwordx2 v[58:59], v[8:9], off
	v_fma_f32 v8, -v4, v6, v1
	v_fmac_f32_e32 v6, v8, v5
	v_fma_f32 v1, -v4, v6, v1
	v_div_scale_f32 v4, s[72:73], v7, v7, v2
	v_rcp_f32_e32 v8, v4
	v_div_fmas_f32 v1, v1, v5, v6
	v_div_fixup_f32 v3, v1, v7, v3
	v_fma_f32 v1, -v4, v8, 1.0
	v_fmac_f32_e32 v8, v1, v8
	v_div_scale_f32 v1, vcc, v2, v7, v2
	v_mul_f32_e32 v5, v1, v8
	v_fma_f32 v6, -v4, v5, v1
	v_fmac_f32_e32 v5, v6, v8
	v_fma_f32 v1, -v4, v5, v1
	v_div_fmas_f32 v1, v1, v8, v5
	v_div_fixup_f32 v2, v1, v7, v2
	global_store_dwordx2 v[58:59], v[2:3], off offset:512
	v_mov_b32_e32 v2, 0
.LBB30_372:                             ;   in Loop: Header=BB30_12 Depth=1
	s_or_b64 exec, exec, s[12:13]
	v_cmp_gt_i32_e32 vcc, s95, v2
	s_mov_b64 s[12:13], -1
	s_and_saveexec_b64 s[72:73], vcc
; %bb.373:                              ;   in Loop: Header=BB30_12 Depth=1
	v_cmp_eq_u32_e32 vcc, 0, v2
	s_orn2_b64 s[12:13], vcc, exec
; %bb.374:                              ;   in Loop: Header=BB30_12 Depth=1
	s_or_b64 exec, exec, s[72:73]
	s_and_b64 exec, exec, s[12:13]
	s_cbranch_execz .LBB30_10
; %bb.375:                              ;   in Loop: Header=BB30_12 Depth=1
	v_accvgpr_read_b32 v1, a60
	v_add_u32_e32 v1, v1, v77
	v_cmp_gt_i32_e32 vcc, s36, v1
	s_and_b64 s[72:73], vcc, s[8:9]
	v_mov_b32_e32 v2, 0x47
	s_and_saveexec_b64 s[12:13], s[72:73]
	s_cbranch_execz .LBB30_377
; %bb.376:                              ;   in Loop: Header=BB30_12 Depth=1
	v_accvgpr_read_b32 v4, a77
	ds_read2st64_b32 v[2:3], v4 offset1:1
	ds_read2st64_b32 v[4:5], v4 offset0:33 offset1:34
	v_accvgpr_read_b32 v8, a61
	ds_read2_b32 v[6:7], v8 offset0:128 offset1:129
	ds_read_b32 v8, v8 offset:8960
	v_mad_u64_u32 v[60:61], s[72:73], v1, s37, v[74:75]
	s_waitcnt lgkmcnt(3)
	v_cvt_f32_f16_sdwa v57, v2 dst_sel:DWORD dst_unused:UNUSED_PAD src0_sel:WORD_1
	v_cvt_f32_f16_e32 v56, v2
	s_waitcnt lgkmcnt(2)
	v_cvt_f32_f16_sdwa v59, v4 dst_sel:DWORD dst_unused:UNUSED_PAD src0_sel:WORD_1
	v_cvt_f32_f16_e32 v58, v4
	v_cvt_f32_f16_sdwa v61, v3 dst_sel:DWORD dst_unused:UNUSED_PAD src0_sel:WORD_1
	s_waitcnt lgkmcnt(1)
	v_pk_fma_f32 v[56:57], v[6:7], v[56:57], 0 op_sel_hi:[0,1,0]
	s_waitcnt lgkmcnt(0)
	v_pk_fma_f32 v[56:57], v[8:9], v[58:59], v[56:57] op_sel_hi:[0,1,1]
	v_div_scale_f32 v1, s[72:73], v7, v7, v57
	v_rcp_f32_e32 v2, v1
	v_lshl_add_u32 v58, v60, 7, v12
	v_cvt_f32_f16_e32 v60, v3
	v_cvt_f32_f16_sdwa v3, v5 dst_sel:DWORD dst_unused:UNUSED_PAD src0_sel:WORD_1
	v_fma_f32 v4, -v1, v2, 1.0
	v_fmac_f32_e32 v2, v4, v2
	v_div_scale_f32 v4, vcc, v57, v7, v57
	v_mul_f32_e32 v9, v4, v2
	v_fma_f32 v13, -v1, v9, v4
	v_fmac_f32_e32 v9, v13, v2
	v_fma_f32 v1, -v1, v9, v4
	v_div_scale_f32 v4, s[72:73], v7, v7, v56
	v_rcp_f32_e32 v13, v4
	v_div_fmas_f32 v1, v1, v2, v9
	v_div_fixup_f32 v9, v1, v7, v57
	v_cvt_f32_f16_e32 v2, v5
	v_fma_f32 v1, -v4, v13, 1.0
	v_fmac_f32_e32 v13, v1, v13
	v_div_scale_f32 v1, vcc, v56, v7, v56
	v_mul_f32_e32 v16, v1, v13
	v_fma_f32 v35, -v4, v16, v1
	v_fmac_f32_e32 v16, v35, v13
	v_fma_f32 v1, -v4, v16, v1
	v_pk_fma_f32 v[4:5], v[6:7], v[60:61], 0 op_sel_hi:[0,1,0]
	v_pk_fma_f32 v[2:3], v[8:9], v[2:3], v[4:5] op_sel_hi:[0,1,1]
	v_div_scale_f32 v4, s[72:73], v7, v7, v3
	v_rcp_f32_e32 v5, v4
	v_div_fmas_f32 v1, v1, v13, v16
	v_div_fixup_f32 v8, v1, v7, v56
	v_ashrrev_i32_e32 v59, 31, v58
	v_fma_f32 v1, -v4, v5, 1.0
	v_fmac_f32_e32 v5, v1, v5
	v_div_scale_f32 v1, vcc, v3, v7, v3
	v_lshl_add_u64 v[58:59], v[58:59], 3, v[112:113]
	v_mul_f32_e32 v6, v1, v5
	global_store_dwordx2 v[58:59], v[8:9], off
	v_fma_f32 v8, -v4, v6, v1
	v_fmac_f32_e32 v6, v8, v5
	v_fma_f32 v1, -v4, v6, v1
	v_div_scale_f32 v4, s[72:73], v7, v7, v2
	v_rcp_f32_e32 v8, v4
	v_div_fmas_f32 v1, v1, v5, v6
	v_div_fixup_f32 v3, v1, v7, v3
	v_fma_f32 v1, -v4, v8, 1.0
	v_fmac_f32_e32 v8, v1, v8
	v_div_scale_f32 v1, vcc, v2, v7, v2
	v_mul_f32_e32 v5, v1, v8
	v_fma_f32 v6, -v4, v5, v1
	v_fmac_f32_e32 v5, v6, v8
	v_fma_f32 v1, -v4, v5, v1
	v_div_fmas_f32 v1, v1, v8, v5
	v_div_fixup_f32 v2, v1, v7, v2
	global_store_dwordx2 v[58:59], v[2:3], off offset:512
	v_mov_b32_e32 v2, 0
.LBB30_377:                             ;   in Loop: Header=BB30_12 Depth=1
	s_or_b64 exec, exec, s[12:13]
	v_cmp_gt_i32_e32 vcc, s95, v2
	s_mov_b64 s[12:13], -1
	s_and_saveexec_b64 s[72:73], vcc
; %bb.378:                              ;   in Loop: Header=BB30_12 Depth=1
	v_cmp_eq_u32_e32 vcc, 0, v2
	s_orn2_b64 s[12:13], vcc, exec
; %bb.379:                              ;   in Loop: Header=BB30_12 Depth=1
	s_or_b64 exec, exec, s[72:73]
	s_and_b64 exec, exec, s[12:13]
	s_cbranch_execz .LBB30_10
; %bb.380:                              ;   in Loop: Header=BB30_12 Depth=1
	v_accvgpr_read_b32 v1, a91
	v_accvgpr_read_b32 v2, a92
	v_add_u32_e32 v1, v1, v77
	v_or_b32_e32 v2, v2, v15
	v_cmp_gt_i32_e32 vcc, s36, v1
	v_cmp_gt_i32_e64 s[12:13], s74, v2
	s_and_b64 s[72:73], vcc, s[12:13]
	v_mov_b32_e32 v2, 0x47
	s_and_saveexec_b64 s[12:13], s[72:73]
	s_cbranch_execz .LBB30_382
; %bb.381:                              ;   in Loop: Header=BB30_12 Depth=1
	v_accvgpr_read_b32 v4, a78
	ds_read2st64_b32 v[2:3], v4 offset1:1
	ds_read2st64_b32 v[4:5], v4 offset0:33 offset1:34
	v_accvgpr_read_b32 v8, a62
	ds_read2_b32 v[6:7], v8 offset0:128 offset1:129
	ds_read_b32 v8, v8 offset:8960
	s_waitcnt lgkmcnt(3)
	v_cvt_f32_f16_sdwa v57, v2 dst_sel:DWORD dst_unused:UNUSED_PAD src0_sel:WORD_1
	v_cvt_f32_f16_e32 v56, v2
	s_waitcnt lgkmcnt(2)
	v_cvt_f32_f16_sdwa v59, v4 dst_sel:DWORD dst_unused:UNUSED_PAD src0_sel:WORD_1
	v_cvt_f32_f16_e32 v58, v4
	v_accvgpr_read_b32 v2, a92
	s_waitcnt lgkmcnt(1)
	v_pk_fma_f32 v[56:57], v[6:7], v[56:57], 0 op_sel_hi:[0,1,0]
	v_mad_u64_u32 v[60:61], s[72:73], v1, s37, v[2:3]
	s_waitcnt lgkmcnt(0)
	v_pk_fma_f32 v[56:57], v[8:9], v[58:59], v[56:57] op_sel_hi:[0,1,1]
	v_div_scale_f32 v1, s[72:73], v7, v7, v57
	v_rcp_f32_e32 v2, v1
	v_lshl_add_u32 v58, v60, 7, v12
	v_cvt_f32_f16_sdwa v61, v3 dst_sel:DWORD dst_unused:UNUSED_PAD src0_sel:WORD_1
	v_cvt_f32_f16_e32 v60, v3
	v_fma_f32 v4, -v1, v2, 1.0
	v_fmac_f32_e32 v2, v4, v2
	v_div_scale_f32 v4, vcc, v57, v7, v57
	v_mul_f32_e32 v9, v4, v2
	v_fma_f32 v13, -v1, v9, v4
	v_fmac_f32_e32 v9, v13, v2
	v_fma_f32 v1, -v1, v9, v4
	v_div_scale_f32 v4, s[72:73], v7, v7, v56
	v_rcp_f32_e32 v13, v4
	v_div_fmas_f32 v1, v1, v2, v9
	v_div_fixup_f32 v9, v1, v7, v57
	v_cvt_f32_f16_sdwa v3, v5 dst_sel:DWORD dst_unused:UNUSED_PAD src0_sel:WORD_1
	v_fma_f32 v1, -v4, v13, 1.0
	v_fmac_f32_e32 v13, v1, v13
	v_div_scale_f32 v1, vcc, v56, v7, v56
	v_mul_f32_e32 v16, v1, v13
	v_cvt_f32_f16_e32 v2, v5
	v_fma_f32 v35, -v4, v16, v1
	v_fmac_f32_e32 v16, v35, v13
	v_fma_f32 v1, -v4, v16, v1
	v_pk_fma_f32 v[4:5], v[6:7], v[60:61], 0 op_sel_hi:[0,1,0]
	v_pk_fma_f32 v[2:3], v[8:9], v[2:3], v[4:5] op_sel_hi:[0,1,1]
	v_div_scale_f32 v4, s[72:73], v7, v7, v3
	v_rcp_f32_e32 v5, v4
	v_div_fmas_f32 v1, v1, v13, v16
	v_div_fixup_f32 v8, v1, v7, v56
	v_ashrrev_i32_e32 v59, 31, v58
	v_fma_f32 v1, -v4, v5, 1.0
	v_fmac_f32_e32 v5, v1, v5
	v_div_scale_f32 v1, vcc, v3, v7, v3
	v_lshl_add_u64 v[58:59], v[58:59], 3, v[112:113]
	v_mul_f32_e32 v6, v1, v5
	global_store_dwordx2 v[58:59], v[8:9], off
	v_fma_f32 v8, -v4, v6, v1
	v_fmac_f32_e32 v6, v8, v5
	v_fma_f32 v1, -v4, v6, v1
	v_div_scale_f32 v4, s[72:73], v7, v7, v2
	v_rcp_f32_e32 v8, v4
	v_div_fmas_f32 v1, v1, v5, v6
	v_div_fixup_f32 v3, v1, v7, v3
	v_fma_f32 v1, -v4, v8, 1.0
	v_fmac_f32_e32 v8, v1, v8
	v_div_scale_f32 v1, vcc, v2, v7, v2
	v_mul_f32_e32 v5, v1, v8
	v_fma_f32 v6, -v4, v5, v1
	v_fmac_f32_e32 v5, v6, v8
	v_fma_f32 v1, -v4, v5, v1
	v_div_fmas_f32 v1, v1, v8, v5
	v_div_fixup_f32 v2, v1, v7, v2
	global_store_dwordx2 v[58:59], v[2:3], off offset:512
	v_mov_b32_e32 v2, 0
.LBB30_382:                             ;   in Loop: Header=BB30_12 Depth=1
	s_or_b64 exec, exec, s[12:13]
	v_cmp_gt_i32_e32 vcc, s95, v2
	s_mov_b64 s[12:13], -1
	s_and_saveexec_b64 s[72:73], vcc
; %bb.383:                              ;   in Loop: Header=BB30_12 Depth=1
	v_cmp_eq_u32_e32 vcc, 0, v2
	s_orn2_b64 s[12:13], vcc, exec
; %bb.384:                              ;   in Loop: Header=BB30_12 Depth=1
	s_or_b64 exec, exec, s[72:73]
	s_and_b64 exec, exec, s[12:13]
	s_cbranch_execz .LBB30_10
; %bb.385:                              ;   in Loop: Header=BB30_12 Depth=1
	v_accvgpr_read_b32 v1, a63
	v_add_u32_e32 v1, v1, v77
	v_cmp_gt_i32_e32 vcc, s36, v1
	s_and_b64 s[72:73], vcc, s[8:9]
	v_mov_b32_e32 v2, 0x47
	s_and_saveexec_b64 s[12:13], s[72:73]
	s_cbranch_execz .LBB30_387
; %bb.386:                              ;   in Loop: Header=BB30_12 Depth=1
	v_accvgpr_read_b32 v4, a79
	ds_read2st64_b32 v[2:3], v4 offset1:1
	ds_read2st64_b32 v[4:5], v4 offset0:33 offset1:34
	v_accvgpr_read_b32 v8, a64
	ds_read2_b32 v[6:7], v8 offset0:128 offset1:129
	ds_read_b32 v8, v8 offset:8960
	v_mad_u64_u32 v[60:61], s[72:73], v1, s37, v[74:75]
	s_waitcnt lgkmcnt(3)
	v_cvt_f32_f16_sdwa v57, v2 dst_sel:DWORD dst_unused:UNUSED_PAD src0_sel:WORD_1
	v_cvt_f32_f16_e32 v56, v2
	s_waitcnt lgkmcnt(2)
	v_cvt_f32_f16_sdwa v59, v4 dst_sel:DWORD dst_unused:UNUSED_PAD src0_sel:WORD_1
	v_cvt_f32_f16_e32 v58, v4
	v_cvt_f32_f16_sdwa v61, v3 dst_sel:DWORD dst_unused:UNUSED_PAD src0_sel:WORD_1
	s_waitcnt lgkmcnt(1)
	v_pk_fma_f32 v[56:57], v[6:7], v[56:57], 0 op_sel_hi:[0,1,0]
	s_waitcnt lgkmcnt(0)
	v_pk_fma_f32 v[56:57], v[8:9], v[58:59], v[56:57] op_sel_hi:[0,1,1]
	v_div_scale_f32 v1, s[72:73], v7, v7, v57
	v_rcp_f32_e32 v2, v1
	v_lshl_add_u32 v58, v60, 7, v12
	v_cvt_f32_f16_e32 v60, v3
	v_cvt_f32_f16_sdwa v3, v5 dst_sel:DWORD dst_unused:UNUSED_PAD src0_sel:WORD_1
	v_fma_f32 v4, -v1, v2, 1.0
	v_fmac_f32_e32 v2, v4, v2
	v_div_scale_f32 v4, vcc, v57, v7, v57
	v_mul_f32_e32 v9, v4, v2
	v_fma_f32 v13, -v1, v9, v4
	v_fmac_f32_e32 v9, v13, v2
	v_fma_f32 v1, -v1, v9, v4
	v_div_scale_f32 v4, s[72:73], v7, v7, v56
	v_rcp_f32_e32 v13, v4
	v_div_fmas_f32 v1, v1, v2, v9
	v_div_fixup_f32 v9, v1, v7, v57
	v_cvt_f32_f16_e32 v2, v5
	v_fma_f32 v1, -v4, v13, 1.0
	v_fmac_f32_e32 v13, v1, v13
	v_div_scale_f32 v1, vcc, v56, v7, v56
	v_mul_f32_e32 v16, v1, v13
	v_fma_f32 v35, -v4, v16, v1
	v_fmac_f32_e32 v16, v35, v13
	v_fma_f32 v1, -v4, v16, v1
	v_pk_fma_f32 v[4:5], v[6:7], v[60:61], 0 op_sel_hi:[0,1,0]
	v_pk_fma_f32 v[2:3], v[8:9], v[2:3], v[4:5] op_sel_hi:[0,1,1]
	v_div_scale_f32 v4, s[72:73], v7, v7, v3
	v_rcp_f32_e32 v5, v4
	v_div_fmas_f32 v1, v1, v13, v16
	v_div_fixup_f32 v8, v1, v7, v56
	v_ashrrev_i32_e32 v59, 31, v58
	v_fma_f32 v1, -v4, v5, 1.0
	v_fmac_f32_e32 v5, v1, v5
	v_div_scale_f32 v1, vcc, v3, v7, v3
	v_lshl_add_u64 v[58:59], v[58:59], 3, v[112:113]
	v_mul_f32_e32 v6, v1, v5
	global_store_dwordx2 v[58:59], v[8:9], off
	v_fma_f32 v8, -v4, v6, v1
	v_fmac_f32_e32 v6, v8, v5
	v_fma_f32 v1, -v4, v6, v1
	v_div_scale_f32 v4, s[72:73], v7, v7, v2
	v_rcp_f32_e32 v8, v4
	v_div_fmas_f32 v1, v1, v5, v6
	v_div_fixup_f32 v3, v1, v7, v3
	v_fma_f32 v1, -v4, v8, 1.0
	v_fmac_f32_e32 v8, v1, v8
	v_div_scale_f32 v1, vcc, v2, v7, v2
	v_mul_f32_e32 v5, v1, v8
	v_fma_f32 v6, -v4, v5, v1
	v_fmac_f32_e32 v5, v6, v8
	v_fma_f32 v1, -v4, v5, v1
	v_div_fmas_f32 v1, v1, v8, v5
	v_div_fixup_f32 v2, v1, v7, v2
	global_store_dwordx2 v[58:59], v[2:3], off offset:512
	v_mov_b32_e32 v2, 0
.LBB30_387:                             ;   in Loop: Header=BB30_12 Depth=1
	s_or_b64 exec, exec, s[12:13]
	v_cmp_gt_i32_e32 vcc, s95, v2
	s_mov_b64 s[12:13], -1
	s_and_saveexec_b64 s[72:73], vcc
; %bb.388:                              ;   in Loop: Header=BB30_12 Depth=1
	v_cmp_eq_u32_e32 vcc, 0, v2
	s_orn2_b64 s[12:13], vcc, exec
; %bb.389:                              ;   in Loop: Header=BB30_12 Depth=1
	s_or_b64 exec, exec, s[72:73]
	s_and_b64 exec, exec, s[12:13]
	s_cbranch_execz .LBB30_10
; %bb.390:                              ;   in Loop: Header=BB30_12 Depth=1
	v_accvgpr_read_b32 v1, a93
	v_accvgpr_read_b32 v2, a94
	v_add_u32_e32 v1, v1, v77
	v_or_b32_e32 v2, v2, v15
	v_cmp_gt_i32_e32 vcc, s36, v1
	v_cmp_gt_i32_e64 s[12:13], s74, v2
	s_and_b64 s[72:73], vcc, s[12:13]
	v_mov_b32_e32 v2, 0x47
	s_and_saveexec_b64 s[12:13], s[72:73]
	s_cbranch_execz .LBB30_392
; %bb.391:                              ;   in Loop: Header=BB30_12 Depth=1
	v_accvgpr_read_b32 v4, a80
	ds_read2st64_b32 v[2:3], v4 offset1:1
	ds_read2st64_b32 v[4:5], v4 offset0:33 offset1:34
	v_accvgpr_read_b32 v8, a65
	ds_read2_b32 v[6:7], v8 offset0:128 offset1:129
	ds_read_b32 v8, v8 offset:8960
	s_waitcnt lgkmcnt(3)
	v_cvt_f32_f16_sdwa v57, v2 dst_sel:DWORD dst_unused:UNUSED_PAD src0_sel:WORD_1
	v_cvt_f32_f16_e32 v56, v2
	s_waitcnt lgkmcnt(2)
	v_cvt_f32_f16_sdwa v59, v4 dst_sel:DWORD dst_unused:UNUSED_PAD src0_sel:WORD_1
	v_cvt_f32_f16_e32 v58, v4
	v_accvgpr_read_b32 v2, a94
	s_waitcnt lgkmcnt(1)
	v_pk_fma_f32 v[56:57], v[6:7], v[56:57], 0 op_sel_hi:[0,1,0]
	v_mad_u64_u32 v[60:61], s[72:73], v1, s37, v[2:3]
	s_waitcnt lgkmcnt(0)
	v_pk_fma_f32 v[56:57], v[8:9], v[58:59], v[56:57] op_sel_hi:[0,1,1]
	v_div_scale_f32 v1, s[72:73], v7, v7, v57
	v_rcp_f32_e32 v2, v1
	v_lshl_add_u32 v58, v60, 7, v12
	v_cvt_f32_f16_sdwa v61, v3 dst_sel:DWORD dst_unused:UNUSED_PAD src0_sel:WORD_1
	v_cvt_f32_f16_e32 v60, v3
	v_fma_f32 v4, -v1, v2, 1.0
	v_fmac_f32_e32 v2, v4, v2
	v_div_scale_f32 v4, vcc, v57, v7, v57
	v_mul_f32_e32 v9, v4, v2
	v_fma_f32 v13, -v1, v9, v4
	v_fmac_f32_e32 v9, v13, v2
	v_fma_f32 v1, -v1, v9, v4
	v_div_scale_f32 v4, s[72:73], v7, v7, v56
	v_rcp_f32_e32 v13, v4
	v_div_fmas_f32 v1, v1, v2, v9
	v_div_fixup_f32 v9, v1, v7, v57
	v_cvt_f32_f16_sdwa v3, v5 dst_sel:DWORD dst_unused:UNUSED_PAD src0_sel:WORD_1
	v_fma_f32 v1, -v4, v13, 1.0
	v_fmac_f32_e32 v13, v1, v13
	v_div_scale_f32 v1, vcc, v56, v7, v56
	v_mul_f32_e32 v16, v1, v13
	v_cvt_f32_f16_e32 v2, v5
	v_fma_f32 v35, -v4, v16, v1
	v_fmac_f32_e32 v16, v35, v13
	v_fma_f32 v1, -v4, v16, v1
	v_pk_fma_f32 v[4:5], v[6:7], v[60:61], 0 op_sel_hi:[0,1,0]
	v_pk_fma_f32 v[2:3], v[8:9], v[2:3], v[4:5] op_sel_hi:[0,1,1]
	v_div_scale_f32 v4, s[72:73], v7, v7, v3
	v_rcp_f32_e32 v5, v4
	v_div_fmas_f32 v1, v1, v13, v16
	v_div_fixup_f32 v8, v1, v7, v56
	v_ashrrev_i32_e32 v59, 31, v58
	v_fma_f32 v1, -v4, v5, 1.0
	v_fmac_f32_e32 v5, v1, v5
	v_div_scale_f32 v1, vcc, v3, v7, v3
	v_lshl_add_u64 v[58:59], v[58:59], 3, v[112:113]
	v_mul_f32_e32 v6, v1, v5
	global_store_dwordx2 v[58:59], v[8:9], off
	v_fma_f32 v8, -v4, v6, v1
	v_fmac_f32_e32 v6, v8, v5
	v_fma_f32 v1, -v4, v6, v1
	v_div_scale_f32 v4, s[72:73], v7, v7, v2
	v_rcp_f32_e32 v8, v4
	v_div_fmas_f32 v1, v1, v5, v6
	v_div_fixup_f32 v3, v1, v7, v3
	v_fma_f32 v1, -v4, v8, 1.0
	v_fmac_f32_e32 v8, v1, v8
	v_div_scale_f32 v1, vcc, v2, v7, v2
	v_mul_f32_e32 v5, v1, v8
	v_fma_f32 v6, -v4, v5, v1
	v_fmac_f32_e32 v5, v6, v8
	v_fma_f32 v1, -v4, v5, v1
	v_div_fmas_f32 v1, v1, v8, v5
	v_div_fixup_f32 v2, v1, v7, v2
	global_store_dwordx2 v[58:59], v[2:3], off offset:512
	v_mov_b32_e32 v2, 0
.LBB30_392:                             ;   in Loop: Header=BB30_12 Depth=1
	s_or_b64 exec, exec, s[12:13]
	v_cmp_gt_i32_e32 vcc, s95, v2
	s_mov_b64 s[12:13], -1
	s_and_saveexec_b64 s[72:73], vcc
; %bb.393:                              ;   in Loop: Header=BB30_12 Depth=1
	v_cmp_eq_u32_e32 vcc, 0, v2
	s_orn2_b64 s[12:13], vcc, exec
; %bb.394:                              ;   in Loop: Header=BB30_12 Depth=1
	s_or_b64 exec, exec, s[72:73]
	s_and_b64 exec, exec, s[12:13]
	s_cbranch_execz .LBB30_10
; %bb.395:                              ;   in Loop: Header=BB30_12 Depth=1
	v_accvgpr_read_b32 v1, a66
	v_add_u32_e32 v1, v1, v77
	v_cmp_gt_i32_e32 vcc, s36, v1
	s_and_b64 s[12:13], vcc, s[8:9]
	v_mov_b32_e32 v2, 0x47
	s_and_saveexec_b64 s[8:9], s[12:13]
	s_cbranch_execz .LBB30_397
; %bb.396:                              ;   in Loop: Header=BB30_12 Depth=1
	v_accvgpr_read_b32 v4, a81
	ds_read2st64_b32 v[2:3], v4 offset1:1
	ds_read2st64_b32 v[4:5], v4 offset0:33 offset1:34
	v_accvgpr_read_b32 v8, a67
	ds_read2_b32 v[6:7], v8 offset0:128 offset1:129
	ds_read_b32 v8, v8 offset:8960
	v_mad_u64_u32 v[60:61], s[12:13], v1, s37, v[74:75]
	s_waitcnt lgkmcnt(3)
	v_cvt_f32_f16_sdwa v57, v2 dst_sel:DWORD dst_unused:UNUSED_PAD src0_sel:WORD_1
	v_cvt_f32_f16_e32 v56, v2
	s_waitcnt lgkmcnt(2)
	v_cvt_f32_f16_sdwa v59, v4 dst_sel:DWORD dst_unused:UNUSED_PAD src0_sel:WORD_1
	v_cvt_f32_f16_e32 v58, v4
	v_cvt_f32_f16_sdwa v61, v3 dst_sel:DWORD dst_unused:UNUSED_PAD src0_sel:WORD_1
	s_waitcnt lgkmcnt(1)
	v_pk_fma_f32 v[56:57], v[6:7], v[56:57], 0 op_sel_hi:[0,1,0]
	s_waitcnt lgkmcnt(0)
	v_pk_fma_f32 v[56:57], v[8:9], v[58:59], v[56:57] op_sel_hi:[0,1,1]
	v_div_scale_f32 v1, s[12:13], v7, v7, v57
	v_rcp_f32_e32 v2, v1
	v_lshl_add_u32 v58, v60, 7, v12
	v_cvt_f32_f16_e32 v60, v3
	v_cvt_f32_f16_sdwa v3, v5 dst_sel:DWORD dst_unused:UNUSED_PAD src0_sel:WORD_1
	v_fma_f32 v4, -v1, v2, 1.0
	v_fmac_f32_e32 v2, v4, v2
	v_div_scale_f32 v4, vcc, v57, v7, v57
	v_mul_f32_e32 v9, v4, v2
	v_fma_f32 v13, -v1, v9, v4
	v_fmac_f32_e32 v9, v13, v2
	v_fma_f32 v1, -v1, v9, v4
	v_div_scale_f32 v4, s[12:13], v7, v7, v56
	v_rcp_f32_e32 v13, v4
	v_div_fmas_f32 v1, v1, v2, v9
	v_div_fixup_f32 v9, v1, v7, v57
	v_cvt_f32_f16_e32 v2, v5
	v_fma_f32 v1, -v4, v13, 1.0
	v_fmac_f32_e32 v13, v1, v13
	v_div_scale_f32 v1, vcc, v56, v7, v56
	v_mul_f32_e32 v16, v1, v13
	v_fma_f32 v35, -v4, v16, v1
	v_fmac_f32_e32 v16, v35, v13
	v_fma_f32 v1, -v4, v16, v1
	v_pk_fma_f32 v[4:5], v[6:7], v[60:61], 0 op_sel_hi:[0,1,0]
	v_pk_fma_f32 v[2:3], v[8:9], v[2:3], v[4:5] op_sel_hi:[0,1,1]
	v_div_scale_f32 v4, s[12:13], v7, v7, v3
	v_rcp_f32_e32 v5, v4
	v_div_fmas_f32 v1, v1, v13, v16
	v_div_fixup_f32 v8, v1, v7, v56
	v_ashrrev_i32_e32 v59, 31, v58
	v_fma_f32 v1, -v4, v5, 1.0
	v_fmac_f32_e32 v5, v1, v5
	v_div_scale_f32 v1, vcc, v3, v7, v3
	v_lshl_add_u64 v[58:59], v[58:59], 3, v[112:113]
	v_mul_f32_e32 v6, v1, v5
	global_store_dwordx2 v[58:59], v[8:9], off
	v_fma_f32 v8, -v4, v6, v1
	v_fmac_f32_e32 v6, v8, v5
	v_fma_f32 v1, -v4, v6, v1
	v_div_scale_f32 v4, s[12:13], v7, v7, v2
	v_rcp_f32_e32 v8, v4
	v_div_fmas_f32 v1, v1, v5, v6
	v_div_fixup_f32 v3, v1, v7, v3
	v_fma_f32 v1, -v4, v8, 1.0
	v_fmac_f32_e32 v8, v1, v8
	v_div_scale_f32 v1, vcc, v2, v7, v2
	v_mul_f32_e32 v5, v1, v8
	v_fma_f32 v6, -v4, v5, v1
	v_fmac_f32_e32 v5, v6, v8
	v_fma_f32 v1, -v4, v5, v1
	v_div_fmas_f32 v1, v1, v8, v5
	v_div_fixup_f32 v2, v1, v7, v2
	global_store_dwordx2 v[58:59], v[2:3], off offset:512
	v_mov_b32_e32 v2, 0
.LBB30_397:                             ;   in Loop: Header=BB30_12 Depth=1
	s_or_b64 exec, exec, s[8:9]
	v_cmp_gt_i32_e32 vcc, s95, v2
	s_mov_b64 s[8:9], -1
	s_and_saveexec_b64 s[12:13], vcc
; %bb.398:                              ;   in Loop: Header=BB30_12 Depth=1
	v_cmp_eq_u32_e32 vcc, 0, v2
	s_orn2_b64 s[8:9], vcc, exec
; %bb.399:                              ;   in Loop: Header=BB30_12 Depth=1
	s_or_b64 exec, exec, s[12:13]
	s_and_b64 exec, exec, s[8:9]
	s_cbranch_execz .LBB30_10
; %bb.400:                              ;   in Loop: Header=BB30_12 Depth=1
	v_accvgpr_read_b32 v1, a95
	v_accvgpr_read_b32 v2, a96
	v_add_u32_e32 v1, v1, v77
	v_or_b32_e32 v2, v2, v15
	v_cmp_gt_i32_e32 vcc, s36, v1
	v_cmp_gt_i32_e64 s[8:9], s74, v2
	s_and_b64 s[8:9], vcc, s[8:9]
	s_and_b64 exec, exec, s[8:9]
	s_cbranch_execz .LBB30_10
; %bb.401:                              ;   in Loop: Header=BB30_12 Depth=1
	v_accvgpr_read_b32 v4, a82
	ds_read2st64_b32 v[2:3], v4 offset1:1
	ds_read2st64_b32 v[4:5], v4 offset0:33 offset1:34
	v_accvgpr_read_b32 v8, a68
	ds_read2_b32 v[6:7], v8 offset0:128 offset1:129
	ds_read_b32 v8, v8 offset:8960
	s_waitcnt lgkmcnt(3)
	v_cvt_f32_f16_sdwa v57, v2 dst_sel:DWORD dst_unused:UNUSED_PAD src0_sel:WORD_1
	v_cvt_f32_f16_e32 v56, v2
	s_waitcnt lgkmcnt(2)
	v_cvt_f32_f16_sdwa v59, v4 dst_sel:DWORD dst_unused:UNUSED_PAD src0_sel:WORD_1
	v_cvt_f32_f16_e32 v58, v4
	v_accvgpr_read_b32 v2, a96
	s_waitcnt lgkmcnt(1)
	v_pk_fma_f32 v[56:57], v[6:7], v[56:57], 0 op_sel_hi:[0,1,0]
	v_mad_u64_u32 v[60:61], s[8:9], v1, s37, v[2:3]
	s_waitcnt lgkmcnt(0)
	v_pk_fma_f32 v[56:57], v[8:9], v[58:59], v[56:57] op_sel_hi:[0,1,1]
	v_div_scale_f32 v1, s[8:9], v7, v7, v57
	v_rcp_f32_e32 v2, v1
	v_lshl_add_u32 v58, v60, 7, v12
	v_cvt_f32_f16_sdwa v61, v3 dst_sel:DWORD dst_unused:UNUSED_PAD src0_sel:WORD_1
	v_cvt_f32_f16_e32 v60, v3
	v_fma_f32 v4, -v1, v2, 1.0
	v_fmac_f32_e32 v2, v4, v2
	v_div_scale_f32 v4, vcc, v57, v7, v57
	v_mul_f32_e32 v9, v4, v2
	v_fma_f32 v13, -v1, v9, v4
	v_fmac_f32_e32 v9, v13, v2
	v_fma_f32 v1, -v1, v9, v4
	v_div_scale_f32 v4, s[8:9], v7, v7, v56
	v_rcp_f32_e32 v13, v4
	v_div_fmas_f32 v1, v1, v2, v9
	v_div_fixup_f32 v9, v1, v7, v57
	v_cvt_f32_f16_sdwa v3, v5 dst_sel:DWORD dst_unused:UNUSED_PAD src0_sel:WORD_1
	v_fma_f32 v1, -v4, v13, 1.0
	v_fmac_f32_e32 v13, v1, v13
	v_div_scale_f32 v1, vcc, v56, v7, v56
	v_mul_f32_e32 v15, v1, v13
	v_cvt_f32_f16_e32 v2, v5
	v_fma_f32 v16, -v4, v15, v1
	v_fmac_f32_e32 v15, v16, v13
	v_fma_f32 v1, -v4, v15, v1
	v_pk_fma_f32 v[4:5], v[6:7], v[60:61], 0 op_sel_hi:[0,1,0]
	v_pk_fma_f32 v[2:3], v[8:9], v[2:3], v[4:5] op_sel_hi:[0,1,1]
	v_div_scale_f32 v4, s[8:9], v7, v7, v3
	v_rcp_f32_e32 v5, v4
	v_div_fmas_f32 v1, v1, v13, v15
	v_div_fixup_f32 v8, v1, v7, v56
	v_ashrrev_i32_e32 v59, 31, v58
	v_fma_f32 v1, -v4, v5, 1.0
	v_fmac_f32_e32 v5, v1, v5
	v_div_scale_f32 v1, vcc, v3, v7, v3
	v_lshl_add_u64 v[58:59], v[58:59], 3, v[112:113]
	v_mul_f32_e32 v6, v1, v5
	global_store_dwordx2 v[58:59], v[8:9], off
	v_fma_f32 v8, -v4, v6, v1
	v_fmac_f32_e32 v6, v8, v5
	v_fma_f32 v1, -v4, v6, v1
	v_div_scale_f32 v4, s[8:9], v7, v7, v2
	v_rcp_f32_e32 v8, v4
	v_div_fmas_f32 v1, v1, v5, v6
	v_div_fixup_f32 v3, v1, v7, v3
	v_fma_f32 v1, -v4, v8, 1.0
	v_fmac_f32_e32 v8, v1, v8
	v_div_scale_f32 v1, vcc, v2, v7, v2
	v_mul_f32_e32 v5, v1, v8
	v_fma_f32 v6, -v4, v5, v1
	v_fmac_f32_e32 v5, v6, v8
	v_fma_f32 v1, -v4, v5, v1
	v_div_fmas_f32 v1, v1, v8, v5
	v_div_fixup_f32 v2, v1, v7, v2
	global_store_dwordx2 v[58:59], v[2:3], off offset:512
	s_branch .LBB30_10
.LBB30_402:
	v_accvgpr_read_b32 v80, a40
	v_accvgpr_read_b32 v81, a41
	;; [unrolled: 1-line block ×8, first 2 shown]
	s_andn2_b64 vcc, exec, s[8:9]
	s_cbranch_vccnz .LBB30_8
.LBB30_403:
	s_abs_i32 s0, s79
	v_cvt_f32_u32_e32 v1, s0
	s_sub_i32 s5, 0, s0
	s_abs_i32 s4, s54
	s_xor_b32 s1, s54, s79
	v_rcp_iflag_f32_e32 v1, v1
	s_ashr_i32 s1, s1, 31
	v_mul_f32_e32 v1, 0x4f7ffffe, v1
	v_cvt_u32_f32_e32 v1, v1
	s_nop 0
	v_readfirstlane_b32 s6, v1
	s_mul_i32 s5, s5, s6
	s_mul_hi_u32 s5, s6, s5
	s_add_i32 s6, s6, s5
	s_mul_hi_u32 s5, s4, s6
	s_mul_i32 s6, s5, s0
	s_sub_i32 s4, s4, s6
	s_add_i32 s7, s5, 1
	s_sub_i32 s6, s4, s0
	s_cmp_ge_u32 s4, s0
	s_cselect_b32 s5, s7, s5
	s_cselect_b32 s4, s6, s4
	s_add_i32 s6, s5, 1
	s_cmp_ge_u32 s4, s0
	s_cselect_b32 s0, s6, s5
	s_abs_i32 s4, s78
	v_cvt_f32_u32_e32 v1, s4
	s_xor_b32 s0, s0, s1
	s_sub_i32 s5, 0, s4
	s_sub_i32 s8, s0, s1
	v_rcp_iflag_f32_e32 v1, v1
	s_mul_i32 s0, s8, s79
	s_sub_i32 s0, s54, s0
	s_abs_i32 s6, s0
	v_mul_f32_e32 v1, 0x4f7ffffe, v1
	v_cvt_u32_f32_e32 v1, v1
	s_xor_b32 s1, s0, s78
	s_ashr_i32 s1, s1, 31
	v_readfirstlane_b32 s7, v1
	s_mul_i32 s5, s5, s7
	s_mul_hi_u32 s5, s7, s5
	s_add_i32 s7, s7, s5
	s_mul_hi_u32 s5, s6, s7
	s_mul_i32 s7, s5, s4
	s_sub_i32 s6, s6, s7
	s_add_i32 s9, s5, 1
	s_sub_i32 s7, s6, s4
	s_cmp_ge_u32 s6, s4
	s_cselect_b32 s5, s9, s5
	s_cselect_b32 s6, s7, s6
	s_add_i32 s7, s5, 1
	s_cmp_ge_u32 s6, s4
	s_cselect_b32 s4, s7, s5
	s_abs_i32 s5, s77
	v_cvt_f32_u32_e32 v1, s5
	s_xor_b32 s4, s4, s1
	s_sub_i32 s6, 0, s5
	s_sub_i32 s9, s4, s1
	v_rcp_iflag_f32_e32 v1, v1
	s_mul_i32 s1, s9, s78
	s_sub_i32 s1, s0, s1
	s_abs_i32 s4, s1
	v_mul_f32_e32 v1, 0x4f7ffffe, v1
	v_cvt_u32_f32_e32 v1, v1
	s_xor_b32 s0, s1, s77
	s_ashr_i32 s0, s0, 31
	v_readfirstlane_b32 s7, v1
	s_mul_i32 s6, s6, s7
	s_mul_hi_u32 s6, s7, s6
	s_add_i32 s7, s7, s6
	s_mul_hi_u32 s6, s4, s7
	s_mul_i32 s7, s6, s5
	s_sub_i32 s4, s4, s7
	s_add_i32 s10, s6, 1
	s_sub_i32 s7, s4, s5
	s_cmp_ge_u32 s4, s5
	s_cselect_b32 s6, s10, s6
	s_cselect_b32 s4, s7, s4
	s_add_i32 s7, s6, 1
	s_cmp_ge_u32 s4, s5
	s_cselect_b32 s4, s7, s6
	s_xor_b32 s4, s4, s0
	s_sub_i32 s0, s4, s0
	s_mul_i32 s4, s0, s77
	s_sub_i32 s1, s1, s4
	s_ashr_i32 s4, s1, 31
	s_abs_i32 s1, s1
	s_mul_hi_u32 s5, s1, s50
	s_mul_i32 s6, s5, s81
	s_sub_i32 s1, s1, s6
	s_xor_b32 s4, s4, s42
	s_add_i32 s6, s5, 1
	s_sub_i32 s7, s1, s81
	s_cmp_ge_u32 s1, s81
	s_cselect_b32 s5, s6, s5
	s_cselect_b32 s1, s7, s1
	s_add_i32 s6, s5, 1
	s_cmp_ge_u32 s1, s81
	s_cselect_b32 s1, s6, s5
	s_abs_i32 s10, s56
	v_cvt_f32_u32_e32 v1, s10
	s_xor_b32 s1, s1, s4
	s_sub_i32 s1, s1, s4
	s_cmp_eq_u64 s[26:27], 0
	v_rcp_iflag_f32_e32 v1, v1
	s_nop 0
	v_mul_f32_e32 v1, 0x4f7ffffe, v1
	v_cvt_u32_f32_e32 v1, v1
	s_nop 0
	v_readfirstlane_b32 s11, v1
	s_cbranch_scc1 .LBB30_405
; %bb.404:
	s_mul_i32 s4, s8, s76
	s_add_i32 s4, s1, s4
	s_ashr_i32 s5, s4, 31
	s_lshl_b64 s[4:5], s[4:5], 2
	s_add_u32 s4, s26, s4
	s_addc_u32 s5, s27, s5
	v_mov_b32_e32 v1, 0
	global_load_dword v1, v1, s[4:5]
	s_waitcnt vmcnt(0)
	v_ashrrev_i32_e32 v2, 31, v1
	v_lshrrev_b32_e32 v2, 26, v2
	v_add_u32_e32 v1, v1, v2
	v_ashrrev_i32_e32 v1, 6, v1
	v_min_i32_e32 v138, v138, v1
.LBB30_405:
	s_mul_i32 s4, s9, s74
	s_lshl_b32 s5, s0, 2
	s_add_i32 s0, s5, s4
	s_mul_i32 s4, s8, s53
	s_ashr_i32 s6, s4, 31
	s_add_u32 s4, s16, s4
	s_mul_i32 s0, s0, s52
	s_addc_u32 s7, s17, s6
	s_ashr_i32 s12, s0, 31
	s_add_u32 s6, s4, s0
	s_addc_u32 s7, s7, s12
	v_and_b32_e32 v64, 0x3ff, v0
	s_lshl_b32 s12, s1, 3
	v_bfe_u32 v0, v69, 2, 8
	v_add_u32_e32 v2, s12, v0
	v_or_b32_e32 v0, s5, v11
	v_cmp_le_i32_e64 s[0:1], s36, v2
	v_cmp_le_i32_e64 s[4:5], s74, v0
	s_mov_b32 s13, 0x10001
	v_lshl_add_u32 v1, v64, 2, 0
	v_cmp_gt_i32_e32 vcc, s74, v0
	s_or_b64 s[0:1], s[0:1], s[4:5]
	s_and_saveexec_b64 s[4:5], s[0:1]
	s_xor_b64 s[0:1], exec, s[4:5]
; %bb.406:
	s_movk_i32 s4, 0x210
	v_mad_u32_u24 v0, v65, s4, v1
	v_mov_b32_e32 v2, 0
	ds_write2st64_b32 v0, v2, v2 offset1:1
                                        ; implicit-def: $vgpr2
; %bb.407:
	s_or_saveexec_b64 s[0:1], s[0:1]
	v_mul_lo_u32 v0, v87, s13
	s_xor_b64 exec, exec, s[0:1]
	s_cbranch_execz .LBB30_409
; %bb.408:
	v_mul_lo_u32 v2, v2, s55
	v_mul_lo_u32 v3, v11, s75
	v_add3_u32 v2, v2, v3, v64
	v_ashrrev_i32_e32 v3, 31, v2
	v_lshl_add_u64 v[2:3], v[2:3], 3, s[6:7]
	global_load_dwordx2 v[4:5], v[2:3], off
	global_load_dwordx2 v[6:7], v[2:3], off offset:512
	v_mul_u32_u24_e32 v2, 0x210, v65
	v_lshlrev_b32_e32 v3, 2, v64
	v_add3_u32 v2, 0, v2, v3
	s_waitcnt vmcnt(1)
	v_cvt_pk_f16_f32 v3, v4, v5
	s_waitcnt vmcnt(0)
	v_cvt_pk_f16_f32 v4, v6, v7
	v_pk_mul_f16 v3, v3, v0
	v_pk_mul_f16 v4, v4, v0
	ds_write2st64_b32 v2, v3, v4 offset1:1
.LBB30_409:
	s_or_b64 exec, exec, s[0:1]
	v_lshrrev_b32_e32 v2, 2, v86
	v_add_u32_e32 v2, s12, v2
	v_cmp_le_i32_e64 s[0:1], s36, v2
	s_xor_b64 s[4:5], vcc, -1
	s_or_b64 s[0:1], s[0:1], s[4:5]
	s_and_saveexec_b64 s[16:17], s[0:1]
	s_xor_b64 s[0:1], exec, s[16:17]
; %bb.410:
	s_movk_i32 s13, 0x210
	v_mad_u32_u24 v2, v86, s13, v1
	v_mov_b32_e32 v3, 0
	ds_write2st64_b32 v2, v3, v3 offset1:1
                                        ; implicit-def: $vgpr2
                                        ; implicit-def: $vgpr86
; %bb.411:
	s_andn2_saveexec_b64 s[0:1], s[0:1]
	s_cbranch_execz .LBB30_413
; %bb.412:
	v_mul_lo_u32 v2, v2, s55
	v_mul_lo_u32 v3, v11, s75
	v_add3_u32 v2, v2, v3, v64
	v_ashrrev_i32_e32 v3, 31, v2
	v_lshl_add_u64 v[2:3], v[2:3], 3, s[6:7]
	global_load_dwordx2 v[4:5], v[2:3], off
	global_load_dwordx2 v[6:7], v[2:3], off offset:512
	v_mul_u32_u24_e32 v2, 0x210, v86
	v_lshlrev_b32_e32 v3, 2, v64
	v_add3_u32 v2, 0, v2, v3
	s_waitcnt vmcnt(1)
	v_cvt_pk_f16_f32 v3, v4, v5
	s_waitcnt vmcnt(0)
	v_cvt_pk_f16_f32 v4, v6, v7
	v_pk_mul_f16 v3, v3, v0
	v_pk_mul_f16 v4, v4, v0
	ds_write2st64_b32 v2, v3, v4 offset1:1
.LBB30_413:
	s_or_b64 exec, exec, s[0:1]
	v_lshrrev_b32_e32 v2, 2, v85
	v_add_u32_e32 v2, s12, v2
	v_cmp_le_i32_e32 vcc, s36, v2
	s_or_b64 s[0:1], vcc, s[4:5]
	s_and_saveexec_b64 s[16:17], s[0:1]
	s_xor_b64 s[0:1], exec, s[16:17]
; %bb.414:
	s_movk_i32 s13, 0x210
	v_mad_u32_u24 v2, v85, s13, v1
	v_mov_b32_e32 v3, 0
	ds_write2st64_b32 v2, v3, v3 offset1:1
                                        ; implicit-def: $vgpr2
                                        ; implicit-def: $vgpr85
; %bb.415:
	s_andn2_saveexec_b64 s[0:1], s[0:1]
	s_cbranch_execz .LBB30_417
; %bb.416:
	v_mul_lo_u32 v2, v2, s55
	v_mul_lo_u32 v3, v11, s75
	v_add3_u32 v2, v2, v3, v64
	v_ashrrev_i32_e32 v3, 31, v2
	v_lshl_add_u64 v[2:3], v[2:3], 3, s[6:7]
	global_load_dwordx2 v[4:5], v[2:3], off
	global_load_dwordx2 v[6:7], v[2:3], off offset:512
	v_mul_u32_u24_e32 v2, 0x210, v85
	v_lshlrev_b32_e32 v3, 2, v64
	v_add3_u32 v2, 0, v2, v3
	s_waitcnt vmcnt(1)
	v_cvt_pk_f16_f32 v3, v4, v5
	s_waitcnt vmcnt(0)
	v_cvt_pk_f16_f32 v4, v6, v7
	v_pk_mul_f16 v3, v3, v0
	v_pk_mul_f16 v4, v4, v0
	ds_write2st64_b32 v2, v3, v4 offset1:1
.LBB30_417:
	s_or_b64 exec, exec, s[0:1]
	v_lshrrev_b32_e32 v2, 2, v84
	v_add_u32_e32 v2, s12, v2
	v_cmp_le_i32_e32 vcc, s36, v2
	s_or_b64 s[0:1], vcc, s[4:5]
	s_and_saveexec_b64 s[16:17], s[0:1]
	s_xor_b64 s[0:1], exec, s[16:17]
; %bb.418:
	s_movk_i32 s13, 0x210
	v_mad_u32_u24 v2, v84, s13, v1
	v_mov_b32_e32 v3, 0
	ds_write2st64_b32 v2, v3, v3 offset1:1
                                        ; implicit-def: $vgpr2
                                        ; implicit-def: $vgpr84
; %bb.419:
	s_andn2_saveexec_b64 s[0:1], s[0:1]
	s_cbranch_execz .LBB30_421
; %bb.420:
	v_mul_lo_u32 v2, v2, s55
	v_mul_lo_u32 v3, v11, s75
	v_add3_u32 v2, v2, v3, v64
	v_ashrrev_i32_e32 v3, 31, v2
	v_lshl_add_u64 v[2:3], v[2:3], 3, s[6:7]
	global_load_dwordx2 v[4:5], v[2:3], off
	global_load_dwordx2 v[6:7], v[2:3], off offset:512
	v_mul_u32_u24_e32 v2, 0x210, v84
	v_lshlrev_b32_e32 v3, 2, v64
	v_add3_u32 v2, 0, v2, v3
	s_waitcnt vmcnt(1)
	v_cvt_pk_f16_f32 v3, v4, v5
	s_waitcnt vmcnt(0)
	v_cvt_pk_f16_f32 v4, v6, v7
	v_pk_mul_f16 v3, v3, v0
	v_pk_mul_f16 v4, v4, v0
	ds_write2st64_b32 v2, v3, v4 offset1:1
.LBB30_421:
	s_or_b64 exec, exec, s[0:1]
	v_lshrrev_b32_e32 v2, 2, v83
	v_add_u32_e32 v2, s12, v2
	v_cmp_le_i32_e32 vcc, s36, v2
	s_or_b64 s[0:1], vcc, s[4:5]
	s_and_saveexec_b64 s[16:17], s[0:1]
	s_xor_b64 s[0:1], exec, s[16:17]
; %bb.422:
	s_movk_i32 s13, 0x210
	v_mad_u32_u24 v2, v83, s13, v1
	v_mov_b32_e32 v3, 0
	ds_write2st64_b32 v2, v3, v3 offset1:1
                                        ; implicit-def: $vgpr2
                                        ; implicit-def: $vgpr83
; %bb.423:
	s_andn2_saveexec_b64 s[0:1], s[0:1]
	s_cbranch_execz .LBB30_425
; %bb.424:
	v_mul_lo_u32 v2, v2, s55
	v_mul_lo_u32 v3, v11, s75
	v_add3_u32 v2, v2, v3, v64
	v_ashrrev_i32_e32 v3, 31, v2
	v_lshl_add_u64 v[2:3], v[2:3], 3, s[6:7]
	global_load_dwordx2 v[4:5], v[2:3], off
	global_load_dwordx2 v[6:7], v[2:3], off offset:512
	v_mul_u32_u24_e32 v2, 0x210, v83
	v_lshlrev_b32_e32 v3, 2, v64
	v_add3_u32 v2, 0, v2, v3
	s_waitcnt vmcnt(1)
	v_cvt_pk_f16_f32 v3, v4, v5
	s_waitcnt vmcnt(0)
	v_cvt_pk_f16_f32 v4, v6, v7
	v_pk_mul_f16 v3, v3, v0
	v_pk_mul_f16 v4, v4, v0
	ds_write2st64_b32 v2, v3, v4 offset1:1
.LBB30_425:
	s_or_b64 exec, exec, s[0:1]
	v_lshrrev_b32_e32 v2, 2, v82
	v_add_u32_e32 v2, s12, v2
	v_cmp_le_i32_e32 vcc, s36, v2
	s_sub_i32 s13, 0, s10
	s_or_b64 s[0:1], vcc, s[4:5]
	s_and_saveexec_b64 s[16:17], s[0:1]
	s_xor_b64 s[0:1], exec, s[16:17]
; %bb.426:
	s_movk_i32 s15, 0x210
	v_mad_u32_u24 v2, v82, s15, v1
	v_mov_b32_e32 v3, 0
	ds_write2st64_b32 v2, v3, v3 offset1:1
                                        ; implicit-def: $vgpr2
                                        ; implicit-def: $vgpr82
; %bb.427:
	s_or_saveexec_b64 s[0:1], s[0:1]
	s_mul_i32 s13, s13, s11
	s_xor_b64 exec, exec, s[0:1]
	s_cbranch_execz .LBB30_429
; %bb.428:
	v_mul_lo_u32 v2, v2, s55
	v_mul_lo_u32 v3, v11, s75
	v_add3_u32 v2, v2, v3, v64
	v_ashrrev_i32_e32 v3, 31, v2
	v_lshl_add_u64 v[2:3], v[2:3], 3, s[6:7]
	global_load_dwordx2 v[4:5], v[2:3], off
	global_load_dwordx2 v[6:7], v[2:3], off offset:512
	v_mul_u32_u24_e32 v2, 0x210, v82
	v_lshlrev_b32_e32 v3, 2, v64
	v_add3_u32 v2, 0, v2, v3
	s_waitcnt vmcnt(1)
	v_cvt_pk_f16_f32 v3, v4, v5
	s_waitcnt vmcnt(0)
	v_cvt_pk_f16_f32 v4, v6, v7
	v_pk_mul_f16 v3, v3, v0
	v_pk_mul_f16 v4, v4, v0
	ds_write2st64_b32 v2, v3, v4 offset1:1
.LBB30_429:
	s_or_b64 exec, exec, s[0:1]
	v_lshrrev_b32_e32 v2, 2, v81
	v_add_u32_e32 v2, s12, v2
	v_cmp_le_i32_e32 vcc, s36, v2
	s_mul_hi_u32 s15, s11, s13
	s_or_b64 s[0:1], vcc, s[4:5]
	s_and_saveexec_b64 s[16:17], s[0:1]
	s_xor_b64 s[0:1], exec, s[16:17]
; %bb.430:
	s_movk_i32 s13, 0x210
	v_mad_u32_u24 v2, v81, s13, v1
	v_mov_b32_e32 v3, 0
	ds_write2st64_b32 v2, v3, v3 offset1:1
                                        ; implicit-def: $vgpr2
                                        ; implicit-def: $vgpr81
; %bb.431:
	s_or_saveexec_b64 s[0:1], s[0:1]
	s_abs_i32 s13, s8
	s_add_i32 s11, s11, s15
	s_xor_b64 exec, exec, s[0:1]
	s_cbranch_execz .LBB30_433
; %bb.432:
	v_mul_lo_u32 v2, v2, s55
	v_mul_lo_u32 v3, v11, s75
	v_add3_u32 v2, v2, v3, v64
	v_ashrrev_i32_e32 v3, 31, v2
	v_lshl_add_u64 v[2:3], v[2:3], 3, s[6:7]
	global_load_dwordx2 v[4:5], v[2:3], off
	global_load_dwordx2 v[6:7], v[2:3], off offset:512
	v_mul_u32_u24_e32 v2, 0x210, v81
	v_lshlrev_b32_e32 v3, 2, v64
	v_add3_u32 v2, 0, v2, v3
	s_waitcnt vmcnt(1)
	v_cvt_pk_f16_f32 v3, v4, v5
	s_waitcnt vmcnt(0)
	v_cvt_pk_f16_f32 v4, v6, v7
	v_pk_mul_f16 v3, v3, v0
	v_pk_mul_f16 v4, v4, v0
	ds_write2st64_b32 v2, v3, v4 offset1:1
.LBB30_433:
	s_or_b64 exec, exec, s[0:1]
	v_lshrrev_b32_e32 v2, 2, v80
	v_add_u32_e32 v2, s12, v2
	v_cmp_le_i32_e32 vcc, s36, v2
	s_mul_hi_u32 s11, s13, s11
	s_or_b64 s[0:1], vcc, s[4:5]
	s_and_saveexec_b64 s[4:5], s[0:1]
	s_xor_b64 s[0:1], exec, s[4:5]
; %bb.434:
	s_movk_i32 s4, 0x210
	v_mad_u32_u24 v0, v80, s4, v1
	v_mov_b32_e32 v1, 0
	ds_write2st64_b32 v0, v1, v1 offset1:1
                                        ; implicit-def: $vgpr2
                                        ; implicit-def: $vgpr11
                                        ; implicit-def: $vgpr80
                                        ; implicit-def: $vgpr0
; %bb.435:
	s_or_saveexec_b64 s[0:1], s[0:1]
	s_ashr_i32 s15, s8, 31
	s_xor_b64 exec, exec, s[0:1]
	s_cbranch_execz .LBB30_437
; %bb.436:
	v_mul_lo_u32 v1, v2, s55
	v_mul_lo_u32 v2, v11, s75
	v_add3_u32 v2, v1, v2, v64
	v_ashrrev_i32_e32 v3, 31, v2
	v_lshl_add_u64 v[2:3], v[2:3], 3, s[6:7]
	global_load_dwordx2 v[4:5], v[2:3], off
	global_load_dwordx2 v[6:7], v[2:3], off offset:512
	v_mul_u32_u24_e32 v1, 0x210, v80
	v_lshlrev_b32_e32 v2, 2, v64
	v_add3_u32 v1, 0, v1, v2
	s_waitcnt vmcnt(1)
	v_cvt_pk_f16_f32 v2, v4, v5
	s_waitcnt vmcnt(0)
	v_cvt_pk_f16_f32 v3, v6, v7
	v_pk_mul_f16 v2, v2, v0
	v_pk_mul_f16 v0, v3, v0
	ds_write2st64_b32 v1, v2, v0 offset1:1
.LBB30_437:
	s_or_b64 exec, exec, s[0:1]
	s_mul_hi_u32 s0, s40, s8
	s_mul_i32 s1, s40, s15
	s_add_i32 s0, s0, s1
	s_mul_i32 s1, s41, s8
	s_add_i32 s0, s0, s1
	s_mul_i32 s1, s40, s8
	s_add_u32 s1, s18, s1
	s_addc_u32 s4, s19, s0
	s_mul_i32 s0, s9, s51
	s_ashr_i32 s5, s0, 31
	s_add_u32 s0, s1, s0
	s_mul_i32 s11, s11, s10
	s_addc_u32 s1, s4, s5
	s_sub_i32 s4, s13, s11
	s_sub_i32 s5, s4, s10
	s_cmp_ge_u32 s4, s10
	s_cselect_b32 s4, s5, s4
	s_sub_i32 s5, s4, s10
	s_cmp_ge_u32 s4, s10
	s_cselect_b32 s4, s5, s4
	s_xor_b32 s4, s4, s15
	s_sub_i32 s4, s4, s15
	s_ashr_i32 s5, s4, 31
	s_mul_i32 s5, s48, s5
	s_mul_hi_u32 s6, s48, s4
	s_add_i32 s5, s6, s5
	s_mul_i32 s6, s49, s4
	s_add_i32 s5, s5, s6
	s_mul_i32 s4, s48, s4
	s_add_u32 s4, s22, s4
	s_mul_hi_u32 s6, s46, s8
	s_mul_i32 s7, s46, s15
	s_addc_u32 s5, s23, s5
	s_add_i32 s6, s6, s7
	s_mul_i32 s7, s47, s8
	s_add_i32 s6, s6, s7
	s_mul_i32 s7, s46, s8
	s_add_u32 s7, s20, s7
	s_mul_i32 s9, s9, s43
	s_addc_u32 s6, s21, s6
	s_ashr_i32 s8, s9, 31
	s_add_u32 s10, s7, s9
	v_lshrrev_b32_e32 v1, 3, v64
	s_addc_u32 s11, s6, s8
	v_and_b32_e32 v3, 0x1ff0, v55
	s_movk_i32 s6, 0x210
	v_and_b32_e32 v66, 15, v64
	v_and_b32_e32 v1, 0x7e, v1
	v_mad_u32_u24 v0, v3, s6, 0
	v_mul_u32_u24_e32 v69, 0x210, v66
	v_lshlrev_b32_e32 v67, 2, v1
	v_add3_u32 v0, v0, v69, v67
	s_waitcnt lgkmcnt(0)
	s_barrier
	ds_read2_b64 v[178:181], v0 offset1:4
	ds_read2_b64 v[174:177], v0 offset0:8 offset1:12
	ds_read2_b64 v[170:173], v0 offset0:16 offset1:20
	;; [unrolled: 1-line block ×7, first 2 shown]
	v_lshrrev_b32_e32 v0, 5, v64
	v_lshl_add_u32 v2, v65, 1, v0
	v_add_u32_e32 v0, s12, v2
	v_mul_hi_u32 v1, s44, v0
	v_add_u32_e32 v1, v0, v1
	v_add_u32_e32 v81, -1, v138
	v_lshrrev_b32_e32 v1, s45, v1
	v_cmp_lt_i32_e32 vcc, s70, v81
	v_mul_lo_u32 v1, v1, s36
	v_sub_u32_e32 v4, v0, v1
	s_waitcnt lgkmcnt(0)
	s_barrier
	s_cbranch_vccnz .LBB30_441
; %bb.438:
	v_lshlrev_b32_e32 v0, 1, v64
	v_and_b32_e32 v10, 62, v0
	v_lshlrev_b32_e32 v0, 2, v64
	v_mul_lo_u32 v16, s34, v2
	s_lshl_b32 s7, s34, 3
	v_and_b32_e32 v12, 0x7c, v0
	v_mov_b32_e32 v0, 0x1080
	v_add_u32_e32 v18, s7, v16
	v_mad_u32_u24 v71, v2, s6, v0
	v_mov_b32_e32 v0, 0x2100
	v_add_u32_e32 v20, s7, v18
	v_mad_u32_u24 v72, v2, s6, v0
	;; [unrolled: 3-line block ×5, first 2 shown]
	v_mov_b32_e32 v0, 0x6300
	v_add_u32_e32 v28, s7, v26
	v_lshlrev_b32_e32 v68, 4, v65
	v_mov_b32_e32 v11, 0
	s_ashr_i32 s35, s34, 31
	v_mad_u32_u24 v76, v2, s6, v0
	v_mov_b32_e32 v0, 0x7380
	v_add_u32_e32 v30, s7, v28
	v_and_b32_e32 v61, 16, v68
	v_mad_i64_i32 v[14:15], s[8:9], v4, s38, 0
	v_mul_u32_u24_e32 v70, 0x210, v2
	v_mov_b32_e32 v13, v11
	v_ashrrev_i32_e32 v17, 31, v16
	v_add_u32_e32 v50, 8, v2
	v_ashrrev_i32_e32 v19, 31, v18
	v_add_u32_e32 v51, 16, v2
	;; [unrolled: 2-line block ×7, first 2 shown]
	v_mad_u32_u24 v77, v2, s6, v0
	v_ashrrev_i32_e32 v31, 31, v30
	v_mul_u32_u24_e32 v78, 0x210, v61
	s_mov_b64 s[6:7], 0
	v_mov_b64_e32 v[0:1], s[34:35]
	s_branch .LBB30_442
.LBB30_439:
                                        ; implicit-def: $sgpr54_sgpr55
	s_load_dwordx2 s[52:53], s[0:1], 0x74
	v_cvt_f32_u32_e32 v1, s33
	s_branch .LBB30_2
.LBB30_440:
                                        ; implicit-def: $sgpr6_sgpr7
	s_load_dwordx2 s[44:45], s[0:1], 0x5c
	v_mov_b64_e32 v[10:11], s[6:7]
	s_branch .LBB30_5
.LBB30_441:
	s_mov_b64 s[6:7], -1
                                        ; implicit-def: $vgpr10
                                        ; implicit-def: $vgpr14_vgpr15
                                        ; implicit-def: $vgpr0_vgpr1
                                        ; implicit-def: $vgpr70
                                        ; implicit-def: $vgpr12
                                        ; implicit-def: $vgpr16_vgpr17
                                        ; implicit-def: $vgpr50
                                        ; implicit-def: $vgpr71
                                        ; implicit-def: $vgpr18_vgpr19
                                        ; implicit-def: $vgpr51
                                        ; implicit-def: $vgpr72
                                        ; implicit-def: $vgpr20_vgpr21
                                        ; implicit-def: $vgpr52
                                        ; implicit-def: $vgpr73
                                        ; implicit-def: $vgpr22_vgpr23
                                        ; implicit-def: $vgpr56
                                        ; implicit-def: $vgpr74
                                        ; implicit-def: $vgpr24_vgpr25
                                        ; implicit-def: $vgpr58
                                        ; implicit-def: $vgpr75
                                        ; implicit-def: $vgpr26_vgpr27
                                        ; implicit-def: $vgpr59
                                        ; implicit-def: $vgpr76
                                        ; implicit-def: $vgpr28_vgpr29
                                        ; implicit-def: $vgpr60
                                        ; implicit-def: $vgpr77
                                        ; implicit-def: $vgpr30_vgpr31
                                        ; implicit-def: $vgpr68
                                        ; implicit-def: $vgpr61
                                        ; implicit-def: $vgpr78
.LBB30_442:
	v_mul_lo_u32 v8, s14, v2
	v_mul_u32_u24_e32 v80, 0x90, v2
	s_andn2_b64 vcc, exec, s[6:7]
	v_lshrrev_b32_e32 v57, 2, v64
	v_and_or_b32 v63, v64, 12, v3
	v_mbcnt_lo_u32_b32 v62, -1, 0
	v_ashrrev_i32_e32 v9, 31, v8
	v_and_b32_e32 v54, 8, v55
	v_lshlrev_b32_e32 v53, 1, v66
	s_cbranch_vccnz .LBB30_478
; %bb.443:
	v_lshlrev_b32_e32 v0, 1, v64
	v_and_b32_e32 v10, 62, v0
	v_mad_i64_i32 v[14:15], s[6:7], v4, s38, 0
	v_mov_b32_e32 v33, 0
	v_lshlrev_b32_e32 v32, 1, v10
	v_lshl_add_u64 v[0:1], v[14:15], 1, s[4:5]
	v_lshl_add_u64 v[34:35], v[0:1], 0, v[32:33]
	v_lshlrev_b32_e32 v1, 2, v64
	v_and_b32_e32 v12, 0x7c, v1
	v_add_u32_e32 v3, 0, v80
	v_mul_u32_u24_e32 v0, 0x180, v2
	v_lshlrev_b32_e32 v1, 2, v12
	s_movk_i32 s6, 0x210
	v_add3_u32 v84, v3, v0, v1
	v_mov_b32_e32 v0, 0x1080
	v_mad_u32_u24 v71, v2, s6, v0
	v_mov_b32_e32 v0, 0x2100
	v_mad_u32_u24 v72, v2, s6, v0
	;; [unrolled: 2-line block ×6, first 2 shown]
	v_mov_b32_e32 v0, 0x7380
	v_lshlrev_b32_e32 v68, 4, v65
	v_add_u32_e32 v83, v3, v32
	v_mad_u32_u24 v77, v2, s6, v0
	v_and_b32_e32 v61, 16, v68
	v_and_b32_e32 v1, 0xfc, v57
	v_lshrrev_b32_e32 v3, 2, v63
	s_movk_i32 s6, 0x90
	v_mul_u32_u24_e32 v70, 0x210, v2
	v_mul_lo_u32 v16, s34, v2
	v_add_u32_e32 v50, 8, v2
	v_add_u32_e32 v51, 16, v2
	;; [unrolled: 1-line block ×8, first 2 shown]
	v_mad_u32_u24 v3, v3, s6, 0
	v_add_u16_e32 v4, v1, v61
	v_lshl_add_u32 v2, v2, 1, v3
	v_lshrrev_b16_e32 v4, 1, v4
	v_add_u32_e32 v92, 64, v2
	v_add_u32_e32 v93, 0x44, v2
	v_mbcnt_hi_u32_b32 v2, -1, v62
	v_lshl_add_u32 v4, v4, 2, v3
	v_and_b32_e32 v3, 64, v2
	s_lshl_b32 s6, s14, 3
	s_lshl_b32 s7, s34, 3
	v_add_u32_e32 v3, 64, v3
	v_xor_b32_e32 v5, 32, v2
	v_add_u32_e32 v36, s6, v8
	v_add_u32_e32 v18, s7, v16
	v_cmp_lt_i32_e32 vcc, v5, v3
	v_add_u32_e32 v38, s6, v36
	v_add_u32_e32 v20, s7, v18
	v_cndmask_b32_e32 v5, v2, v5, vcc
	v_add_u32_e32 v40, s6, v38
	v_add_u32_e32 v22, s7, v20
	v_lshlrev_b32_e32 v94, 2, v5
	v_xor_b32_e32 v5, 16, v2
	v_add_u32_e32 v42, s6, v40
	v_add_u32_e32 v24, s7, v22
	v_cmp_lt_i32_e32 vcc, v5, v3
	v_add_u32_e32 v44, s6, v42
	v_add_u32_e32 v26, s7, v24
	v_cndmask_b32_e32 v2, v2, v5, vcc
	v_add_u32_e32 v46, s6, v44
	v_add_u32_e32 v28, s7, v26
	v_lshlrev_b32_e32 v95, 2, v2
	v_add_u32_e32 v48, s6, v46
	v_or_b32_e32 v2, 3, v57
	s_movk_i32 s6, 0x420
	v_add_u32_e32 v30, s7, v28
	v_add3_u32 v0, 0, v69, v67
	v_mul_u32_u24_e32 v78, 0x210, v61
	v_mul_u32_u24_e32 v1, 0x210, v1
	v_mul_u32_u24_e32 v2, 0x210, v2
	v_mad_u32_u24 v3, v54, s6, 0
	v_mov_b32_e32 v11, v33
	s_ashr_i32 s35, s34, 31
	v_mov_b32_e32 v13, v33
	v_ashrrev_i32_e32 v17, 31, v16
	v_add_u32_e32 v85, 0x1080, v84
	v_ashrrev_i32_e32 v19, 31, v18
	v_add_u32_e32 v86, 0x2100, v84
	;; [unrolled: 2-line block ×7, first 2 shown]
	v_ashrrev_i32_e32 v31, 31, v30
	v_ashrrev_i32_e32 v37, 31, v36
	;; [unrolled: 1-line block ×8, first 2 shown]
	v_add3_u32 v96, v3, v1, v53
	v_add3_u32 v97, v3, v2, v53
	s_lshl_b32 s6, s70, 6
	v_mov_b32_e32 v82, 0xfeffffff
	v_lshlrev_b32_e32 v32, 2, v12
	v_add_u32_e32 v98, v0, v78
	s_mov_b32 s12, 0x3f200000
	s_mov_b32 s13, 0x3fb8aa3b
	;; [unrolled: 1-line block ×4, first 2 shown]
	v_mov_b32_e32 v99, 0x3ca908c9
	s_brev_b32 s17, -2
	v_add_u32_e32 v100, 0x8400, v4
	s_mov_b32 s18, 0xc1a00000
	s_mov_b32 s19, 0x5040100
	v_mov_b32_e32 v101, 0x7f800000
	v_mov_b32_e32 v134, v33
	;; [unrolled: 1-line block ×34, first 2 shown]
                                        ; implicit-def: $vgpr0
                                        ; implicit-def: $vgpr0
	;; [unrolled: 1-line block ×3, first 2 shown]
.LBB30_444:                             ; =>This Inner Loop Header: Depth=1
	s_mul_hi_i32 s9, s6, s34
	s_mul_i32 s8, s6, s34
	s_ashr_i32 s7, s6, 31
	s_lshl_b64 s[8:9], s[8:9], 2
	s_add_u32 s8, s0, s8
	s_addc_u32 s9, s1, s9
	v_lshl_add_u64 v[2:3], v[18:19], 2, s[8:9]
	v_lshl_add_u64 v[4:5], v[2:3], 0, v[32:33]
	;; [unrolled: 1-line block ×12, first 2 shown]
	global_load_dword v79, v[0:1], off
	v_lshl_add_u64 v[0:1], v[16:17], 2, s[8:9]
	v_lshl_add_u64 v[186:187], v[2:3], 0, v[32:33]
	v_lshl_add_u64 v[2:3], v[30:31], 2, s[8:9]
	v_lshl_add_u64 v[0:1], v[0:1], 0, v[32:33]
	v_lshl_add_u64 v[190:191], v[2:3], 0, v[32:33]
	global_load_dwordx4 v[0:3], v[0:1], off
	s_nop 0
	global_load_dwordx4 v[4:7], v[4:5], off
	s_nop 0
	;; [unrolled: 2-line block ×7, first 2 shown]
	global_load_dwordx4 v[190:193], v[190:191], off
                                        ; implicit-def: $vgpr135
	s_waitcnt vmcnt(8)
	ds_write_b32 v83, v79 offset:33792
	s_waitcnt vmcnt(7)
	ds_write_b128 v84, v[0:3]
	s_waitcnt vmcnt(6)
	ds_write_b128 v85, v[4:7]
	;; [unrolled: 2-line block ×8, first 2 shown]
	s_waitcnt lgkmcnt(0)
	s_barrier
	ds_read2_b64 v[0:3], v98 offset1:4
	v_add_u32_e32 v79, 0x4000, v98
	ds_read2_b64 v[4:7], v79 offset0:64 offset1:68
	s_waitcnt lgkmcnt(1)
	v_mfma_f32_16x16x16_f16 a[0:3], v[0:1], v[178:179], 0
	s_waitcnt lgkmcnt(0)
	v_mfma_f32_16x16x16_f16 a[4:7], v[4:5], v[178:179], 0
	v_mfma_f32_16x16x16_f16 a[0:3], v[2:3], v[180:181], a[0:3]
	ds_read2_b64 v[0:3], v98 offset0:8 offset1:12
	v_mfma_f32_16x16x16_f16 a[4:7], v[6:7], v[180:181], a[4:7]
	ds_read2_b64 v[4:7], v79 offset0:72 offset1:76
	s_waitcnt lgkmcnt(1)
	v_mfma_f32_16x16x16_f16 a[0:3], v[0:1], v[174:175], a[0:3]
	s_waitcnt lgkmcnt(0)
	v_mfma_f32_16x16x16_f16 a[4:7], v[4:5], v[174:175], a[4:7]
	v_mfma_f32_16x16x16_f16 a[0:3], v[2:3], v[176:177], a[0:3]
	ds_read2_b64 v[0:3], v98 offset0:16 offset1:20
	v_mfma_f32_16x16x16_f16 a[4:7], v[6:7], v[176:177], a[4:7]
	;; [unrolled: 8-line block ×7, first 2 shown]
	ds_read2_b64 v[4:7], v79 offset0:120 offset1:124
	s_waitcnt lgkmcnt(0)
	s_barrier
	v_mfma_f32_16x16x16_f16 a[0:3], v[0:1], v[150:151], a[0:3]
	v_mfma_f32_16x16x16_f16 a[8:11], v[4:5], v[150:151], a[4:7]
	;; [unrolled: 1-line block ×4, first 2 shown]
	s_nop 6
	v_accvgpr_read_b32 v79, a4
	v_cmp_nlt_f32_e64 s[8:9], |v79|, s12
	s_and_saveexec_b64 s[20:21], s[8:9]
	s_xor_b64 s[8:9], exec, s[20:21]
	s_cbranch_execz .LBB30_446
; %bb.445:                              ;   in Loop: Header=BB30_444 Depth=1
	v_add_f32_e64 v0, |v79|, |v79|
	v_mul_f32_e32 v1, 0x3fb8aa3b, v0
	v_rndne_f32_e32 v2, v1
	v_sub_f32_e32 v3, v1, v2
	v_fma_f32 v1, v0, s13, -v1
	v_fmac_f32_e32 v1, 0x32a5705f, v0
	v_add_f32_e32 v1, v3, v1
	v_cvt_i32_f32_e32 v2, v2
	v_exp_f32_e32 v1, v1
	v_cmp_ngt_f32_e32 vcc, s15, v0
	v_ldexp_f32 v1, v1, v2
	s_nop 0
	v_cndmask_b32_e32 v1, 0, v1, vcc
	v_cmp_nlt_f32_e32 vcc, s16, v0
	s_nop 1
	v_cndmask_b32_e32 v0, v101, v1, vcc
	v_add_f32_e32 v0, 1.0, v0
	v_rcp_f32_e32 v0, v0
	s_nop 0
	v_fma_f32 v135, v0, -2.0, 1.0
.LBB30_446:                             ;   in Loop: Header=BB30_444 Depth=1
	s_andn2_saveexec_b64 s[8:9], s[8:9]
; %bb.447:                              ;   in Loop: Header=BB30_444 Depth=1
	v_mul_f32_e32 v0, v79, v79
	v_fmamk_f32 v1, v0, 0xbbbac73d, v99
	v_fmaak_f32 v1, v0, v1, 0xbd5c1c4e
	v_fmaak_f32 v1, v0, v1, 0x3e088382
	;; [unrolled: 1-line block ×3, first 2 shown]
	v_mul_f32_e64 v1, |v79|, v1
	v_fma_f32 v135, v0, v1, |v79|
; %bb.448:                              ;   in Loop: Header=BB30_444 Depth=1
	s_or_b64 exec, exec, s[8:9]
	v_accvgpr_read_b32 v0, a4
	v_accvgpr_read_b32 v1, a5
	;; [unrolled: 1-line block ×4, first 2 shown]
	v_cmp_nlt_f32_e64 s[8:9], |v1|, s12
                                        ; implicit-def: $vgpr0
	s_and_saveexec_b64 s[20:21], s[8:9]
	s_xor_b64 s[8:9], exec, s[20:21]
	s_cbranch_execz .LBB30_450
; %bb.449:                              ;   in Loop: Header=BB30_444 Depth=1
	v_add_f32_e64 v0, |v1|, |v1|
	v_mul_f32_e32 v4, 0x3fb8aa3b, v0
	v_rndne_f32_e32 v5, v4
	v_sub_f32_e32 v6, v4, v5
	v_fma_f32 v4, v0, s13, -v4
	v_fmac_f32_e32 v4, 0x32a5705f, v0
	v_add_f32_e32 v4, v6, v4
	v_cvt_i32_f32_e32 v5, v5
	v_exp_f32_e32 v4, v4
	v_cmp_ngt_f32_e32 vcc, s15, v0
	v_ldexp_f32 v4, v4, v5
	s_nop 0
	v_cndmask_b32_e32 v4, 0, v4, vcc
	v_cmp_nlt_f32_e32 vcc, s16, v0
	s_nop 1
	v_cndmask_b32_e32 v0, v101, v4, vcc
	v_add_f32_e32 v0, 1.0, v0
	v_rcp_f32_e32 v0, v0
	s_nop 0
	v_fma_f32 v0, v0, -2.0, 1.0
.LBB30_450:                             ;   in Loop: Header=BB30_444 Depth=1
	s_andn2_saveexec_b64 s[8:9], s[8:9]
; %bb.451:                              ;   in Loop: Header=BB30_444 Depth=1
	v_mul_f32_e32 v0, v1, v1
	v_fmamk_f32 v4, v0, 0xbbbac73d, v99
	v_fmaak_f32 v4, v0, v4, 0xbd5c1c4e
	v_fmaak_f32 v4, v0, v4, 0x3e088382
	;; [unrolled: 1-line block ×3, first 2 shown]
	v_mul_f32_e64 v4, |v1|, v4
	v_fma_f32 v0, v0, v4, |v1|
; %bb.452:                              ;   in Loop: Header=BB30_444 Depth=1
	s_or_b64 exec, exec, s[8:9]
	v_cmp_nlt_f32_e64 s[8:9], |v2|, s12
                                        ; implicit-def: $vgpr136
	s_and_saveexec_b64 s[20:21], s[8:9]
	s_xor_b64 s[8:9], exec, s[20:21]
	s_cbranch_execz .LBB30_454
; %bb.453:                              ;   in Loop: Header=BB30_444 Depth=1
	v_add_f32_e64 v4, |v2|, |v2|
	v_mul_f32_e32 v5, 0x3fb8aa3b, v4
	v_rndne_f32_e32 v6, v5
	v_sub_f32_e32 v7, v5, v6
	v_fma_f32 v5, v4, s13, -v5
	v_fmac_f32_e32 v5, 0x32a5705f, v4
	v_add_f32_e32 v5, v7, v5
	v_cvt_i32_f32_e32 v6, v6
	v_exp_f32_e32 v5, v5
	v_cmp_ngt_f32_e32 vcc, s15, v4
	v_ldexp_f32 v5, v5, v6
	s_nop 0
	v_cndmask_b32_e32 v5, 0, v5, vcc
	v_cmp_nlt_f32_e32 vcc, s16, v4
	s_nop 1
	v_cndmask_b32_e32 v4, v101, v5, vcc
	v_add_f32_e32 v4, 1.0, v4
	v_rcp_f32_e32 v4, v4
	s_nop 0
	v_fma_f32 v136, v4, -2.0, 1.0
.LBB30_454:                             ;   in Loop: Header=BB30_444 Depth=1
	s_andn2_saveexec_b64 s[8:9], s[8:9]
; %bb.455:                              ;   in Loop: Header=BB30_444 Depth=1
	v_mul_f32_e32 v4, v2, v2
	v_fmamk_f32 v5, v4, 0xbbbac73d, v99
	v_fmaak_f32 v5, v4, v5, 0xbd5c1c4e
	v_fmaak_f32 v5, v4, v5, 0x3e088382
	;; [unrolled: 1-line block ×3, first 2 shown]
	v_mul_f32_e64 v5, |v2|, v5
	v_fma_f32 v136, v4, v5, |v2|
; %bb.456:                              ;   in Loop: Header=BB30_444 Depth=1
	s_or_b64 exec, exec, s[8:9]
	v_cmp_nlt_f32_e64 s[8:9], |v3|, s12
                                        ; implicit-def: $vgpr137
	s_and_saveexec_b64 s[20:21], s[8:9]
	s_xor_b64 s[8:9], exec, s[20:21]
	s_cbranch_execz .LBB30_458
; %bb.457:                              ;   in Loop: Header=BB30_444 Depth=1
	v_add_f32_e64 v4, |v3|, |v3|
	v_mul_f32_e32 v5, 0x3fb8aa3b, v4
	v_rndne_f32_e32 v6, v5
	v_sub_f32_e32 v7, v5, v6
	v_fma_f32 v5, v4, s13, -v5
	v_fmac_f32_e32 v5, 0x32a5705f, v4
	v_add_f32_e32 v5, v7, v5
	v_cvt_i32_f32_e32 v6, v6
	v_exp_f32_e32 v5, v5
	v_cmp_ngt_f32_e32 vcc, s15, v4
	v_ldexp_f32 v5, v5, v6
	s_nop 0
	v_cndmask_b32_e32 v5, 0, v5, vcc
	v_cmp_nlt_f32_e32 vcc, s16, v4
	s_nop 1
	v_cndmask_b32_e32 v4, v101, v5, vcc
	v_add_f32_e32 v4, 1.0, v4
	v_rcp_f32_e32 v4, v4
	s_nop 0
	v_fma_f32 v137, v4, -2.0, 1.0
.LBB30_458:                             ;   in Loop: Header=BB30_444 Depth=1
	s_andn2_saveexec_b64 s[8:9], s[8:9]
; %bb.459:                              ;   in Loop: Header=BB30_444 Depth=1
	v_mul_f32_e32 v4, v3, v3
	v_fmamk_f32 v5, v4, 0xbbbac73d, v99
	v_fmaak_f32 v5, v4, v5, 0xbd5c1c4e
	v_fmaak_f32 v5, v4, v5, 0x3e088382
	;; [unrolled: 1-line block ×3, first 2 shown]
	v_mul_f32_e64 v5, |v3|, v5
	v_fma_f32 v137, v4, v5, |v3|
; %bb.460:                              ;   in Loop: Header=BB30_444 Depth=1
	s_or_b64 exec, exec, s[8:9]
	v_accvgpr_read_b32 v7, a3
	v_accvgpr_read_b32 v4, a0
	;; [unrolled: 1-line block ×4, first 2 shown]
	v_cmp_nlt_f32_e64 s[8:9], |v4|, s12
                                        ; implicit-def: $vgpr138
	s_and_saveexec_b64 s[20:21], s[8:9]
	s_xor_b64 s[8:9], exec, s[20:21]
	s_cbranch_execz .LBB30_462
; %bb.461:                              ;   in Loop: Header=BB30_444 Depth=1
	v_add_f32_e64 v138, |v4|, |v4|
	v_mul_f32_e32 v139, 0x3fb8aa3b, v138
	v_rndne_f32_e32 v140, v139
	v_sub_f32_e32 v141, v139, v140
	v_fma_f32 v139, v138, s13, -v139
	v_fmac_f32_e32 v139, 0x32a5705f, v138
	v_add_f32_e32 v139, v141, v139
	v_cvt_i32_f32_e32 v140, v140
	v_exp_f32_e32 v139, v139
	v_cmp_ngt_f32_e32 vcc, s15, v138
	v_ldexp_f32 v139, v139, v140
	s_nop 0
	v_cndmask_b32_e32 v139, 0, v139, vcc
	v_cmp_nlt_f32_e32 vcc, s16, v138
	s_nop 1
	v_cndmask_b32_e32 v138, v101, v139, vcc
	v_add_f32_e32 v138, 1.0, v138
	v_rcp_f32_e32 v138, v138
	s_nop 0
	v_fma_f32 v138, v138, -2.0, 1.0
.LBB30_462:                             ;   in Loop: Header=BB30_444 Depth=1
	s_andn2_saveexec_b64 s[8:9], s[8:9]
; %bb.463:                              ;   in Loop: Header=BB30_444 Depth=1
	v_mul_f32_e32 v138, v4, v4
	v_fmamk_f32 v139, v138, 0xbbbac73d, v99
	v_fmaak_f32 v139, v138, v139, 0xbd5c1c4e
	v_fmaak_f32 v139, v138, v139, 0x3e088382
	;; [unrolled: 1-line block ×3, first 2 shown]
	v_mul_f32_e64 v139, |v4|, v139
	v_fma_f32 v138, v138, v139, |v4|
; %bb.464:                              ;   in Loop: Header=BB30_444 Depth=1
	s_or_b64 exec, exec, s[8:9]
	v_cmp_nlt_f32_e64 s[8:9], |v5|, s12
                                        ; implicit-def: $vgpr139
	s_and_saveexec_b64 s[20:21], s[8:9]
	s_xor_b64 s[8:9], exec, s[20:21]
	s_cbranch_execz .LBB30_466
; %bb.465:                              ;   in Loop: Header=BB30_444 Depth=1
	v_add_f32_e64 v139, |v5|, |v5|
	v_mul_f32_e32 v140, 0x3fb8aa3b, v139
	v_rndne_f32_e32 v141, v140
	v_sub_f32_e32 v142, v140, v141
	v_fma_f32 v140, v139, s13, -v140
	v_fmac_f32_e32 v140, 0x32a5705f, v139
	v_add_f32_e32 v140, v142, v140
	v_cvt_i32_f32_e32 v141, v141
	v_exp_f32_e32 v140, v140
	v_cmp_ngt_f32_e32 vcc, s15, v139
	v_ldexp_f32 v140, v140, v141
	s_nop 0
	v_cndmask_b32_e32 v140, 0, v140, vcc
	v_cmp_nlt_f32_e32 vcc, s16, v139
	s_nop 1
	v_cndmask_b32_e32 v139, v101, v140, vcc
	v_add_f32_e32 v139, 1.0, v139
	v_rcp_f32_e32 v139, v139
	s_nop 0
	v_fma_f32 v139, v139, -2.0, 1.0
.LBB30_466:                             ;   in Loop: Header=BB30_444 Depth=1
	s_andn2_saveexec_b64 s[8:9], s[8:9]
; %bb.467:                              ;   in Loop: Header=BB30_444 Depth=1
	v_mul_f32_e32 v139, v5, v5
	v_fmamk_f32 v140, v139, 0xbbbac73d, v99
	v_fmaak_f32 v140, v139, v140, 0xbd5c1c4e
	v_fmaak_f32 v140, v139, v140, 0x3e088382
	;; [unrolled: 1-line block ×3, first 2 shown]
	v_mul_f32_e64 v140, |v5|, v140
	v_fma_f32 v139, v139, v140, |v5|
; %bb.468:                              ;   in Loop: Header=BB30_444 Depth=1
	s_or_b64 exec, exec, s[8:9]
	v_cmp_nlt_f32_e64 s[8:9], |v6|, s12
                                        ; implicit-def: $vgpr140
	s_and_saveexec_b64 s[20:21], s[8:9]
	s_xor_b64 s[8:9], exec, s[20:21]
	s_cbranch_execz .LBB30_470
; %bb.469:                              ;   in Loop: Header=BB30_444 Depth=1
	v_add_f32_e64 v140, |v6|, |v6|
	v_mul_f32_e32 v141, 0x3fb8aa3b, v140
	v_rndne_f32_e32 v142, v141
	v_sub_f32_e32 v143, v141, v142
	v_fma_f32 v141, v140, s13, -v141
	v_fmac_f32_e32 v141, 0x32a5705f, v140
	v_add_f32_e32 v141, v143, v141
	v_cvt_i32_f32_e32 v142, v142
	v_exp_f32_e32 v141, v141
	v_cmp_ngt_f32_e32 vcc, s15, v140
	v_ldexp_f32 v141, v141, v142
	s_nop 0
	v_cndmask_b32_e32 v141, 0, v141, vcc
	v_cmp_nlt_f32_e32 vcc, s16, v140
	s_nop 1
	v_cndmask_b32_e32 v140, v101, v141, vcc
	v_add_f32_e32 v140, 1.0, v140
	v_rcp_f32_e32 v140, v140
	s_nop 0
	v_fma_f32 v140, v140, -2.0, 1.0
.LBB30_470:                             ;   in Loop: Header=BB30_444 Depth=1
	s_andn2_saveexec_b64 s[8:9], s[8:9]
; %bb.471:                              ;   in Loop: Header=BB30_444 Depth=1
	v_mul_f32_e32 v140, v6, v6
	v_fmamk_f32 v141, v140, 0xbbbac73d, v99
	v_fmaak_f32 v141, v140, v141, 0xbd5c1c4e
	v_fmaak_f32 v141, v140, v141, 0x3e088382
	;; [unrolled: 1-line block ×3, first 2 shown]
	v_mul_f32_e64 v141, |v6|, v141
	v_fma_f32 v140, v140, v141, |v6|
; %bb.472:                              ;   in Loop: Header=BB30_444 Depth=1
	s_or_b64 exec, exec, s[8:9]
	v_cmp_nlt_f32_e64 s[8:9], |v7|, s12
                                        ; implicit-def: $vgpr141
	s_and_saveexec_b64 s[20:21], s[8:9]
	s_xor_b64 s[8:9], exec, s[20:21]
	s_cbranch_execz .LBB30_474
; %bb.473:                              ;   in Loop: Header=BB30_444 Depth=1
	v_add_f32_e64 v141, |v7|, |v7|
	v_mul_f32_e32 v142, 0x3fb8aa3b, v141
	v_rndne_f32_e32 v143, v142
	v_sub_f32_e32 v144, v142, v143
	v_fma_f32 v142, v141, s13, -v142
	v_fmac_f32_e32 v142, 0x32a5705f, v141
	v_add_f32_e32 v142, v144, v142
	v_cvt_i32_f32_e32 v143, v143
	v_exp_f32_e32 v142, v142
	v_cmp_ngt_f32_e32 vcc, s15, v141
	v_ldexp_f32 v142, v142, v143
	s_nop 0
	v_cndmask_b32_e32 v142, 0, v142, vcc
	v_cmp_nlt_f32_e32 vcc, s16, v141
	s_nop 1
	v_cndmask_b32_e32 v141, v101, v142, vcc
	v_add_f32_e32 v141, 1.0, v141
	v_rcp_f32_e32 v141, v141
	s_nop 0
	v_fma_f32 v141, v141, -2.0, 1.0
.LBB30_474:                             ;   in Loop: Header=BB30_444 Depth=1
	s_andn2_saveexec_b64 s[8:9], s[8:9]
; %bb.475:                              ;   in Loop: Header=BB30_444 Depth=1
	v_mul_f32_e32 v141, v7, v7
	v_fmamk_f32 v142, v141, 0xbbbac73d, v99
	v_fmaak_f32 v142, v141, v142, 0xbd5c1c4e
	v_fmaak_f32 v142, v141, v142, 0x3e088382
	v_fmaak_f32 v142, v141, v142, 0xbeaaaa99
	v_mul_f32_e64 v142, |v7|, v142
	v_fma_f32 v141, v141, v142, |v7|
; %bb.476:                              ;   in Loop: Header=BB30_444 Depth=1
	s_or_b64 exec, exec, s[8:9]
	v_bfi_b32 v79, s17, v135, v79
	v_bfi_b32 v135, s17, v0, v1
	ds_read2_b32 v[0:1], v100 offset1:1
	v_bfi_b32 v3, s17, v137, v3
	v_bfi_b32 v2, s17, v136, v2
	ds_read_b32 v136, v92 offset:33792
	ds_read_b32 v137, v93 offset:33792
	v_bfi_b32 v4, s17, v138, v4
	v_bfi_b32 v7, s17, v141, v7
	s_waitcnt lgkmcnt(2)
	v_fma_mix_f32 v138, s3, v79, v0 op_sel_hi:[0,0,1]
	v_fma_mix_f32 v0, s3, v135, v0 op_sel:[0,0,1] op_sel_hi:[0,0,1]
	v_bfi_b32 v5, s17, v139, v5
	v_fma_mix_f32 v2, s3, v2, v1 op_sel_hi:[0,0,1]
	v_fma_mix_f32 v1, s3, v3, v1 op_sel:[0,0,1] op_sel_hi:[0,0,1]
	s_waitcnt lgkmcnt(0)
	v_fma_mix_f32 v202, s3, v7, v137 op_sel:[0,0,1] op_sel_hi:[0,0,1]
	v_add_f32_e32 v3, 0x40051340, v138
	v_add_f32_e32 v7, 0x40051340, v0
	v_bfi_b32 v6, s17, v140, v6
	v_fma_mix_f32 v4, s3, v4, v136 op_sel_hi:[0,0,1]
	v_fma_mix_f32 v5, s3, v5, v136 op_sel:[0,0,1] op_sel_hi:[0,0,1]
	v_max3_f32 v3, v82, v3, v7
	v_add_f32_e32 v7, 0x40051340, v2
	v_add_f32_e32 v79, 0x40051340, v1
	v_fma_mix_f32 v6, s3, v6, v137 op_sel_hi:[0,0,1]
	v_max3_f32 v3, v3, v7, v79
	v_add_f32_e32 v7, 0x40051340, v4
	v_add_f32_e32 v79, 0x40051340, v5
	v_max3_f32 v3, v3, v7, v79
	v_add_f32_e32 v7, 0x40051340, v6
	v_add_f32_e32 v79, 0x40051340, v202
	v_max3_f32 v3, v3, v7, v79
	ds_bpermute_b32 v7, v94, v3
	s_mul_hi_i32 s9, s6, s14
	s_mul_i32 s8, s6, s14
	s_lshl_b64 s[8:9], s[8:9], 2
	s_add_u32 s8, s10, s8
	s_waitcnt lgkmcnt(0)
	v_max_f32_e32 v7, v7, v7
	v_max_f32_e32 v3, v3, v7
	ds_bpermute_b32 v7, v95, v3
	s_addc_u32 s9, s11, s9
	s_add_i32 s70, s70, 1
	s_add_i32 s6, s6, 64
	s_waitcnt lgkmcnt(0)
	v_max_f32_e32 v7, v7, v7
	v_max_f32_e32 v79, v3, v7
	v_sub_f32_e32 v3, v138, v79
	v_mul_f32_e32 v7, 0x3fb8aa3b, v3
	v_fma_f32 v135, v3, s13, -v7
	v_rndne_f32_e32 v136, v7
	v_fmac_f32_e32 v135, 0x32a5705f, v3
	v_sub_f32_e32 v7, v7, v136
	v_add_f32_e32 v7, v7, v135
	v_exp_f32_e32 v7, v7
	v_cvt_i32_f32_e32 v135, v136
	v_cmp_ngt_f32_e32 vcc, s15, v3
	v_sub_f32_e32 v2, v2, v79
	v_sub_f32_e32 v4, v4, v79
	v_ldexp_f32 v7, v7, v135
	v_sub_f32_e32 v135, v0, v79
	v_mul_f32_e32 v0, 0x3fb8aa3b, v135
	v_fma_f32 v136, v135, s13, -v0
	v_rndne_f32_e32 v137, v0
	v_fmac_f32_e32 v136, 0x32a5705f, v135
	v_sub_f32_e32 v0, v0, v137
	v_add_f32_e32 v0, v0, v136
	v_exp_f32_e32 v136, v0
	v_cvt_i32_f32_e32 v137, v137
	v_cndmask_b32_e32 v0, 0, v7, vcc
	v_mul_f32_e32 v7, 0x3fb8aa3b, v2
	v_cmp_nlt_f32_e32 vcc, s16, v3
	v_ldexp_f32 v3, v136, v137
	v_fma_f32 v136, v2, s13, -v7
	v_rndne_f32_e32 v137, v7
	v_fmac_f32_e32 v136, 0x32a5705f, v2
	v_sub_f32_e32 v7, v7, v137
	v_add_f32_e32 v7, v7, v136
	v_exp_f32_e32 v7, v7
	v_cvt_i32_f32_e32 v136, v137
	v_cndmask_b32_e32 v0, v101, v0, vcc
	v_cmp_ngt_f32_e32 vcc, s15, v135
	v_sub_f32_e32 v5, v5, v79
	v_ldexp_f32 v7, v7, v136
	v_sub_f32_e32 v136, v1, v79
	v_mul_f32_e32 v1, 0x3fb8aa3b, v136
	v_fma_f32 v137, v136, s13, -v1
	v_rndne_f32_e32 v138, v1
	v_fmac_f32_e32 v137, 0x32a5705f, v136
	v_sub_f32_e32 v1, v1, v138
	v_cndmask_b32_e32 v3, 0, v3, vcc
	v_cmp_nlt_f32_e32 vcc, s16, v135
	v_add_f32_e32 v1, v1, v137
	v_exp_f32_e32 v137, v1
	v_cndmask_b32_e32 v3, v101, v3, vcc
	v_cmp_ngt_f32_e32 vcc, s15, v2
	v_cvt_i32_f32_e32 v138, v138
	v_add_f32_e32 v135, v0, v3
	v_cndmask_b32_e32 v7, 0, v7, vcc
	v_cmp_nlt_f32_e32 vcc, s16, v2
	v_sub_f32_e32 v82, v82, v79
	v_cvt_pk_f16_f32 v0, v0, v3
	v_cndmask_b32_e32 v1, v101, v7, vcc
	v_add_f32_e32 v2, v1, v135
	v_mul_f32_e32 v135, 0x3fb8aa3b, v4
	v_ldexp_f32 v7, v137, v138
	v_fma_f32 v137, v4, s13, -v135
	v_rndne_f32_e32 v138, v135
	v_fmac_f32_e32 v137, 0x32a5705f, v4
	v_sub_f32_e32 v135, v135, v138
	v_add_f32_e32 v135, v135, v137
	v_exp_f32_e32 v135, v135
	v_cvt_i32_f32_e32 v137, v138
	v_cmp_ngt_f32_e32 vcc, s15, v136
	s_nop 1
	v_cndmask_b32_e32 v7, 0, v7, vcc
	v_cmp_nlt_f32_e32 vcc, s16, v136
	s_nop 1
	v_cndmask_b32_e32 v136, v101, v7, vcc
	v_add_f32_e32 v7, v136, v2
	v_ldexp_f32 v2, v135, v137
	v_mul_f32_e32 v135, 0x3fb8aa3b, v5
	v_fma_f32 v137, v5, s13, -v135
	v_rndne_f32_e32 v138, v135
	v_fmac_f32_e32 v137, 0x32a5705f, v5
	v_sub_f32_e32 v135, v135, v138
	v_add_f32_e32 v135, v135, v137
	v_exp_f32_e32 v135, v135
	v_cvt_i32_f32_e32 v137, v138
	v_cmp_ngt_f32_e32 vcc, s15, v4
	v_lshl_add_u64 v[138:139], v[38:39], 2, s[8:9]
	v_lshl_add_u64 v[146:147], v[138:139], 0, v[32:33]
	v_cndmask_b32_e32 v2, 0, v2, vcc
	v_cmp_nlt_f32_e32 vcc, s16, v4
	v_lshl_add_u64 v[138:139], v[40:41], 2, s[8:9]
	v_lshl_add_u64 v[182:183], v[138:139], 0, v[32:33]
	v_cndmask_b32_e32 v2, v101, v2, vcc
	v_add_f32_e32 v4, v2, v7
	v_ldexp_f32 v7, v135, v137
	v_cmp_ngt_f32_e32 vcc, s15, v5
	v_sub_f32_e32 v137, v6, v79
	v_lshl_add_u64 v[138:139], v[42:43], 2, s[8:9]
	v_cndmask_b32_e32 v7, 0, v7, vcc
	v_cmp_nlt_f32_e32 vcc, s16, v5
	v_lshl_add_u64 v[186:187], v[138:139], 0, v[32:33]
	v_lshl_add_u64 v[138:139], v[44:45], 2, s[8:9]
	v_cndmask_b32_e32 v135, v101, v7, vcc
	v_add_f32_e32 v203, v135, v4
	v_mul_f32_e32 v4, 0x3fb8aa3b, v137
	v_fma_f32 v5, v137, s13, -v4
	v_rndne_f32_e32 v6, v4
	v_fmac_f32_e32 v5, 0x32a5705f, v137
	v_sub_f32_e32 v4, v4, v6
	v_add_f32_e32 v4, v4, v5
	v_lshl_add_u64 v[190:191], v[138:139], 0, v[32:33]
	v_lshl_add_u64 v[138:139], v[46:47], 2, s[8:9]
	v_exp_f32_e32 v204, v4
	v_lshl_add_u64 v[4:5], v[8:9], 2, s[8:9]
	v_lshl_add_u64 v[194:195], v[138:139], 0, v[32:33]
	;; [unrolled: 1-line block ×3, first 2 shown]
	v_cvt_i32_f32_e32 v205, v6
	v_lshl_add_u64 v[4:5], v[4:5], 0, v[32:33]
	v_lshl_add_u64 v[6:7], v[36:37], 2, s[8:9]
	;; [unrolled: 1-line block ×4, first 2 shown]
	global_load_dwordx4 v[138:141], v[4:5], off
	global_load_dwordx4 v[142:145], v[6:7], off
	s_nop 0
	global_load_dwordx4 v[146:149], v[146:147], off
	s_nop 0
	;; [unrolled: 2-line block ×6, first 2 shown]
	global_load_dwordx4 v[198:201], v[198:199], off
	v_sub_f32_e32 v5, v202, v79
	v_mul_f32_e32 v6, 0x3fb8aa3b, v5
	v_ldexp_f32 v4, v204, v205
	v_cmp_ngt_f32_e32 vcc, s15, v137
	v_fma_f32 v7, v5, s13, -v6
	v_rndne_f32_e32 v202, v6
	v_cndmask_b32_e32 v4, 0, v4, vcc
	v_cmp_nlt_f32_e32 vcc, s16, v137
	v_fmac_f32_e32 v7, 0x32a5705f, v5
	v_sub_f32_e32 v6, v6, v202
	v_cndmask_b32_e32 v137, v101, v4, vcc
	v_add_f32_e32 v6, v6, v7
	v_cvt_i32_f32_e32 v7, v202
	v_mul_f32_e32 v202, 0x3fb8aa3b, v82
	v_add_f32_e32 v4, v137, v203
	v_fma_f32 v203, v82, s13, -v202
	v_rndne_f32_e32 v204, v202
	v_fmac_f32_e32 v203, 0x32a5705f, v82
	v_sub_f32_e32 v202, v202, v204
	v_exp_f32_e32 v6, v6
	v_add_f32_e32 v202, v202, v203
	v_exp_f32_e32 v202, v202
	v_cvt_i32_f32_e32 v203, v204
	v_ldexp_f32 v6, v6, v7
	v_cmp_ngt_f32_e32 vcc, s15, v5
	s_waitcnt vmcnt(7)
	ds_write_b128 v84, v[138:141]
	s_waitcnt vmcnt(6)
	ds_write_b128 v85, v[142:145]
	;; [unrolled: 2-line block ×8, first 2 shown]
	v_cndmask_b32_e32 v6, 0, v6, vcc
	v_ldexp_f32 v7, v202, v203
	v_cmp_ngt_f32_e32 vcc, s15, v82
	s_waitcnt lgkmcnt(0)
	s_barrier
	v_cndmask_b32_e32 v7, 0, v7, vcc
	v_cmp_nlt_f32_e32 vcc, s16, v82
	v_cvt_pk_f16_f32 v1, v1, v136
	s_nop 0
	v_cndmask_b32_e32 v7, v101, v7, vcc
	v_cmp_le_f32_e32 vcc, s18, v82
	v_cvt_pk_f16_f32 v2, v2, v135
	s_nop 0
	v_cndmask_b32_e32 v7, 0, v7, vcc
	v_cvt_f16_f32_e32 v202, v7
	v_cmp_nlt_f32_e32 vcc, s16, v5
	s_nop 1
	v_cndmask_b32_e32 v203, v101, v6, vcc
	v_add_f32_e32 v82, v203, v4
	v_mul_u32_u24_e32 v4, 0x10001, v202
	v_fmac_f32_e32 v82, v134, v7
	v_pk_mul_f16 v133, v133, v4
	v_pk_mul_f16 v132, v132, v4
	;; [unrolled: 1-line block ×32, first 2 shown]
	ds_read_u16 v102, v96 offset:1056
	ds_read_u16 v138, v96 offset:1088
	;; [unrolled: 1-line block ×8, first 2 shown]
	ds_read_u16 v103, v97
	ds_read_u16 v141, v97 offset:32
	ds_read_u16 v143, v97 offset:64
	;; [unrolled: 1-line block ×7, first 2 shown]
	s_waitcnt lgkmcnt(7)
	v_perm_b32 v103, v103, v102, s19
	ds_read_u16 v102, v96
	ds_read_u16 v184, v96 offset:32
	ds_read_u16 v185, v96 offset:64
	;; [unrolled: 1-line block ×15, first 2 shown]
	v_cvt_f32_f16_e32 v104, v133
	v_cvt_f32_f16_sdwa v105, v133 dst_sel:DWORD dst_unused:UNUSED_PAD src0_sel:WORD_1
	v_cvt_f32_f16_e32 v133, v132
	v_cvt_f32_f16_sdwa v132, v132 dst_sel:DWORD dst_unused:UNUSED_PAD src0_sel:WORD_1
	s_waitcnt lgkmcnt(7)
	v_perm_b32 v102, v134, v102, s19
	v_accvgpr_write_b32 a0, v104
	v_accvgpr_write_b32 a1, v105
	;; [unrolled: 1-line block ×4, first 2 shown]
	v_cmp_lt_i32_e32 vcc, s70, v81
	s_and_b64 vcc, exec, vcc
	v_mfma_f32_16x16x16_f16 a[0:3], v[102:103], v[0:1], a[0:3]
	s_nop 7
	v_accvgpr_read_b32 v3, a0
	v_accvgpr_read_b32 v102, a1
	v_cvt_f16_f32_e32 v3, v3
	v_cvt_f16_f32_e32 v102, v102
	v_accvgpr_read_b32 v103, a2
	v_cvt_f16_f32_e32 v103, v103
	v_accvgpr_read_b32 v104, a3
	v_cvt_f16_f32_e32 v104, v104
	v_cvt_f32_f16_e32 v105, v3
	v_cvt_f32_f16_e32 v132, v102
	ds_read_u16 v3, v96 offset:17952
	ds_read_u16 v136, v96 offset:17984
	;; [unrolled: 1-line block ×16, first 2 shown]
	v_cvt_f32_f16_e32 v133, v103
	s_waitcnt lgkmcnt(7)
	v_perm_b32 v103, v102, v3, s19
	ds_read_u16 v3, v96 offset:16896
	ds_read_u16 v212, v96 offset:16928
	;; [unrolled: 1-line block ×16, first 2 shown]
	v_cvt_f32_f16_e32 v104, v104
	s_waitcnt lgkmcnt(7)
	v_perm_b32 v102, v102, v3, s19
	v_cvt_pk_f16_f32 v3, v137, v203
	v_accvgpr_write_b32 a0, v105
	v_accvgpr_write_b32 a1, v132
	v_accvgpr_write_b32 a2, v133
	v_accvgpr_write_b32 a3, v104
	v_cvt_f32_f16_e32 v104, v131
	v_cvt_f32_f16_sdwa v105, v131 dst_sel:DWORD dst_unused:UNUSED_PAD src0_sel:WORD_1
	v_mfma_f32_16x16x16_f16 a[0:3], v[102:103], v[2:3], a[0:3]
	v_cvt_f32_f16_e32 v131, v130
	v_cvt_f32_f16_sdwa v130, v130 dst_sel:DWORD dst_unused:UNUSED_PAD src0_sel:WORD_1
	v_perm_b32 v103, v141, v138, s19
	v_perm_b32 v102, v191, v184, s19
	s_nop 3
	v_accvgpr_read_b32 v132, a0
	v_accvgpr_read_b32 v133, a1
	v_accvgpr_read_b32 v134, a2
	v_accvgpr_read_b32 v135, a3
	v_accvgpr_write_b32 a0, v104
	v_accvgpr_write_b32 a1, v105
	v_accvgpr_write_b32 a2, v131
	v_accvgpr_write_b32 a3, v130
	v_cvt_pk_f16_f32 v133, v132, v133
	v_cvt_pk_f16_f32 v132, v134, v135
	v_mfma_f32_16x16x16_f16 a[0:3], v[102:103], v[0:1], a[0:3]
	s_nop 7
	v_accvgpr_read_b32 v102, a0
	v_accvgpr_read_b32 v103, a1
	v_accvgpr_read_b32 v104, a2
	v_accvgpr_read_b32 v105, a3
	v_cvt_f16_f32_e32 v102, v102
	v_cvt_f16_f32_e32 v103, v103
	v_cvt_f16_f32_e32 v104, v104
	v_cvt_f16_f32_e32 v105, v105
	v_cvt_f32_f16_e32 v130, v102
	v_cvt_f32_f16_e32 v131, v103
	v_cvt_f32_f16_e32 v104, v104
	v_cvt_f32_f16_e32 v105, v105
	v_perm_b32 v103, v205, v136, s19
	s_waitcnt lgkmcnt(6)
	v_perm_b32 v102, v219, v212, s19
	v_accvgpr_write_b32 a0, v130
	v_accvgpr_write_b32 a1, v131
	v_accvgpr_write_b32 a2, v104
	v_accvgpr_write_b32 a3, v105
	v_cvt_f32_f16_e32 v104, v129
	v_cvt_f32_f16_sdwa v105, v129 dst_sel:DWORD dst_unused:UNUSED_PAD src0_sel:WORD_1
	v_mfma_f32_16x16x16_f16 a[0:3], v[102:103], v[2:3], a[0:3]
	v_cvt_f32_f16_e32 v129, v128
	v_cvt_f32_f16_sdwa v128, v128 dst_sel:DWORD dst_unused:UNUSED_PAD src0_sel:WORD_1
	v_perm_b32 v103, v143, v139, s19
	v_perm_b32 v102, v192, v185, s19
	s_nop 3
	v_accvgpr_read_b32 v130, a0
	v_accvgpr_read_b32 v131, a1
	v_accvgpr_read_b32 v136, a2
	v_accvgpr_read_b32 v137, a3
	v_accvgpr_write_b32 a0, v104
	v_accvgpr_write_b32 a1, v105
	v_accvgpr_write_b32 a2, v129
	v_accvgpr_write_b32 a3, v128
	v_cvt_pk_f16_f32 v131, v130, v131
	v_cvt_pk_f16_f32 v130, v136, v137
	v_mfma_f32_16x16x16_f16 a[0:3], v[102:103], v[0:1], a[0:3]
	s_nop 7
	v_accvgpr_read_b32 v102, a0
	v_accvgpr_read_b32 v103, a1
	v_accvgpr_read_b32 v104, a2
	v_accvgpr_read_b32 v105, a3
	v_cvt_f16_f32_e32 v102, v102
	v_cvt_f16_f32_e32 v103, v103
	v_cvt_f16_f32_e32 v104, v104
	v_cvt_f16_f32_e32 v105, v105
	v_cvt_f32_f16_e32 v128, v102
	v_cvt_f32_f16_e32 v129, v103
	v_cvt_f32_f16_e32 v104, v104
	v_cvt_f32_f16_e32 v105, v105
	v_perm_b32 v103, v206, v198, s19
	s_waitcnt lgkmcnt(5)
	v_perm_b32 v102, v220, v213, s19
	;; [unrolled: 39-line block ×7, first 2 shown]
	v_accvgpr_write_b32 a0, v118
	v_accvgpr_write_b32 a1, v119
	;; [unrolled: 1-line block ×4, first 2 shown]
	v_cvt_f32_f16_e32 v104, v117
	v_cvt_f32_f16_sdwa v105, v117 dst_sel:DWORD dst_unused:UNUSED_PAD src0_sel:WORD_1
	v_mfma_f32_16x16x16_f16 a[0:3], v[102:103], v[2:3], a[0:3]
	ds_read_u16 v102, v96 offset:1312
	ds_read_u16 v182, v96 offset:1344
	;; [unrolled: 1-line block ×16, first 2 shown]
	s_waitcnt lgkmcnt(7)
	v_perm_b32 v103, v103, v102, s19
	ds_read_u16 v102, v96 offset:256
	ds_read_u16 v196, v96 offset:288
	;; [unrolled: 1-line block ×16, first 2 shown]
	v_cvt_f32_f16_e32 v117, v116
	v_cvt_f32_f16_sdwa v116, v116 dst_sel:DWORD dst_unused:UNUSED_PAD src0_sel:WORD_1
	s_waitcnt lgkmcnt(7)
	v_perm_b32 v102, v203, v102, s19
	v_accvgpr_read_b32 v118, a0
	v_accvgpr_read_b32 v119, a1
	;; [unrolled: 1-line block ×4, first 2 shown]
	v_accvgpr_write_b32 a0, v104
	v_accvgpr_write_b32 a1, v105
	;; [unrolled: 1-line block ×4, first 2 shown]
	v_cvt_pk_f16_f32 v119, v118, v119
	v_cvt_pk_f16_f32 v118, v148, v149
	v_mfma_f32_16x16x16_f16 a[0:3], v[102:103], v[0:1], a[0:3]
	s_nop 7
	v_accvgpr_read_b32 v102, a0
	v_accvgpr_read_b32 v103, a1
	v_cvt_f16_f32_e32 v102, v102
	v_cvt_f16_f32_e32 v103, v103
	v_accvgpr_read_b32 v104, a2
	v_accvgpr_read_b32 v105, a3
	v_cvt_f16_f32_e32 v104, v104
	v_cvt_f16_f32_e32 v105, v105
	v_cvt_f32_f16_e32 v116, v102
	v_cvt_f32_f16_e32 v117, v103
	ds_read_u16 v102, v96 offset:18208
	ds_read_u16 v203, v96 offset:18240
	;; [unrolled: 1-line block ×16, first 2 shown]
	s_waitcnt lgkmcnt(7)
	v_perm_b32 v103, v103, v102, s19
	ds_read_u16 v102, v96 offset:17152
	ds_read_u16 v224, v96 offset:17184
	;; [unrolled: 1-line block ×16, first 2 shown]
	v_cvt_f32_f16_e32 v104, v104
	v_cvt_f32_f16_e32 v105, v105
	s_waitcnt lgkmcnt(7)
	v_perm_b32 v102, v231, v102, s19
	v_accvgpr_write_b32 a0, v116
	v_accvgpr_write_b32 a1, v117
	;; [unrolled: 1-line block ×4, first 2 shown]
	v_cvt_f32_f16_e32 v104, v115
	v_cvt_f32_f16_sdwa v105, v115 dst_sel:DWORD dst_unused:UNUSED_PAD src0_sel:WORD_1
	v_mfma_f32_16x16x16_f16 a[0:3], v[102:103], v[2:3], a[0:3]
	v_cvt_f32_f16_e32 v115, v114
	v_cvt_f32_f16_sdwa v114, v114 dst_sel:DWORD dst_unused:UNUSED_PAD src0_sel:WORD_1
	v_perm_b32 v103, v189, v182, s19
	v_perm_b32 v102, v204, v196, s19
	s_waitcnt lgkmcnt(0)
	s_barrier
	s_nop 1
	v_accvgpr_read_b32 v116, a0
	v_accvgpr_read_b32 v117, a1
	v_accvgpr_read_b32 v231, a2
	v_accvgpr_read_b32 v239, a3
	v_accvgpr_write_b32 a0, v104
	v_accvgpr_write_b32 a1, v105
	v_accvgpr_write_b32 a2, v115
	v_accvgpr_write_b32 a3, v114
	v_cvt_pk_f16_f32 v117, v116, v117
	v_cvt_pk_f16_f32 v116, v231, v239
	v_mfma_f32_16x16x16_f16 a[0:3], v[102:103], v[0:1], a[0:3]
	s_nop 7
	v_accvgpr_read_b32 v102, a0
	v_accvgpr_read_b32 v103, a1
	v_accvgpr_read_b32 v104, a2
	v_accvgpr_read_b32 v105, a3
	v_cvt_f16_f32_e32 v102, v102
	v_cvt_f16_f32_e32 v103, v103
	v_cvt_f16_f32_e32 v104, v104
	v_cvt_f16_f32_e32 v105, v105
	v_cvt_f32_f16_e32 v114, v102
	v_cvt_f32_f16_e32 v115, v103
	v_cvt_f32_f16_e32 v104, v104
	v_cvt_f32_f16_e32 v105, v105
	v_perm_b32 v103, v217, v203, s19
	v_perm_b32 v102, v232, v224, s19
	v_accvgpr_write_b32 a0, v114
	v_accvgpr_write_b32 a1, v115
	v_accvgpr_write_b32 a2, v104
	v_accvgpr_write_b32 a3, v105
	v_cvt_f32_f16_e32 v104, v113
	v_cvt_f32_f16_sdwa v105, v113 dst_sel:DWORD dst_unused:UNUSED_PAD src0_sel:WORD_1
	v_mfma_f32_16x16x16_f16 a[0:3], v[102:103], v[2:3], a[0:3]
	v_cvt_f32_f16_e32 v113, v112
	v_cvt_f32_f16_sdwa v112, v112 dst_sel:DWORD dst_unused:UNUSED_PAD src0_sel:WORD_1
	v_perm_b32 v103, v190, v183, s19
	v_perm_b32 v102, v205, v197, s19
	s_nop 3
	v_accvgpr_read_b32 v114, a0
	v_accvgpr_read_b32 v115, a1
	v_accvgpr_read_b32 v182, a2
	v_accvgpr_read_b32 v189, a3
	v_accvgpr_write_b32 a0, v104
	v_accvgpr_write_b32 a1, v105
	v_accvgpr_write_b32 a2, v113
	v_accvgpr_write_b32 a3, v112
	v_cvt_pk_f16_f32 v115, v114, v115
	v_cvt_pk_f16_f32 v114, v182, v189
	v_mfma_f32_16x16x16_f16 a[0:3], v[102:103], v[0:1], a[0:3]
	s_nop 7
	v_accvgpr_read_b32 v102, a0
	v_accvgpr_read_b32 v103, a1
	v_accvgpr_read_b32 v104, a2
	v_accvgpr_read_b32 v105, a3
	v_cvt_f16_f32_e32 v102, v102
	v_cvt_f16_f32_e32 v103, v103
	v_cvt_f16_f32_e32 v104, v104
	v_cvt_f16_f32_e32 v105, v105
	v_cvt_f32_f16_e32 v112, v102
	v_cvt_f32_f16_e32 v113, v103
	v_cvt_f32_f16_e32 v104, v104
	v_cvt_f32_f16_e32 v105, v105
	v_perm_b32 v103, v218, v211, s19
	v_perm_b32 v102, v233, v225, s19
	v_accvgpr_write_b32 a0, v112
	v_accvgpr_write_b32 a1, v113
	v_accvgpr_write_b32 a2, v104
	v_accvgpr_write_b32 a3, v105
	v_cvt_f32_f16_e32 v104, v111
	v_cvt_f32_f16_sdwa v105, v111 dst_sel:DWORD dst_unused:UNUSED_PAD src0_sel:WORD_1
	v_mfma_f32_16x16x16_f16 a[0:3], v[102:103], v[2:3], a[0:3]
	v_cvt_f32_f16_e32 v111, v110
	v_cvt_f32_f16_sdwa v110, v110 dst_sel:DWORD dst_unused:UNUSED_PAD src0_sel:WORD_1
	v_perm_b32 v103, v191, v184, s19
	v_perm_b32 v102, v206, v198, s19
	;; [unrolled: 38-line block ×5, first 2 shown]
	v_cvt_f32_f16_sdwa v194, v4 dst_sel:DWORD dst_unused:UNUSED_PAD src0_sel:WORD_1
	s_nop 2
	v_accvgpr_read_b32 v106, a0
	v_accvgpr_read_b32 v107, a1
	;; [unrolled: 1-line block ×4, first 2 shown]
	v_accvgpr_write_b32 a0, v102
	v_accvgpr_write_b32 a1, v103
	;; [unrolled: 1-line block ×4, first 2 shown]
	v_cvt_pk_f16_f32 v107, v106, v107
	v_cvt_pk_f16_f32 v106, v186, v193
	v_mfma_f32_16x16x16_f16 a[0:3], v[6:7], v[0:1], a[0:3]
	s_nop 7
	v_accvgpr_read_b32 v6, a0
	v_accvgpr_read_b32 v7, a1
	;; [unrolled: 1-line block ×4, first 2 shown]
	v_cvt_f16_f32_e32 v6, v6
	v_cvt_f16_f32_e32 v7, v7
	;; [unrolled: 1-line block ×4, first 2 shown]
	v_cvt_f32_f16_e32 v104, v6
	v_cvt_f32_f16_e32 v105, v7
	;; [unrolled: 1-line block ×4, first 2 shown]
	v_perm_b32 v7, v222, v215, s19
	v_perm_b32 v6, v237, v229, s19
	v_accvgpr_write_b32 a0, v104
	v_accvgpr_write_b32 a1, v105
	;; [unrolled: 1-line block ×4, first 2 shown]
	v_cvt_f32_f16_e32 v102, v5
	v_cvt_f32_f16_sdwa v103, v5 dst_sel:DWORD dst_unused:UNUSED_PAD src0_sel:WORD_1
	v_mfma_f32_16x16x16_f16 a[0:3], v[6:7], v[2:3], a[0:3]
	v_cvt_f32_f16_e32 v105, v4
	v_perm_b32 v5, v195, v188, s19
	v_perm_b32 v4, v210, v202, s19
	s_nop 4
	v_accvgpr_read_b32 v6, a0
	v_accvgpr_read_b32 v7, a1
	;; [unrolled: 1-line block ×4, first 2 shown]
	v_accvgpr_write_b32 a0, v102
	v_accvgpr_write_b32 a1, v103
	;; [unrolled: 1-line block ×4, first 2 shown]
	v_cvt_pk_f16_f32 v105, v6, v7
	v_cvt_pk_f16_f32 v104, v104, v187
	v_mfma_f32_16x16x16_f16 a[0:3], v[4:5], v[0:1], a[0:3]
	s_nop 7
	v_accvgpr_read_b32 v0, a0
	v_accvgpr_read_b32 v1, a1
	;; [unrolled: 1-line block ×4, first 2 shown]
	v_cvt_f16_f32_e32 v0, v0
	v_cvt_f16_f32_e32 v1, v1
	;; [unrolled: 1-line block ×4, first 2 shown]
	v_cvt_f32_f16_e32 v102, v0
	v_cvt_f32_f16_e32 v103, v1
	v_cvt_f32_f16_e32 v4, v4
	v_cvt_f32_f16_e32 v5, v5
	v_perm_b32 v1, v223, v216, s19
	v_perm_b32 v0, v238, v230, s19
	v_accvgpr_write_b32 a0, v102
	v_accvgpr_write_b32 a1, v103
	;; [unrolled: 1-line block ×4, first 2 shown]
	s_nop 1
	v_mfma_f32_16x16x16_f16 a[0:3], v[0:1], v[2:3], a[0:3]
	s_nop 7
	v_accvgpr_read_b32 v0, a0
	v_accvgpr_read_b32 v1, a1
	v_accvgpr_read_b32 v2, a2
	v_accvgpr_read_b32 v3, a3
	v_cvt_pk_f16_f32 v103, v0, v1
	v_cvt_pk_f16_f32 v102, v2, v3
	s_cbranch_vccz .LBB30_479
; %bb.477:                              ;   in Loop: Header=BB30_444 Depth=1
	v_mov_b32_e32 v134, v82
	v_mov_b32_e32 v82, v79
	s_branch .LBB30_444
.LBB30_478:
	v_mov_b32_e32 v79, 0xfeffffff
	v_mov_b32_e32 v82, 0
	;; [unrolled: 1-line block ×34, first 2 shown]
	s_branch .LBB30_480
.LBB30_479:
	v_mov_b64_e32 v[0:1], s[34:35]
.LBB30_480:
	s_lshl_b32 s6, s70, 6
	s_ashr_i32 s7, s6, 31
	s_lshl_b64 s[8:9], s[6:7], 1
	s_add_u32 s4, s4, s8
	s_addc_u32 s5, s5, s9
	v_lshl_add_u64 v[2:3], v[14:15], 1, s[4:5]
	v_lshl_add_u64 v[2:3], v[10:11], 1, v[2:3]
	global_load_dword v11, v[2:3], off
	v_mul_lo_u32 v2, v0, s7
	v_mul_hi_u32 v3, v0, s6
	v_add_u32_e32 v2, v3, v2
	v_mul_lo_u32 v1, v1, s6
	v_add_u32_e32 v1, v2, v1
	v_mul_lo_u32 v0, v0, s6
	v_lshlrev_b64 v[0:1], 2, v[0:1]
	v_lshl_add_u64 v[0:1], s[0:1], 0, v[0:1]
	v_lshl_add_u64 v[2:3], v[16:17], 2, v[0:1]
	v_lshlrev_b64 v[14:15], 2, v[12:13]
	v_lshl_add_u64 v[16:17], v[2:3], 0, v[14:15]
	v_lshl_add_u64 v[2:3], v[18:19], 2, v[0:1]
	;; [unrolled: 1-line block ×15, first 2 shown]
	global_load_dwordx4 v[0:3], v[16:17], off
	global_load_dwordx4 v[4:7], v[18:19], off
                                        ; kill: killed $vgpr16_vgpr17
                                        ; kill: killed $vgpr18_vgpr19
	s_nop 0
	global_load_dwordx4 v[16:19], v[20:21], off
	global_load_dwordx4 v[30:33], v[22:23], off
	;; [unrolled: 1-line block ×5, first 2 shown]
	s_nop 0
	global_load_dwordx4 v[46:49], v[46:47], off
	v_lshlrev_b32_e32 v10, 1, v10
	v_lshlrev_b32_e32 v12, 2, v12
	v_add_u32_e32 v13, 0, v69
	v_add3_u32 v10, 0, v80, v10
	v_add3_u32 v22, 0, v70, v12
	;; [unrolled: 1-line block ×10, first 2 shown]
	s_mov_b32 s0, 0x3f200000
	s_waitcnt vmcnt(8)
	ds_write_b32 v10, v11 offset:33792
	s_waitcnt vmcnt(7)
	ds_write_b128 v22, v[0:3]
	s_waitcnt vmcnt(6)
	ds_write_b128 v23, v[4:7]
	;; [unrolled: 2-line block ×8, first 2 shown]
	s_waitcnt lgkmcnt(0)
	s_barrier
	ds_read2_b64 v[0:3], v12 offset1:4
	v_add_u32_e32 v10, 0x4000, v12
	ds_read2_b64 v[4:7], v10 offset0:64 offset1:68
	s_waitcnt lgkmcnt(1)
	v_mfma_f32_16x16x16_f16 a[0:3], v[0:1], v[178:179], 0
                                        ; implicit-def: $vgpr11
	s_waitcnt lgkmcnt(0)
	v_mfma_f32_16x16x16_f16 a[4:7], v[4:5], v[178:179], 0
	v_mfma_f32_16x16x16_f16 a[0:3], v[2:3], v[180:181], a[0:3]
	ds_read2_b64 v[0:3], v12 offset0:8 offset1:12
	v_mfma_f32_16x16x16_f16 a[4:7], v[6:7], v[180:181], a[4:7]
	ds_read2_b64 v[4:7], v10 offset0:72 offset1:76
	s_waitcnt lgkmcnt(1)
	v_mfma_f32_16x16x16_f16 a[0:3], v[0:1], v[174:175], a[0:3]
	s_waitcnt lgkmcnt(0)
	v_mfma_f32_16x16x16_f16 a[4:7], v[4:5], v[174:175], a[4:7]
	v_mfma_f32_16x16x16_f16 a[0:3], v[2:3], v[176:177], a[0:3]
	ds_read2_b64 v[0:3], v12 offset0:16 offset1:20
	v_mfma_f32_16x16x16_f16 a[4:7], v[6:7], v[176:177], a[4:7]
	ds_read2_b64 v[4:7], v10 offset0:80 offset1:84
	s_waitcnt lgkmcnt(1)
	v_mfma_f32_16x16x16_f16 a[0:3], v[0:1], v[170:171], a[0:3]
	;; [unrolled: 8-line block ×6, first 2 shown]
	s_waitcnt lgkmcnt(0)
	v_mfma_f32_16x16x16_f16 a[4:7], v[4:5], v[154:155], a[4:7]
	v_mfma_f32_16x16x16_f16 a[0:3], v[2:3], v[156:157], a[0:3]
	ds_read2_b64 v[0:3], v12 offset0:56 offset1:60
	v_mfma_f32_16x16x16_f16 a[4:7], v[6:7], v[156:157], a[4:7]
	ds_read2_b64 v[4:7], v10 offset0:120 offset1:124
	s_waitcnt lgkmcnt(0)
	s_barrier
	v_mfma_f32_16x16x16_f16 a[0:3], v[0:1], v[150:151], a[0:3]
	v_mfma_f32_16x16x16_f16 a[8:11], v[4:5], v[150:151], a[4:7]
	;; [unrolled: 1-line block ×4, first 2 shown]
	s_nop 6
	v_accvgpr_read_b32 v10, a4
	v_cmp_nlt_f32_e64 s[0:1], |v10|, s0
	s_and_saveexec_b64 s[4:5], s[0:1]
	s_xor_b64 s[0:1], exec, s[4:5]
	s_cbranch_execz .LBB30_482
; %bb.481:
	v_add_f32_e64 v0, |v10|, |v10|
	v_mul_f32_e32 v1, 0x3fb8aa3b, v0
	s_mov_b32 s4, 0x3fb8aa3b
	v_rndne_f32_e32 v2, v1
	v_sub_f32_e32 v3, v1, v2
	v_fma_f32 v1, v0, s4, -v1
	v_fmamk_f32 v1, v0, 0x32a5705f, v1
	v_add_f32_e32 v1, v3, v1
	v_exp_f32_e32 v1, v1
	v_cvt_i32_f32_e32 v2, v2
	s_mov_b32 s4, 0xc2ce8ed0
	v_cmp_ngt_f32_e32 vcc, s4, v0
	s_mov_b32 s4, 0x42b17218
	v_ldexp_f32 v1, v1, v2
	v_cndmask_b32_e32 v1, 0, v1, vcc
	v_mov_b32_e32 v2, 0x7f800000
	v_cmp_nlt_f32_e32 vcc, s4, v0
	s_nop 1
	v_cndmask_b32_e32 v0, v2, v1, vcc
	v_add_f32_e32 v0, 1.0, v0
	v_rcp_f32_e32 v0, v0
	s_nop 0
	v_fma_f32 v11, v0, -2.0, 1.0
.LBB30_482:
	s_or_saveexec_b64 s[0:1], s[0:1]
	v_accvgpr_read_b32 v0, a4
	v_accvgpr_read_b32 v1, a5
	;; [unrolled: 1-line block ×4, first 2 shown]
	s_xor_b64 exec, exec, s[0:1]
; %bb.483:
	v_mul_f32_e32 v0, v10, v10
	v_mov_b32_e32 v4, 0x3ca908c9
	v_fmac_f32_e32 v4, 0xbbbac73d, v0
	v_fmaak_f32 v4, v0, v4, 0xbd5c1c4e
	v_fmaak_f32 v4, v0, v4, 0x3e088382
	;; [unrolled: 1-line block ×3, first 2 shown]
	v_mul_f32_e64 v4, |v10|, v4
	v_fma_f32 v11, v0, v4, |v10|
; %bb.484:
	s_or_b64 exec, exec, s[0:1]
	s_mov_b32 s0, 0x3f200000
	v_cmp_nlt_f32_e64 s[0:1], |v1|, s0
                                        ; implicit-def: $vgpr0
	s_and_saveexec_b64 s[4:5], s[0:1]
	s_xor_b64 s[0:1], exec, s[4:5]
	s_cbranch_execz .LBB30_486
; %bb.485:
	v_add_f32_e64 v0, |v1|, |v1|
	v_mul_f32_e32 v4, 0x3fb8aa3b, v0
	s_mov_b32 s4, 0x3fb8aa3b
	v_rndne_f32_e32 v5, v4
	v_sub_f32_e32 v6, v4, v5
	v_fma_f32 v4, v0, s4, -v4
	v_fmamk_f32 v4, v0, 0x32a5705f, v4
	v_add_f32_e32 v4, v6, v4
	v_exp_f32_e32 v4, v4
	v_cvt_i32_f32_e32 v5, v5
	s_mov_b32 s4, 0xc2ce8ed0
	v_cmp_ngt_f32_e32 vcc, s4, v0
	s_mov_b32 s4, 0x42b17218
	v_ldexp_f32 v4, v4, v5
	v_cndmask_b32_e32 v4, 0, v4, vcc
	v_mov_b32_e32 v5, 0x7f800000
	v_cmp_nlt_f32_e32 vcc, s4, v0
	s_nop 1
	v_cndmask_b32_e32 v0, v5, v4, vcc
	v_add_f32_e32 v0, 1.0, v0
	v_rcp_f32_e32 v0, v0
	s_nop 0
	v_fma_f32 v0, v0, -2.0, 1.0
.LBB30_486:
	s_andn2_saveexec_b64 s[0:1], s[0:1]
; %bb.487:
	v_mul_f32_e32 v0, v1, v1
	v_mov_b32_e32 v4, 0x3ca908c9
	v_fmac_f32_e32 v4, 0xbbbac73d, v0
	v_fmaak_f32 v4, v0, v4, 0xbd5c1c4e
	v_fmaak_f32 v4, v0, v4, 0x3e088382
	;; [unrolled: 1-line block ×3, first 2 shown]
	v_mul_f32_e64 v4, |v1|, v4
	v_fma_f32 v0, v0, v4, |v1|
; %bb.488:
	s_or_b64 exec, exec, s[0:1]
	s_mov_b32 s0, 0x3f200000
	v_cmp_nlt_f32_e64 s[0:1], |v2|, s0
                                        ; implicit-def: $vgpr12
	s_and_saveexec_b64 s[4:5], s[0:1]
	s_xor_b64 s[0:1], exec, s[4:5]
	s_cbranch_execz .LBB30_490
; %bb.489:
	v_add_f32_e64 v4, |v2|, |v2|
	v_mul_f32_e32 v5, 0x3fb8aa3b, v4
	s_mov_b32 s4, 0x3fb8aa3b
	v_rndne_f32_e32 v6, v5
	v_sub_f32_e32 v7, v5, v6
	v_fma_f32 v5, v4, s4, -v5
	v_fmamk_f32 v5, v4, 0x32a5705f, v5
	v_add_f32_e32 v5, v7, v5
	v_exp_f32_e32 v5, v5
	v_cvt_i32_f32_e32 v6, v6
	s_mov_b32 s4, 0xc2ce8ed0
	v_cmp_ngt_f32_e32 vcc, s4, v4
	s_mov_b32 s4, 0x42b17218
	v_ldexp_f32 v5, v5, v6
	v_cndmask_b32_e32 v5, 0, v5, vcc
	v_mov_b32_e32 v6, 0x7f800000
	v_cmp_nlt_f32_e32 vcc, s4, v4
	s_nop 1
	v_cndmask_b32_e32 v4, v6, v5, vcc
	v_add_f32_e32 v4, 1.0, v4
	v_rcp_f32_e32 v4, v4
	s_nop 0
	v_fma_f32 v12, v4, -2.0, 1.0
.LBB30_490:
	s_andn2_saveexec_b64 s[0:1], s[0:1]
; %bb.491:
	v_mul_f32_e32 v4, v2, v2
	v_mov_b32_e32 v5, 0x3ca908c9
	v_fmac_f32_e32 v5, 0xbbbac73d, v4
	v_fmaak_f32 v5, v4, v5, 0xbd5c1c4e
	v_fmaak_f32 v5, v4, v5, 0x3e088382
	;; [unrolled: 1-line block ×3, first 2 shown]
	v_mul_f32_e64 v5, |v2|, v5
	v_fma_f32 v12, v4, v5, |v2|
; %bb.492:
	s_or_b64 exec, exec, s[0:1]
	s_mov_b32 s0, 0x3f200000
	v_cmp_nlt_f32_e64 s[0:1], |v3|, s0
                                        ; implicit-def: $vgpr13
	s_and_saveexec_b64 s[4:5], s[0:1]
	s_xor_b64 s[0:1], exec, s[4:5]
	s_cbranch_execz .LBB30_494
; %bb.493:
	v_add_f32_e64 v4, |v3|, |v3|
	v_mul_f32_e32 v5, 0x3fb8aa3b, v4
	s_mov_b32 s4, 0x3fb8aa3b
	v_rndne_f32_e32 v6, v5
	v_sub_f32_e32 v7, v5, v6
	v_fma_f32 v5, v4, s4, -v5
	v_fmamk_f32 v5, v4, 0x32a5705f, v5
	v_add_f32_e32 v5, v7, v5
	v_exp_f32_e32 v5, v5
	v_cvt_i32_f32_e32 v6, v6
	s_mov_b32 s4, 0xc2ce8ed0
	v_cmp_ngt_f32_e32 vcc, s4, v4
	s_mov_b32 s4, 0x42b17218
	v_ldexp_f32 v5, v5, v6
	v_cndmask_b32_e32 v5, 0, v5, vcc
	v_mov_b32_e32 v6, 0x7f800000
	v_cmp_nlt_f32_e32 vcc, s4, v4
	s_nop 1
	v_cndmask_b32_e32 v4, v6, v5, vcc
	v_add_f32_e32 v4, 1.0, v4
	v_rcp_f32_e32 v4, v4
	s_nop 0
	v_fma_f32 v13, v4, -2.0, 1.0
.LBB30_494:
	s_or_saveexec_b64 s[0:1], s[0:1]
	v_accvgpr_read_b32 v7, a3
	v_accvgpr_read_b32 v6, a2
	;; [unrolled: 1-line block ×4, first 2 shown]
	s_xor_b64 exec, exec, s[0:1]
; %bb.495:
	v_mul_f32_e32 v13, v3, v3
	v_mov_b32_e32 v16, 0x3ca908c9
	v_fmac_f32_e32 v16, 0xbbbac73d, v13
	v_fmaak_f32 v16, v13, v16, 0xbd5c1c4e
	v_fmaak_f32 v16, v13, v16, 0x3e088382
	;; [unrolled: 1-line block ×3, first 2 shown]
	v_mul_f32_e64 v16, |v3|, v16
	v_fma_f32 v13, v13, v16, |v3|
; %bb.496:
	s_or_b64 exec, exec, s[0:1]
	s_mov_b32 s0, 0x3f200000
	v_cmp_nlt_f32_e64 s[0:1], |v4|, s0
                                        ; implicit-def: $vgpr16
	s_and_saveexec_b64 s[4:5], s[0:1]
	s_xor_b64 s[0:1], exec, s[4:5]
	s_cbranch_execz .LBB30_498
; %bb.497:
	v_add_f32_e64 v16, |v4|, |v4|
	v_mul_f32_e32 v17, 0x3fb8aa3b, v16
	s_mov_b32 s4, 0x3fb8aa3b
	v_rndne_f32_e32 v18, v17
	v_sub_f32_e32 v19, v17, v18
	v_fma_f32 v17, v16, s4, -v17
	v_fmamk_f32 v17, v16, 0x32a5705f, v17
	v_add_f32_e32 v17, v19, v17
	v_exp_f32_e32 v17, v17
	v_cvt_i32_f32_e32 v18, v18
	s_mov_b32 s4, 0xc2ce8ed0
	v_cmp_ngt_f32_e32 vcc, s4, v16
	s_mov_b32 s4, 0x42b17218
	v_ldexp_f32 v17, v17, v18
	v_cndmask_b32_e32 v17, 0, v17, vcc
	v_mov_b32_e32 v18, 0x7f800000
	v_cmp_nlt_f32_e32 vcc, s4, v16
	s_nop 1
	v_cndmask_b32_e32 v16, v18, v17, vcc
	v_add_f32_e32 v16, 1.0, v16
	v_rcp_f32_e32 v16, v16
	s_nop 0
	v_fma_f32 v16, v16, -2.0, 1.0
.LBB30_498:
	s_andn2_saveexec_b64 s[0:1], s[0:1]
; %bb.499:
	v_mul_f32_e32 v16, v4, v4
	v_mov_b32_e32 v17, 0x3ca908c9
	v_fmac_f32_e32 v17, 0xbbbac73d, v16
	v_fmaak_f32 v17, v16, v17, 0xbd5c1c4e
	v_fmaak_f32 v17, v16, v17, 0x3e088382
	;; [unrolled: 1-line block ×3, first 2 shown]
	v_mul_f32_e64 v17, |v4|, v17
	v_fma_f32 v16, v16, v17, |v4|
; %bb.500:
	s_or_b64 exec, exec, s[0:1]
	s_mov_b32 s0, 0x3f200000
	v_cmp_nlt_f32_e64 s[0:1], |v5|, s0
                                        ; implicit-def: $vgpr17
	s_and_saveexec_b64 s[4:5], s[0:1]
	s_xor_b64 s[0:1], exec, s[4:5]
	s_cbranch_execz .LBB30_502
; %bb.501:
	v_add_f32_e64 v17, |v5|, |v5|
	v_mul_f32_e32 v18, 0x3fb8aa3b, v17
	s_mov_b32 s4, 0x3fb8aa3b
	v_rndne_f32_e32 v19, v18
	v_sub_f32_e32 v20, v18, v19
	v_fma_f32 v18, v17, s4, -v18
	v_fmamk_f32 v18, v17, 0x32a5705f, v18
	v_add_f32_e32 v18, v20, v18
	v_exp_f32_e32 v18, v18
	v_cvt_i32_f32_e32 v19, v19
	s_mov_b32 s4, 0xc2ce8ed0
	v_cmp_ngt_f32_e32 vcc, s4, v17
	s_mov_b32 s4, 0x42b17218
	v_ldexp_f32 v18, v18, v19
	v_cndmask_b32_e32 v18, 0, v18, vcc
	v_mov_b32_e32 v19, 0x7f800000
	v_cmp_nlt_f32_e32 vcc, s4, v17
	s_nop 1
	v_cndmask_b32_e32 v17, v19, v18, vcc
	v_add_f32_e32 v17, 1.0, v17
	v_rcp_f32_e32 v17, v17
	s_nop 0
	v_fma_f32 v17, v17, -2.0, 1.0
.LBB30_502:
	s_andn2_saveexec_b64 s[0:1], s[0:1]
; %bb.503:
	v_mul_f32_e32 v17, v5, v5
	v_mov_b32_e32 v18, 0x3ca908c9
	v_fmac_f32_e32 v18, 0xbbbac73d, v17
	v_fmaak_f32 v18, v17, v18, 0xbd5c1c4e
	v_fmaak_f32 v18, v17, v18, 0x3e088382
	;; [unrolled: 1-line block ×3, first 2 shown]
	v_mul_f32_e64 v18, |v5|, v18
	v_fma_f32 v17, v17, v18, |v5|
; %bb.504:
	s_or_b64 exec, exec, s[0:1]
	s_mov_b32 s0, 0x3f200000
	v_cmp_nlt_f32_e64 s[0:1], |v6|, s0
                                        ; implicit-def: $vgpr18
	s_and_saveexec_b64 s[4:5], s[0:1]
	s_xor_b64 s[0:1], exec, s[4:5]
	s_cbranch_execz .LBB30_506
; %bb.505:
	v_add_f32_e64 v18, |v6|, |v6|
	v_mul_f32_e32 v19, 0x3fb8aa3b, v18
	s_mov_b32 s4, 0x3fb8aa3b
	v_rndne_f32_e32 v20, v19
	v_sub_f32_e32 v21, v19, v20
	v_fma_f32 v19, v18, s4, -v19
	v_fmamk_f32 v19, v18, 0x32a5705f, v19
	v_add_f32_e32 v19, v21, v19
	v_exp_f32_e32 v19, v19
	v_cvt_i32_f32_e32 v20, v20
	s_mov_b32 s4, 0xc2ce8ed0
	v_cmp_ngt_f32_e32 vcc, s4, v18
	s_mov_b32 s4, 0x42b17218
	v_ldexp_f32 v19, v19, v20
	v_cndmask_b32_e32 v19, 0, v19, vcc
	v_mov_b32_e32 v20, 0x7f800000
	v_cmp_nlt_f32_e32 vcc, s4, v18
	s_nop 1
	v_cndmask_b32_e32 v18, v20, v19, vcc
	v_add_f32_e32 v18, 1.0, v18
	v_rcp_f32_e32 v18, v18
	s_nop 0
	v_fma_f32 v18, v18, -2.0, 1.0
.LBB30_506:
	s_andn2_saveexec_b64 s[0:1], s[0:1]
; %bb.507:
	v_mul_f32_e32 v18, v6, v6
	v_mov_b32_e32 v19, 0x3ca908c9
	v_fmac_f32_e32 v19, 0xbbbac73d, v18
	v_fmaak_f32 v19, v18, v19, 0xbd5c1c4e
	v_fmaak_f32 v19, v18, v19, 0x3e088382
	v_fmaak_f32 v19, v18, v19, 0xbeaaaa99
	v_mul_f32_e64 v19, |v6|, v19
	v_fma_f32 v18, v18, v19, |v6|
; %bb.508:
	s_or_b64 exec, exec, s[0:1]
	s_mov_b32 s0, 0x3f200000
	v_cmp_nlt_f32_e64 s[0:1], |v7|, s0
                                        ; implicit-def: $vgpr19
	s_and_saveexec_b64 s[4:5], s[0:1]
	s_xor_b64 s[0:1], exec, s[4:5]
	s_cbranch_execz .LBB30_510
; %bb.509:
	v_add_f32_e64 v19, |v7|, |v7|
	v_mul_f32_e32 v20, 0x3fb8aa3b, v19
	s_mov_b32 s4, 0x3fb8aa3b
	v_rndne_f32_e32 v21, v20
	v_sub_f32_e32 v30, v20, v21
	v_fma_f32 v20, v19, s4, -v20
	v_fmamk_f32 v20, v19, 0x32a5705f, v20
	v_add_f32_e32 v20, v30, v20
	v_exp_f32_e32 v20, v20
	v_cvt_i32_f32_e32 v21, v21
	s_mov_b32 s4, 0xc2ce8ed0
	v_cmp_ngt_f32_e32 vcc, s4, v19
	s_mov_b32 s4, 0x42b17218
	v_ldexp_f32 v20, v20, v21
	v_cndmask_b32_e32 v20, 0, v20, vcc
	v_mov_b32_e32 v21, 0x7f800000
	v_cmp_nlt_f32_e32 vcc, s4, v19
	s_nop 1
	v_cndmask_b32_e32 v19, v21, v20, vcc
	v_add_f32_e32 v19, 1.0, v19
	v_rcp_f32_e32 v19, v19
	s_nop 0
	v_fma_f32 v19, v19, -2.0, 1.0
.LBB30_510:
	s_andn2_saveexec_b64 s[0:1], s[0:1]
; %bb.511:
	v_mul_f32_e32 v19, v7, v7
	v_mov_b32_e32 v20, 0x3ca908c9
	v_fmac_f32_e32 v20, 0xbbbac73d, v19
	v_fmaak_f32 v20, v19, v20, 0xbd5c1c4e
	v_fmaak_f32 v20, v19, v20, 0x3e088382
	;; [unrolled: 1-line block ×3, first 2 shown]
	v_mul_f32_e64 v20, |v7|, v20
	v_fma_f32 v19, v19, v20, |v7|
; %bb.512:
	s_or_b64 exec, exec, s[0:1]
	s_brev_b32 s0, -2
	v_bfi_b32 v16, s0, v16, v4
	v_and_b32_e32 v45, 0xfc, v57
	v_lshrrev_b32_e32 v4, 2, v63
	v_bfi_b32 v17, s0, v17, v5
	v_mul_u32_u24_e32 v4, 0x90, v4
	v_add_lshl_u32 v5, v61, v45, 1
	v_add3_u32 v4, 0, v4, v5
	v_bfi_b32 v10, s0, v11, v10
	v_add_u32_e32 v11, 0x8400, v4
	ds_read2_b32 v[4:5], v11 offset1:1
	v_bfi_b32 v3, s0, v13, v3
	v_bfi_b32 v13, s0, v0, v1
	ds_read2_b32 v[0:1], v11 offset0:16 offset1:17
	v_bfi_b32 v6, s0, v18, v6
	v_bfi_b32 v2, s0, v12, v2
	;; [unrolled: 1-line block ×3, first 2 shown]
	s_waitcnt lgkmcnt(1)
	v_fma_mix_f32 v10, s3, v10, v4 op_sel_hi:[0,0,1]
	v_fma_mix_f32 v11, s3, v13, v4 op_sel:[0,0,1] op_sel_hi:[0,0,1]
	v_fma_mix_f32 v2, s3, v2, v5 op_sel_hi:[0,0,1]
	v_fma_mix_f32 v12, s3, v3, v5 op_sel:[0,0,1] op_sel_hi:[0,0,1]
	s_waitcnt lgkmcnt(0)
	v_fma_mix_f32 v13, s3, v16, v0 op_sel_hi:[0,0,1]
	v_fma_mix_f32 v16, s3, v17, v0 op_sel:[0,0,1] op_sel_hi:[0,0,1]
	v_fma_mix_f32 v17, s3, v6, v1 op_sel_hi:[0,0,1]
	v_fma_mix_f32 v7, s3, v7, v1 op_sel:[0,0,1] op_sel_hi:[0,0,1]
	v_add_f32_e32 v0, 0x40051340, v10
	v_add_f32_e32 v1, 0x40051340, v11
	v_max3_f32 v0, v79, v0, v1
	v_add_f32_e32 v1, 0x40051340, v2
	v_add_f32_e32 v3, 0x40051340, v12
	v_max3_f32 v0, v0, v1, v3
	;; [unrolled: 3-line block ×4, first 2 shown]
	v_mbcnt_hi_u32_b32 v1, -1, v62
	v_and_b32_e32 v3, 64, v1
	v_add_u32_e32 v3, 64, v3
	v_xor_b32_e32 v4, 32, v1
	v_cmp_lt_i32_e32 vcc, v4, v3
	s_mov_b32 s1, 0x3fb8aa3b
	s_mov_b32 s3, 0xc2ce8ed0
	v_cndmask_b32_e32 v4, v1, v4, vcc
	v_lshlrev_b32_e32 v6, 2, v4
	ds_bpermute_b32 v4, v6, v0
	s_mov_b32 s0, 0x42b17218
	v_mov_b32_e32 v37, 0x7f800000
	s_mul_hi_i32 s5, s6, s14
	s_mul_i32 s4, s6, s14
	s_waitcnt lgkmcnt(0)
	v_max_f32_e32 v4, v4, v4
	v_max_f32_e32 v0, v0, v4
	v_xor_b32_e32 v4, 16, v1
	v_cmp_lt_i32_e32 vcc, v4, v3
	s_lshl_b64 s[4:5], s[4:5], 2
	s_add_u32 s4, s10, s4
	v_cndmask_b32_e32 v1, v1, v4, vcc
	v_lshlrev_b32_e32 v4, 2, v1
	ds_bpermute_b32 v1, v4, v0
	s_addc_u32 s5, s11, s5
	v_mul_lo_u32 v20, v58, s14
	v_mul_lo_u32 v30, v59, s14
	;; [unrolled: 1-line block ×3, first 2 shown]
	s_waitcnt lgkmcnt(0)
	v_max_f32_e32 v1, v1, v1
	v_max_f32_e32 v5, v0, v1
	v_sub_f32_e32 v0, v10, v5
	v_mul_f32_e32 v1, 0x3fb8aa3b, v0
	v_fma_f32 v3, v0, s1, -v1
	v_rndne_f32_e32 v10, v1
	v_fmac_f32_e32 v3, 0x32a5705f, v0
	v_sub_f32_e32 v1, v1, v10
	v_add_f32_e32 v1, v1, v3
	v_exp_f32_e32 v1, v1
	v_cvt_i32_f32_e32 v3, v10
	v_cmp_ngt_f32_e32 vcc, s3, v0
	v_sub_f32_e32 v2, v2, v5
	v_lshl_add_u64 v[8:9], v[8:9], 2, s[4:5]
	v_ldexp_f32 v1, v1, v3
	v_sub_f32_e32 v3, v11, v5
	v_mul_f32_e32 v10, 0x3fb8aa3b, v3
	v_fma_f32 v11, v3, s1, -v10
	v_rndne_f32_e32 v18, v10
	v_fmac_f32_e32 v11, 0x32a5705f, v3
	v_sub_f32_e32 v10, v10, v18
	v_add_f32_e32 v10, v10, v11
	v_exp_f32_e32 v10, v10
	v_cvt_i32_f32_e32 v11, v18
	v_cndmask_b32_e32 v1, 0, v1, vcc
	v_cmp_nlt_f32_e32 vcc, s0, v0
	v_ashrrev_i32_e32 v21, 31, v20
	v_ashrrev_i32_e32 v31, 31, v30
	v_cndmask_b32_e32 v0, v37, v1, vcc
	v_ldexp_f32 v1, v10, v11
	v_mul_f32_e32 v10, 0x3fb8aa3b, v2
	v_fma_f32 v11, v2, s1, -v10
	v_rndne_f32_e32 v18, v10
	v_fmac_f32_e32 v11, 0x32a5705f, v2
	v_sub_f32_e32 v10, v10, v18
	v_add_f32_e32 v10, v10, v11
	v_exp_f32_e32 v10, v10
	v_cvt_i32_f32_e32 v11, v18
	v_cmp_ngt_f32_e32 vcc, s3, v3
	v_ashrrev_i32_e32 v35, 31, v34
	v_lshl_add_u64 v[8:9], v[8:9], 0, v[14:15]
	v_cndmask_b32_e32 v1, 0, v1, vcc
	v_cmp_nlt_f32_e32 vcc, s0, v3
	v_lshl_add_u64 v[20:21], v[20:21], 2, s[4:5]
	v_lshl_add_u64 v[30:31], v[30:31], 2, s[4:5]
	v_cndmask_b32_e32 v3, v37, v1, vcc
	v_ldexp_f32 v1, v10, v11
	v_sub_f32_e32 v10, v12, v5
	v_mul_f32_e32 v11, 0x3fb8aa3b, v10
	v_fma_f32 v12, v10, s1, -v11
	v_rndne_f32_e32 v19, v11
	v_fmac_f32_e32 v12, 0x32a5705f, v10
	v_sub_f32_e32 v11, v11, v19
	v_add_f32_e32 v11, v11, v12
	v_exp_f32_e32 v11, v11
	v_cvt_i32_f32_e32 v12, v19
	v_cmp_ngt_f32_e32 vcc, s3, v2
	v_add_f32_e32 v18, v0, v3
	v_lshl_add_u64 v[34:35], v[34:35], 2, s[4:5]
	v_cndmask_b32_e32 v1, 0, v1, vcc
	v_cmp_nlt_f32_e32 vcc, s0, v2
	v_ldexp_f32 v11, v11, v12
	v_sub_f32_e32 v12, v13, v5
	v_cndmask_b32_e32 v1, v37, v1, vcc
	v_mul_f32_e32 v13, 0x3fb8aa3b, v12
	v_add_f32_e32 v2, v1, v18
	v_fma_f32 v18, v12, s1, -v13
	v_rndne_f32_e32 v19, v13
	v_fmac_f32_e32 v18, 0x32a5705f, v12
	v_sub_f32_e32 v13, v13, v19
	v_add_f32_e32 v13, v13, v18
	v_exp_f32_e32 v13, v13
	v_cvt_i32_f32_e32 v18, v19
	v_cmp_ngt_f32_e32 vcc, s3, v10
	v_lshl_add_u64 v[20:21], v[20:21], 0, v[14:15]
	v_lshl_add_u64 v[30:31], v[30:31], 0, v[14:15]
	v_cndmask_b32_e32 v11, 0, v11, vcc
	v_cmp_nlt_f32_e32 vcc, s0, v10
	v_sub_f32_e32 v7, v7, v5
	v_mul_u32_u24_e32 v45, 0x210, v45
	v_cndmask_b32_e32 v36, v37, v11, vcc
	v_sub_f32_e32 v11, v16, v5
	v_add_f32_e32 v10, v36, v2
	v_ldexp_f32 v2, v13, v18
	v_mul_f32_e32 v13, 0x3fb8aa3b, v11
	v_fma_f32 v16, v11, s1, -v13
	v_rndne_f32_e32 v18, v13
	v_fmac_f32_e32 v16, 0x32a5705f, v11
	v_sub_f32_e32 v13, v13, v18
	v_add_f32_e32 v13, v13, v16
	v_exp_f32_e32 v13, v13
	v_cvt_i32_f32_e32 v16, v18
	v_cmp_ngt_f32_e32 vcc, s3, v12
	v_or_b32_e32 v57, 3, v57
	v_mul_u32_u24_e32 v57, 0x210, v57
	v_cndmask_b32_e32 v2, 0, v2, vcc
	v_cmp_nlt_f32_e32 vcc, s0, v12
	v_ldexp_f32 v12, v13, v16
	v_sub_f32_e32 v13, v17, v5
	v_mul_f32_e32 v16, 0x3fb8aa3b, v13
	v_fma_f32 v17, v13, s1, -v16
	v_rndne_f32_e32 v18, v16
	v_fmac_f32_e32 v17, 0x32a5705f, v13
	v_sub_f32_e32 v16, v16, v18
	v_add_f32_e32 v16, v16, v17
	v_exp_f32_e32 v16, v16
	v_cvt_i32_f32_e32 v17, v18
	v_cndmask_b32_e32 v2, v37, v2, vcc
	v_cmp_ngt_f32_e32 vcc, s3, v11
	v_add_f32_e32 v10, v2, v10
	v_mul_lo_u32 v18, v56, s14
	v_cndmask_b32_e32 v12, 0, v12, vcc
	v_cmp_nlt_f32_e32 vcc, s0, v11
	v_ashrrev_i32_e32 v19, 31, v18
	v_lshl_add_u64 v[18:19], v[18:19], 2, s[4:5]
	v_cndmask_b32_e32 v32, v37, v12, vcc
	v_add_f32_e32 v38, v32, v10
	v_ldexp_f32 v10, v16, v17
	v_cmp_ngt_f32_e32 vcc, s3, v13
	v_mul_lo_u32 v12, v51, s14
	v_mul_lo_u32 v16, v52, s14
	v_cndmask_b32_e32 v10, 0, v10, vcc
	v_cmp_nlt_f32_e32 vcc, s0, v13
	v_ashrrev_i32_e32 v13, 31, v12
	v_ashrrev_i32_e32 v17, 31, v16
	v_cndmask_b32_e32 v33, v37, v10, vcc
	v_mul_lo_u32 v10, v50, s14
	v_ashrrev_i32_e32 v11, 31, v10
	v_lshl_add_u64 v[10:11], v[10:11], 2, s[4:5]
	v_lshl_add_u64 v[12:13], v[12:13], 2, s[4:5]
	;; [unrolled: 1-line block ×8, first 2 shown]
	global_load_dwordx4 v[46:49], v[8:9], off
	global_load_dwordx4 v[58:61], v[10:11], off
	;; [unrolled: 1-line block ×8, first 2 shown]
	v_mul_f32_e32 v9, 0x3fb8aa3b, v7
	v_fma_f32 v10, v7, s1, -v9
	v_rndne_f32_e32 v11, v9
	v_fmac_f32_e32 v10, 0x32a5705f, v7
	v_sub_f32_e32 v9, v9, v11
	v_add_f32_e32 v9, v9, v10
	v_cvt_i32_f32_e32 v10, v11
	v_sub_f32_e32 v11, v79, v5
	v_mul_f32_e32 v12, 0x3fb8aa3b, v11
	v_fma_f32 v13, v11, s1, -v12
	v_rndne_f32_e32 v14, v12
	v_fmac_f32_e32 v13, 0x32a5705f, v11
	v_sub_f32_e32 v12, v12, v14
	v_exp_f32_e32 v9, v9
	v_add_f32_e32 v12, v12, v13
	v_exp_f32_e32 v12, v12
	v_cvt_i32_f32_e32 v13, v14
	v_ldexp_f32 v9, v9, v10
	v_cmp_ngt_f32_e32 vcc, s3, v7
	s_mov_b32 s1, 0xc1a00000
	v_ldexp_f32 v10, v12, v13
	v_cndmask_b32_e32 v9, 0, v9, vcc
	v_cmp_ngt_f32_e32 vcc, s3, v11
	v_add_f32_e32 v8, v33, v38
	s_waitcnt vmcnt(7)
	ds_write_b128 v22, v[46:49]
	s_waitcnt vmcnt(6)
	ds_write_b128 v23, v[58:61]
	;; [unrolled: 2-line block ×8, first 2 shown]
	v_cndmask_b32_e32 v10, 0, v10, vcc
	v_cmp_nlt_f32_e32 vcc, s0, v11
	s_waitcnt lgkmcnt(0)
	s_barrier
	v_cndmask_b32_e32 v10, v37, v10, vcc
	v_cmp_le_f32_e32 vcc, s1, v11
	v_cvt_pk_f16_f32 v1, v1, v36
	s_nop 0
	v_cndmask_b32_e32 v10, 0, v10, vcc
	v_cvt_f16_f32_e32 v11, v10
	v_cmp_nlt_f32_e32 vcc, s0, v7
	s_movk_i32 s0, 0x420
	v_mad_u32_u24 v23, v54, s0, 0
	v_cndmask_b32_e32 v50, v37, v9, vcc
	v_add_f32_e32 v7, v50, v8
	v_mul_u32_u24_e32 v8, 0x10001, v11
	v_pk_mul_f16 v51, v133, v8
	v_pk_mul_f16 v52, v132, v8
	v_add3_u32 v22, v23, v45, v53
	v_add3_u32 v23, v23, v57, v53
	v_cvt_f32_f16_e32 v26, v51
	v_cvt_f32_f16_sdwa v27, v51 dst_sel:DWORD dst_unused:UNUSED_PAD src0_sel:WORD_1
	v_cvt_f32_f16_e32 v28, v52
	v_cvt_f32_f16_sdwa v29, v52 dst_sel:DWORD dst_unused:UNUSED_PAD src0_sel:WORD_1
	s_mov_b32 s0, 0x5040100
	ds_read_u16 v24, v22 offset:1056
	ds_read_u16 v45, v22 offset:1088
	;; [unrolled: 1-line block ×8, first 2 shown]
	ds_read_u16 v25, v23
	ds_read_u16 v53, v23 offset:32
	ds_read_u16 v54, v23 offset:64
	;; [unrolled: 1-line block ×7, first 2 shown]
	v_fmac_f32_e32 v7, v82, v10
	s_waitcnt lgkmcnt(7)
	v_perm_b32 v25, v25, v24, s0
	ds_read_u16 v24, v22
	ds_read_u16 v70, v22 offset:32
	ds_read_u16 v71, v22 offset:64
	;; [unrolled: 1-line block ×15, first 2 shown]
	s_waitcnt lgkmcnt(7)
	v_perm_b32 v24, v77, v24, s0
	v_cvt_pk_f16_f32 v0, v0, v3
	v_accvgpr_write_b32 a0, v26
	v_accvgpr_write_b32 a1, v27
	;; [unrolled: 1-line block ×4, first 2 shown]
	v_pk_mul_f16 v56, v131, v8
	v_pk_mul_f16 v62, v130, v8
	v_mfma_f32_16x16x16_f16 a[0:3], v[24:25], v[0:1], a[0:3]
	v_pk_mul_f16 v63, v129, v8
	v_pk_mul_f16 v69, v128, v8
	;; [unrolled: 1-line block ×8, first 2 shown]
	v_accvgpr_read_b32 v3, a0
	v_accvgpr_read_b32 v24, a1
	v_cvt_f16_f32_e32 v3, v3
	v_cvt_f16_f32_e32 v24, v24
	v_accvgpr_read_b32 v25, a2
	v_cvt_f16_f32_e32 v25, v25
	v_accvgpr_read_b32 v26, a3
	v_cvt_f16_f32_e32 v26, v26
	v_cvt_f32_f16_e32 v27, v3
	v_cvt_f32_f16_e32 v28, v24
	ds_read_u16 v3, v22 offset:17952
	ds_read_u16 v36, v22 offset:17984
	;; [unrolled: 1-line block ×16, first 2 shown]
	v_pk_mul_f16 v38, v121, v8
	v_pk_mul_f16 v37, v120, v8
	;; [unrolled: 1-line block ×20, first 2 shown]
	v_cvt_f32_f16_e32 v29, v25
	s_waitcnt lgkmcnt(7)
	v_perm_b32 v25, v24, v3, s0
	ds_read_u16 v3, v22 offset:16896
	ds_read_u16 v97, v22 offset:16928
	;; [unrolled: 1-line block ×16, first 2 shown]
	v_cvt_f32_f16_e32 v26, v26
	s_waitcnt lgkmcnt(7)
	v_perm_b32 v24, v24, v3, s0
	v_cvt_pk_f16_f32 v3, v33, v50
	v_cvt_pk_f16_f32 v2, v2, v32
	v_accvgpr_write_b32 a0, v27
	v_accvgpr_write_b32 a1, v28
	;; [unrolled: 1-line block ×4, first 2 shown]
	v_cvt_f32_f16_e32 v26, v56
	v_cvt_f32_f16_sdwa v27, v56 dst_sel:DWORD dst_unused:UNUSED_PAD src0_sel:WORD_1
	v_mfma_f32_16x16x16_f16 a[0:3], v[24:25], v[2:3], a[0:3]
	v_cvt_f32_f16_e32 v28, v62
	v_cvt_f32_f16_sdwa v29, v62 dst_sel:DWORD dst_unused:UNUSED_PAD src0_sel:WORD_1
	v_perm_b32 v25, v53, v45, s0
	v_perm_b32 v24, v78, v70, s0
	v_accvgpr_write_b32 a4, v26
	v_accvgpr_write_b32 a5, v27
	;; [unrolled: 1-line block ×4, first 2 shown]
	ds_bpermute_b32 v6, v6, v7
	s_movk_i32 s3, 0x210
	v_mfma_f32_16x16x16_f16 a[4:7], v[24:25], v[0:1], a[4:7]
	s_nop 7
	v_accvgpr_read_b32 v24, a4
	v_accvgpr_read_b32 v25, a5
	v_accvgpr_read_b32 v26, a6
	v_accvgpr_read_b32 v27, a7
	v_cvt_f16_f32_e32 v24, v24
	v_cvt_f16_f32_e32 v25, v25
	v_cvt_f16_f32_e32 v26, v26
	v_cvt_f16_f32_e32 v27, v27
	v_cvt_f32_f16_e32 v28, v24
	v_cvt_f32_f16_e32 v29, v25
	v_cvt_f32_f16_e32 v26, v26
	v_cvt_f32_f16_e32 v27, v27
	v_perm_b32 v25, v90, v36, s0
	s_waitcnt lgkmcnt(7)
	v_perm_b32 v24, v104, v97, s0
	v_accvgpr_write_b32 a4, v28
	v_accvgpr_write_b32 a5, v29
	v_accvgpr_write_b32 a6, v26
	v_accvgpr_write_b32 a7, v27
	v_cvt_f32_f16_e32 v26, v63
	v_cvt_f32_f16_sdwa v27, v63 dst_sel:DWORD dst_unused:UNUSED_PAD src0_sel:WORD_1
	v_mfma_f32_16x16x16_f16 a[4:7], v[24:25], v[2:3], a[4:7]
	v_cvt_f32_f16_e32 v28, v69
	v_cvt_f32_f16_sdwa v29, v69 dst_sel:DWORD dst_unused:UNUSED_PAD src0_sel:WORD_1
	v_perm_b32 v25, v54, v46, s0
	v_perm_b32 v24, v79, v71, s0
	v_accvgpr_write_b32 a8, v26
	v_accvgpr_write_b32 a9, v27
	v_accvgpr_write_b32 a10, v28
	v_accvgpr_write_b32 a11, v29
	s_nop 1
	v_mfma_f32_16x16x16_f16 a[8:11], v[24:25], v[0:1], a[8:11]
	s_nop 7
	v_accvgpr_read_b32 v24, a8
	v_accvgpr_read_b32 v25, a9
	v_accvgpr_read_b32 v26, a10
	v_accvgpr_read_b32 v27, a11
	v_cvt_f16_f32_e32 v24, v24
	v_cvt_f16_f32_e32 v25, v25
	v_cvt_f16_f32_e32 v26, v26
	v_cvt_f16_f32_e32 v27, v27
	v_cvt_f32_f16_e32 v28, v24
	v_cvt_f32_f16_e32 v29, v25
	v_cvt_f32_f16_e32 v26, v26
	v_cvt_f32_f16_e32 v27, v27
	v_perm_b32 v25, v91, v77, s0
	s_waitcnt lgkmcnt(6)
	v_perm_b32 v24, v105, v98, s0
	v_accvgpr_write_b32 a8, v28
	v_accvgpr_write_b32 a9, v29
	v_accvgpr_write_b32 a10, v26
	v_accvgpr_write_b32 a11, v27
	v_cvt_f32_f16_e32 v26, v44
	v_cvt_f32_f16_sdwa v27, v44 dst_sel:DWORD dst_unused:UNUSED_PAD src0_sel:WORD_1
	v_mfma_f32_16x16x16_f16 a[8:11], v[24:25], v[2:3], a[8:11]
	v_cvt_f32_f16_e32 v28, v43
	v_cvt_f32_f16_sdwa v29, v43 dst_sel:DWORD dst_unused:UNUSED_PAD src0_sel:WORD_1
	v_perm_b32 v25, v57, v47, s0
	v_perm_b32 v24, v80, v72, s0
	v_accvgpr_write_b32 a12, v26
	v_accvgpr_write_b32 a13, v27
	v_accvgpr_write_b32 a14, v28
	v_accvgpr_write_b32 a15, v29
	s_nop 1
	;; [unrolled: 33-line block ×6, first 2 shown]
	v_mfma_f32_16x16x16_f16 a[28:31], v[24:25], v[0:1], a[28:31]
	s_nop 7
	v_accvgpr_read_b32 v24, a28
	v_accvgpr_read_b32 v25, a29
	;; [unrolled: 1-line block ×4, first 2 shown]
	v_cvt_f16_f32_e32 v24, v24
	v_cvt_f16_f32_e32 v25, v25
	v_cvt_f16_f32_e32 v26, v26
	v_cvt_f16_f32_e32 v27, v27
	v_cvt_f32_f16_e32 v28, v24
	v_cvt_f32_f16_e32 v29, v25
	;; [unrolled: 1-line block ×4, first 2 shown]
	v_perm_b32 v25, v96, v89, s0
	s_waitcnt lgkmcnt(1)
	v_perm_b32 v24, v110, v103, s0
	v_accvgpr_write_b32 a28, v28
	v_accvgpr_write_b32 a29, v29
	;; [unrolled: 1-line block ×4, first 2 shown]
	v_cvt_f32_f16_e32 v26, v31
	v_cvt_f32_f16_sdwa v27, v31 dst_sel:DWORD dst_unused:UNUSED_PAD src0_sel:WORD_1
	v_mfma_f32_16x16x16_f16 a[28:31], v[24:25], v[2:3], a[28:31]
	v_cvt_f32_f16_e32 v28, v30
	v_cvt_f32_f16_sdwa v29, v30 dst_sel:DWORD dst_unused:UNUSED_PAD src0_sel:WORD_1
	ds_read_u16 v24, v22 offset:1312
	ds_read_u16 v30, v22 offset:1344
	;; [unrolled: 1-line block ×16, first 2 shown]
	s_waitcnt lgkmcnt(7)
	v_perm_b32 v25, v25, v24, s0
	ds_read_u16 v24, v22 offset:256
	ds_read_u16 v44, v22 offset:288
	;; [unrolled: 1-line block ×16, first 2 shown]
	s_waitcnt lgkmcnt(7)
	v_perm_b32 v24, v51, v24, s0
	v_accvgpr_write_b32 a32, v26
	v_accvgpr_write_b32 a33, v27
	;; [unrolled: 1-line block ×4, first 2 shown]
	ds_read_u16 v28, v22 offset:18208
	ds_read_u16 v29, v22 offset:18240
	;; [unrolled: 1-line block ×16, first 2 shown]
	v_mfma_f32_16x16x16_f16 a[32:35], v[24:25], v[0:1], a[32:35]
	s_waitcnt lgkmcnt(7)
	v_perm_b32 v23, v70, v28, s0
	ds_read_u16 v28, v22 offset:17152
	ds_read_u16 v70, v22 offset:17184
	;; [unrolled: 1-line block ×16, first 2 shown]
	s_waitcnt lgkmcnt(7)
	v_perm_b32 v22, v84, v28, s0
	v_accvgpr_read_b32 v24, a32
	v_accvgpr_read_b32 v25, a33
	;; [unrolled: 1-line block ×4, first 2 shown]
	v_cvt_f16_f32_e32 v24, v24
	v_cvt_f16_f32_e32 v25, v25
	;; [unrolled: 1-line block ×4, first 2 shown]
	v_cvt_f32_f16_e32 v24, v24
	v_cvt_f32_f16_e32 v25, v25
	;; [unrolled: 1-line block ×4, first 2 shown]
	v_accvgpr_write_b32 a32, v24
	v_accvgpr_write_b32 a33, v25
	;; [unrolled: 1-line block ×4, first 2 shown]
	v_cvt_f32_f16_e32 v24, v20
	v_cvt_f32_f16_sdwa v25, v20 dst_sel:DWORD dst_unused:UNUSED_PAD src0_sel:WORD_1
	v_mfma_f32_16x16x16_f16 a[32:35], v[22:23], v[2:3], a[32:35]
	v_cvt_f32_f16_e32 v22, v21
	v_cvt_f32_f16_sdwa v23, v21 dst_sel:DWORD dst_unused:UNUSED_PAD src0_sel:WORD_1
	v_perm_b32 v21, v37, v30, s0
	v_perm_b32 v20, v52, v44, s0
	v_accvgpr_write_b32 a36, v22
	v_accvgpr_write_b32 a37, v23
	;; [unrolled: 1-line block ×4, first 2 shown]
	s_waitcnt lgkmcnt(0)
	s_barrier
	v_mfma_f32_16x16x16_f16 a[36:39], v[20:21], v[0:1], a[36:39]
	s_nop 7
	v_accvgpr_read_b32 v20, a36
	v_accvgpr_read_b32 v21, a37
	v_accvgpr_read_b32 v22, a38
	v_accvgpr_read_b32 v23, a39
	v_cvt_f16_f32_e32 v20, v20
	v_cvt_f16_f32_e32 v21, v21
	v_cvt_f16_f32_e32 v22, v22
	v_cvt_f16_f32_e32 v23, v23
	v_cvt_f32_f16_e32 v24, v20
	v_cvt_f32_f16_e32 v25, v21
	v_cvt_f32_f16_e32 v22, v22
	v_cvt_f32_f16_e32 v23, v23
	v_perm_b32 v21, v71, v29, s0
	v_perm_b32 v20, v85, v70, s0
	v_accvgpr_write_b32 a36, v24
	v_accvgpr_write_b32 a37, v25
	v_accvgpr_write_b32 a38, v22
	v_accvgpr_write_b32 a39, v23
	v_cvt_f32_f16_e32 v22, v18
	v_cvt_f32_f16_sdwa v23, v18 dst_sel:DWORD dst_unused:UNUSED_PAD src0_sel:WORD_1
	v_mfma_f32_16x16x16_f16 a[36:39], v[20:21], v[2:3], a[36:39]
	v_cvt_f32_f16_e32 v20, v19
	v_cvt_f32_f16_sdwa v21, v19 dst_sel:DWORD dst_unused:UNUSED_PAD src0_sel:WORD_1
	v_perm_b32 v19, v38, v31, s0
	v_perm_b32 v18, v53, v45, s0
	v_accvgpr_write_b32 a40, v20
	v_accvgpr_write_b32 a41, v21
	v_accvgpr_write_b32 a42, v22
	v_accvgpr_write_b32 a43, v23
	s_nop 1
	v_mfma_f32_16x16x16_f16 a[40:43], v[18:19], v[0:1], a[40:43]
	s_nop 7
	v_accvgpr_read_b32 v18, a40
	v_accvgpr_read_b32 v19, a41
	v_accvgpr_read_b32 v20, a42
	v_accvgpr_read_b32 v21, a43
	v_cvt_f16_f32_e32 v18, v18
	v_cvt_f16_f32_e32 v19, v19
	v_cvt_f16_f32_e32 v20, v20
	v_cvt_f16_f32_e32 v21, v21
	v_cvt_f32_f16_e32 v22, v18
	v_cvt_f32_f16_e32 v23, v19
	v_cvt_f32_f16_e32 v20, v20
	v_cvt_f32_f16_e32 v21, v21
	v_perm_b32 v19, v72, v51, s0
	v_perm_b32 v18, v86, v78, s0
	v_accvgpr_write_b32 a40, v22
	v_accvgpr_write_b32 a41, v23
	v_accvgpr_write_b32 a42, v20
	v_accvgpr_write_b32 a43, v21
	v_cvt_f32_f16_e32 v20, v16
	v_cvt_f32_f16_sdwa v21, v16 dst_sel:DWORD dst_unused:UNUSED_PAD src0_sel:WORD_1
	v_mfma_f32_16x16x16_f16 a[40:43], v[18:19], v[2:3], a[40:43]
	v_cvt_f32_f16_e32 v18, v17
	v_cvt_f32_f16_sdwa v19, v17 dst_sel:DWORD dst_unused:UNUSED_PAD src0_sel:WORD_1
	v_perm_b32 v17, v39, v32, s0
	v_perm_b32 v16, v54, v46, s0
	v_accvgpr_write_b32 a44, v18
	v_accvgpr_write_b32 a45, v19
	v_accvgpr_write_b32 a46, v20
	v_accvgpr_write_b32 a47, v21
	s_nop 1
	v_mfma_f32_16x16x16_f16 a[44:47], v[16:17], v[0:1], a[44:47]
	s_nop 7
	v_accvgpr_read_b32 v16, a44
	v_accvgpr_read_b32 v17, a45
	v_accvgpr_read_b32 v18, a46
	v_accvgpr_read_b32 v19, a47
	v_cvt_f16_f32_e32 v16, v16
	v_cvt_f16_f32_e32 v17, v17
	v_cvt_f16_f32_e32 v18, v18
	v_cvt_f16_f32_e32 v19, v19
	v_cvt_f32_f16_e32 v20, v16
	v_cvt_f32_f16_e32 v21, v17
	v_cvt_f32_f16_e32 v18, v18
	v_cvt_f32_f16_e32 v19, v19
	v_perm_b32 v17, v73, v60, s0
	v_perm_b32 v16, v87, v79, s0
	v_accvgpr_write_b32 a44, v20
	v_accvgpr_write_b32 a45, v21
	v_accvgpr_write_b32 a46, v18
	v_accvgpr_write_b32 a47, v19
	v_cvt_f32_f16_e32 v18, v14
	v_cvt_f32_f16_sdwa v19, v14 dst_sel:DWORD dst_unused:UNUSED_PAD src0_sel:WORD_1
	v_mfma_f32_16x16x16_f16 a[44:47], v[16:17], v[2:3], a[44:47]
	v_cvt_f32_f16_e32 v16, v15
	v_cvt_f32_f16_sdwa v17, v15 dst_sel:DWORD dst_unused:UNUSED_PAD src0_sel:WORD_1
	v_perm_b32 v15, v40, v33, s0
	v_perm_b32 v14, v56, v47, s0
	v_accvgpr_write_b32 a48, v16
	v_accvgpr_write_b32 a49, v17
	v_accvgpr_write_b32 a50, v18
	v_accvgpr_write_b32 a51, v19
	s_nop 1
	v_mfma_f32_16x16x16_f16 a[48:51], v[14:15], v[0:1], a[48:51]
	s_nop 7
	v_accvgpr_read_b32 v14, a48
	v_accvgpr_read_b32 v15, a49
	v_accvgpr_read_b32 v16, a50
	v_accvgpr_read_b32 v17, a51
	v_cvt_f16_f32_e32 v14, v14
	v_cvt_f16_f32_e32 v15, v15
	v_cvt_f16_f32_e32 v16, v16
	v_cvt_f16_f32_e32 v17, v17
	v_cvt_f32_f16_e32 v18, v14
	v_cvt_f32_f16_e32 v19, v15
	v_cvt_f32_f16_e32 v16, v16
	v_cvt_f32_f16_e32 v17, v17
	v_perm_b32 v15, v74, v61, s0
	v_perm_b32 v14, v88, v80, s0
	v_accvgpr_write_b32 a48, v18
	v_accvgpr_write_b32 a49, v19
	v_accvgpr_write_b32 a50, v16
	v_accvgpr_write_b32 a51, v17
	v_cvt_f32_f16_e32 v16, v12
	v_cvt_f32_f16_sdwa v17, v12 dst_sel:DWORD dst_unused:UNUSED_PAD src0_sel:WORD_1
	v_mfma_f32_16x16x16_f16 a[48:51], v[14:15], v[2:3], a[48:51]
	v_cvt_f32_f16_e32 v14, v13
	v_cvt_f32_f16_sdwa v15, v13 dst_sel:DWORD dst_unused:UNUSED_PAD src0_sel:WORD_1
	v_perm_b32 v13, v41, v34, s0
	v_perm_b32 v12, v57, v48, s0
	v_accvgpr_write_b32 a52, v14
	v_accvgpr_write_b32 a53, v15
	v_accvgpr_write_b32 a54, v16
	v_accvgpr_write_b32 a55, v17
	s_nop 1
	v_mfma_f32_16x16x16_f16 a[52:55], v[12:13], v[0:1], a[52:55]
	s_nop 7
	v_accvgpr_read_b32 v12, a52
	v_accvgpr_read_b32 v13, a53
	v_accvgpr_read_b32 v14, a54
	v_accvgpr_read_b32 v15, a55
	v_cvt_f16_f32_e32 v12, v12
	v_cvt_f16_f32_e32 v13, v13
	v_cvt_f16_f32_e32 v14, v14
	v_cvt_f16_f32_e32 v15, v15
	v_cvt_f32_f16_e32 v16, v12
	v_cvt_f32_f16_e32 v17, v13
	v_cvt_f32_f16_e32 v14, v14
	v_cvt_f32_f16_e32 v15, v15
	v_perm_b32 v13, v75, v62, s0
	v_perm_b32 v12, v89, v81, s0
	v_accvgpr_write_b32 a52, v16
	v_accvgpr_write_b32 a53, v17
	v_accvgpr_write_b32 a54, v14
	v_accvgpr_write_b32 a55, v15
	v_cvt_f32_f16_e32 v14, v10
	v_cvt_f32_f16_sdwa v15, v10 dst_sel:DWORD dst_unused:UNUSED_PAD src0_sel:WORD_1
	v_mfma_f32_16x16x16_f16 a[52:55], v[12:13], v[2:3], a[52:55]
	v_cvt_f32_f16_e32 v12, v11
	v_cvt_f32_f16_sdwa v13, v11 dst_sel:DWORD dst_unused:UNUSED_PAD src0_sel:WORD_1
	v_perm_b32 v11, v42, v35, s0
	v_perm_b32 v10, v58, v49, s0
	v_accvgpr_write_b32 a56, v12
	v_accvgpr_write_b32 a57, v13
	v_accvgpr_write_b32 a58, v14
	v_accvgpr_write_b32 a59, v15
	s_nop 1
	v_mfma_f32_16x16x16_f16 a[56:59], v[10:11], v[0:1], a[56:59]
	s_nop 7
	v_accvgpr_read_b32 v10, a56
	v_accvgpr_read_b32 v11, a57
	v_accvgpr_read_b32 v12, a58
	v_accvgpr_read_b32 v13, a59
	v_cvt_f16_f32_e32 v10, v10
	v_cvt_f16_f32_e32 v11, v11
	v_cvt_f16_f32_e32 v12, v12
	v_cvt_f16_f32_e32 v13, v13
	v_cvt_f32_f16_e32 v14, v10
	v_cvt_f32_f16_e32 v15, v11
	v_cvt_f32_f16_e32 v12, v12
	v_cvt_f32_f16_e32 v13, v13
	v_perm_b32 v11, v76, v63, s0
	v_perm_b32 v10, v90, v82, s0
	v_accvgpr_write_b32 a56, v14
	v_accvgpr_write_b32 a57, v15
	v_accvgpr_write_b32 a58, v12
	v_accvgpr_write_b32 a59, v13
	v_cvt_f32_f16_e32 v12, v8
	v_cvt_f32_f16_sdwa v13, v8 dst_sel:DWORD dst_unused:UNUSED_PAD src0_sel:WORD_1
	v_mfma_f32_16x16x16_f16 a[56:59], v[10:11], v[2:3], a[56:59]
	v_cvt_f32_f16_e32 v10, v9
	v_cvt_f32_f16_sdwa v11, v9 dst_sel:DWORD dst_unused:UNUSED_PAD src0_sel:WORD_1
	v_perm_b32 v9, v43, v36, s0
	v_perm_b32 v8, v59, v50, s0
	v_accvgpr_write_b32 a60, v10
	v_accvgpr_write_b32 a61, v11
	v_accvgpr_write_b32 a62, v12
	v_accvgpr_write_b32 a63, v13
	s_nop 1
	v_mfma_f32_16x16x16_f16 a[60:63], v[8:9], v[0:1], a[60:63]
	s_nop 7
	v_accvgpr_read_b32 v0, a60
	v_accvgpr_read_b32 v1, a61
	;; [unrolled: 1-line block ×4, first 2 shown]
	v_cvt_f16_f32_e32 v0, v0
	v_cvt_f16_f32_e32 v1, v1
	;; [unrolled: 1-line block ×4, first 2 shown]
	v_cvt_f32_f16_e32 v10, v0
	v_cvt_f32_f16_e32 v11, v1
	;; [unrolled: 1-line block ×4, first 2 shown]
	v_perm_b32 v1, v77, v69, s0
	v_perm_b32 v0, v91, v83, s0
	v_accvgpr_write_b32 a60, v10
	v_accvgpr_write_b32 a61, v11
	;; [unrolled: 1-line block ×4, first 2 shown]
	v_cmp_gt_u32_e64 s[0:1], 16, v64
	s_nop 0
	v_mfma_f32_16x16x16_f16 a[60:63], v[0:1], v[2:3], a[60:63]
	v_add_f32_e32 v0, v7, v6
	ds_bpermute_b32 v1, v4, v0
	s_and_saveexec_b64 s[4:5], s[0:1]
	s_cbranch_execz .LBB30_514
; %bb.513:
	s_waitcnt lgkmcnt(0)
	v_add_f32_e32 v0, v0, v1
	v_or_b32_e32 v1, v68, v64
	v_mad_i32_i24 v1, v1, s3, 0
	ds_write2_b32 v1, v5, v0 offset0:128 offset1:129
.LBB30_514:
	s_or_b64 exec, exec, s[4:5]
	v_and_b32_e32 v0, 1, v65
	v_cmp_eq_u32_e32 vcc, 0, v0
	v_cmp_eq_u32_e64 s[4:5], 1, v0
	s_waitcnt lgkmcnt(0)
	s_barrier
	s_and_saveexec_b64 s[6:7], s[4:5]
	s_xor_b64 s[4:5], exec, s[6:7]
	s_cbranch_execz .LBB30_516
; %bb.515:
	s_barrier
                                        ; implicit-def: $vgpr55
                                        ; implicit-def: $vgpr4
.LBB30_516:
	s_andn2_saveexec_b64 s[6:7], s[4:5]
	s_cbranch_execz .LBB30_522
; %bb.517:
	v_and_b32_e32 v0, 31, v64
	v_add_u32_e32 v1, v68, v0
	v_mad_i32_i24 v0, v1, s3, 0
	ds_read_b64 v[6:7], v0 offset:512
	s_mov_b32 s3, 0x3fb8aa3b
	s_mov_b32 s8, 0x42b17218
	s_waitcnt lgkmcnt(0)
	s_barrier
	ds_bpermute_b32 v0, v4, v6
	v_max_f32_e32 v2, v6, v6
	s_waitcnt lgkmcnt(0)
	v_max_f32_e32 v0, v0, v0
	v_max_f32_e32 v0, v2, v0
	v_sub_f32_e32 v2, v6, v0
	v_mul_f32_e32 v3, 0x3fb8aa3b, v2
	v_fma_f32 v5, v2, s3, -v3
	v_rndne_f32_e32 v6, v3
	v_fmamk_f32 v5, v2, 0x32a5705f, v5
	v_sub_f32_e32 v3, v3, v6
	v_add_f32_e32 v3, v3, v5
	v_cvt_i32_f32_e32 v6, v6
	v_exp_f32_e32 v3, v3
	s_mov_b32 s3, 0xc2ce8ed0
	v_cmp_ngt_f32_e64 s[4:5], s3, v2
	v_mov_b32_e32 v5, 0x7f800000
	v_ldexp_f32 v3, v3, v6
	v_cndmask_b32_e64 v3, 0, v3, s[4:5]
	v_cmp_nlt_f32_e64 s[4:5], s8, v2
	s_nop 1
	v_cndmask_b32_e64 v2, v5, v3, s[4:5]
	v_mul_f32_e32 v3, v7, v2
	ds_bpermute_b32 v3, v4, v3
	v_cmp_gt_u32_e64 s[4:5], 32, v64
	s_waitcnt lgkmcnt(0)
	v_fmac_f32_e32 v3, v7, v2
	s_and_saveexec_b64 s[8:9], s[4:5]
; %bb.518:
	v_mul_i32_i24_e32 v1, 0x210, v1
	v_add_u32_e32 v1, 0, v1
	ds_write_b64 v1, v[2:3] offset:512
; %bb.519:
	s_or_b64 exec, exec, s[8:9]
	s_and_saveexec_b64 s[4:5], s[0:1]
	s_cbranch_execz .LBB30_521
; %bb.520:
	s_add_i32 s0, s33, s2
	s_lshl_b32 s0, s0, 5
	s_mov_b32 s1, 0
	s_lshl_b64 s[0:1], s[0:1], 3
	s_add_u32 s0, s30, s0
	v_or_b32_e32 v1, v55, v64
	s_addc_u32 s1, s31, s1
	v_lshlrev_b32_e32 v2, 3, v1
	v_mov_b32_e32 v1, v3
	global_store_dwordx2 v2, v[0:1], s[0:1]
.LBB30_521:
	s_or_b64 exec, exec, s[4:5]
.LBB30_522:
	s_or_b64 exec, exec, s[6:7]
	v_accvgpr_read_b32 v0, a60
	v_accvgpr_read_b32 v1, a61
	;; [unrolled: 1-line block ×3, first 2 shown]
	v_cvt_pk_f16_f32 v0, v0, v1
	v_or_b32_e32 v1, v68, v66
	v_accvgpr_read_b32 v62, a2
	v_accvgpr_read_b32 v61, a1
	;; [unrolled: 1-line block ×17, first 2 shown]
	v_mul_i32_i24_e32 v1, 0x210, v1
	v_accvgpr_read_b32 v58, a6
	v_accvgpr_read_b32 v57, a5
	;; [unrolled: 1-line block ×44, first 2 shown]
	v_cvt_pk_f16_f32 v62, v62, v63
	v_cvt_pk_f16_f32 v60, v60, v61
	s_mov_b32 s3, 0
	s_movk_i32 s4, 0x210
	v_add3_u32 v1, 0, v67, v1
	v_cvt_pk_f16_f32 v58, v58, v59
	v_cvt_pk_f16_f32 v56, v56, v57
	;; [unrolled: 1-line block ×29, first 2 shown]
	ds_write2_b32 v1, v60, v62 offset1:1
	ds_write2_b32 v1, v56, v58 offset0:8 offset1:9
	ds_write2_b32 v1, v52, v54 offset0:16 offset1:17
	;; [unrolled: 1-line block ×15, first 2 shown]
	s_waitcnt lgkmcnt(0)
	s_barrier
	s_and_saveexec_b64 s[0:1], vcc
	s_cbranch_execz .LBB30_524
; %bb.523:
	s_lshl_b32 s2, s2, 12
	s_lshl_b64 s[6:7], s[2:3], 3
	s_add_u32 s5, s30, s6
	s_addc_u32 s6, s31, s7
	s_lshl_b32 s2, s33, 6
	s_lshl_b64 s[2:3], s[2:3], 3
	s_add_u32 s2, s5, s2
	v_bfe_u32 v14, v65, 1, 4
	s_movk_i32 s5, 0x3e0
	v_and_or_b32 v1, v65, s5, v14
	v_mad_u32_u24 v6, v1, s4, 0
	v_lshlrev_b32_e32 v1, 2, v64
	v_add_u32_e32 v4, v6, v1
	ds_read2st64_b32 v[2:3], v4 offset1:1
	ds_read2st64_b32 v[4:5], v4 offset0:33 offset1:34
	ds_read2st64_b32 v[6:7], v6 offset0:2 offset1:35
	v_lshrrev_b32_e32 v0, 1, v65
	v_lshlrev_b32_e32 v12, 6, v65
	s_waitcnt lgkmcnt(2)
	v_cvt_f32_f16_e32 v8, v2
	v_cvt_f32_f16_sdwa v9, v2 dst_sel:DWORD dst_unused:UNUSED_PAD src0_sel:WORD_1
	s_waitcnt lgkmcnt(1)
	v_cvt_f32_f16_e32 v10, v4
	v_cvt_f32_f16_sdwa v11, v4 dst_sel:DWORD dst_unused:UNUSED_PAD src0_sel:WORD_1
	s_waitcnt lgkmcnt(0)
	v_mov_b32_e32 v2, v7
	v_pk_fma_f32 v[8:9], v[6:7], v[8:9], 0 op_sel_hi:[0,1,0]
	s_addc_u32 s3, s6, s3
	v_add_lshl_u32 v12, v64, v12, 3
	v_pk_fma_f32 v[8:9], v[2:3], v[10:11], v[8:9] op_sel_hi:[0,1,1]
	v_add_u32_e32 v13, 2, v0
	global_store_dwordx2 v12, v[8:9], s[2:3]
	v_cvt_f32_f16_e32 v8, v3
	v_cvt_f32_f16_sdwa v9, v3 dst_sel:DWORD dst_unused:UNUSED_PAD src0_sel:WORD_1
	v_lshlrev_b32_e32 v3, 1, v13
	v_and_b32_e32 v7, 15, v13
	s_movk_i32 s5, 0x7e0
	v_and_or_b32 v3, v3, s5, v7
	v_mad_u32_u24 v15, v3, s4, 0
	v_add_u32_e32 v16, v15, v1
	v_cvt_f32_f16_e32 v4, v5
	v_cvt_f32_f16_sdwa v5, v5 dst_sel:DWORD dst_unused:UNUSED_PAD src0_sel:WORD_1
	ds_read2st64_b32 v[10:11], v16 offset1:1
	v_pk_fma_f32 v[6:7], v[6:7], v[8:9], 0 op_sel_hi:[0,1,0]
	v_pk_fma_f32 v[2:3], v[2:3], v[4:5], v[6:7] op_sel_hi:[0,1,1]
	ds_read2st64_b32 v[4:5], v15 offset0:2 offset1:35
	ds_read2st64_b32 v[6:7], v16 offset0:33 offset1:34
	s_waitcnt lgkmcnt(2)
	v_cvt_f32_f16_e32 v8, v10
	v_cvt_f32_f16_sdwa v9, v10 dst_sel:DWORD dst_unused:UNUSED_PAD src0_sel:WORD_1
	global_store_dwordx2 v12, v[2:3], s[2:3] offset:512
	v_lshlrev_b32_e32 v2, 7, v13
	v_add_lshl_u32 v15, v64, v2, 3
	s_waitcnt lgkmcnt(1)
	v_pk_fma_f32 v[2:3], v[4:5], v[8:9], 0 op_sel_hi:[0,1,0]
	s_waitcnt lgkmcnt(0)
	v_cvt_f32_f16_e32 v8, v6
	v_cvt_f32_f16_sdwa v9, v6 dst_sel:DWORD dst_unused:UNUSED_PAD src0_sel:WORD_1
	v_cvt_f32_f16_e32 v10, v11
	v_cvt_f32_f16_sdwa v11, v11 dst_sel:DWORD dst_unused:UNUSED_PAD src0_sel:WORD_1
	v_cvt_f32_f16_e32 v12, v7
	v_cvt_f32_f16_sdwa v13, v7 dst_sel:DWORD dst_unused:UNUSED_PAD src0_sel:WORD_1
	v_mov_b32_e32 v6, v5
	v_pk_fma_f32 v[2:3], v[6:7], v[8:9], v[2:3] op_sel_hi:[0,1,1]
	global_store_dwordx2 v15, v[2:3], s[2:3]
	v_pk_fma_f32 v[2:3], v[4:5], v[10:11], 0 op_sel_hi:[0,1,0]
	v_pk_fma_f32 v[2:3], v[6:7], v[12:13], v[2:3] op_sel_hi:[0,1,1]
	v_add_u32_e32 v6, 4, v0
	v_lshlrev_b32_e32 v4, 1, v6
	v_and_b32_e32 v5, 15, v6
	v_and_or_b32 v4, v4, s5, v5
	v_mad_u32_u24 v7, v4, s4, 0
	v_add_u32_e32 v8, v7, v1
	ds_read2st64_b32 v[4:5], v8 offset1:1
	global_store_dwordx2 v15, v[2:3], s[2:3] offset:512
	ds_read2st64_b32 v[2:3], v8 offset0:33 offset1:34
	v_lshlrev_b32_e32 v12, 7, v6
	ds_read2st64_b32 v[6:7], v7 offset0:2 offset1:35
	s_waitcnt lgkmcnt(2)
	v_cvt_f32_f16_e32 v8, v4
	v_cvt_f32_f16_sdwa v9, v4 dst_sel:DWORD dst_unused:UNUSED_PAD src0_sel:WORD_1
	s_waitcnt lgkmcnt(1)
	v_cvt_f32_f16_e32 v10, v2
	v_cvt_f32_f16_sdwa v11, v2 dst_sel:DWORD dst_unused:UNUSED_PAD src0_sel:WORD_1
	s_waitcnt lgkmcnt(0)
	v_mov_b32_e32 v2, v7
	v_pk_fma_f32 v[8:9], v[6:7], v[8:9], 0 op_sel_hi:[0,1,0]
	v_add_lshl_u32 v12, v64, v12, 3
	v_pk_fma_f32 v[8:9], v[2:3], v[10:11], v[8:9] op_sel_hi:[0,1,1]
	v_add_u32_e32 v13, 6, v0
	global_store_dwordx2 v12, v[8:9], s[2:3]
	v_cvt_f32_f16_e32 v8, v3
	v_cvt_f32_f16_sdwa v9, v3 dst_sel:DWORD dst_unused:UNUSED_PAD src0_sel:WORD_1
	v_lshlrev_b32_e32 v3, 1, v13
	v_and_b32_e32 v7, 15, v13
	v_and_or_b32 v3, v3, s5, v7
	v_mad_u32_u24 v7, v3, s4, 0
	v_cvt_f32_f16_e32 v4, v5
	v_cvt_f32_f16_sdwa v5, v5 dst_sel:DWORD dst_unused:UNUSED_PAD src0_sel:WORD_1
	v_add_u32_e32 v15, v7, v1
	ds_read2st64_b32 v[10:11], v15 offset1:1
	v_pk_fma_f32 v[4:5], v[6:7], v[4:5], 0 op_sel_hi:[0,1,0]
	v_pk_fma_f32 v[2:3], v[2:3], v[8:9], v[4:5] op_sel_hi:[0,1,1]
	ds_read2st64_b32 v[4:5], v7 offset0:2 offset1:35
	ds_read2st64_b32 v[6:7], v15 offset0:33 offset1:34
	s_waitcnt lgkmcnt(2)
	v_cvt_f32_f16_e32 v8, v10
	v_cvt_f32_f16_sdwa v9, v10 dst_sel:DWORD dst_unused:UNUSED_PAD src0_sel:WORD_1
	global_store_dwordx2 v12, v[2:3], s[2:3] offset:512
	v_lshlrev_b32_e32 v2, 7, v13
	v_add_lshl_u32 v15, v64, v2, 3
	s_waitcnt lgkmcnt(1)
	v_pk_fma_f32 v[2:3], v[4:5], v[8:9], 0 op_sel_hi:[0,1,0]
	s_waitcnt lgkmcnt(0)
	v_cvt_f32_f16_e32 v8, v6
	v_cvt_f32_f16_sdwa v9, v6 dst_sel:DWORD dst_unused:UNUSED_PAD src0_sel:WORD_1
	v_cvt_f32_f16_e32 v10, v11
	v_cvt_f32_f16_sdwa v11, v11 dst_sel:DWORD dst_unused:UNUSED_PAD src0_sel:WORD_1
	v_cvt_f32_f16_e32 v12, v7
	v_cvt_f32_f16_sdwa v13, v7 dst_sel:DWORD dst_unused:UNUSED_PAD src0_sel:WORD_1
	v_mov_b32_e32 v6, v5
	v_pk_fma_f32 v[2:3], v[6:7], v[8:9], v[2:3] op_sel_hi:[0,1,1]
	global_store_dwordx2 v15, v[2:3], s[2:3]
	v_pk_fma_f32 v[2:3], v[4:5], v[10:11], 0 op_sel_hi:[0,1,0]
	v_pk_fma_f32 v[2:3], v[6:7], v[12:13], v[2:3] op_sel_hi:[0,1,1]
	v_add_u32_e32 v6, 8, v0
	v_lshlrev_b32_e32 v4, 1, v6
	v_and_b32_e32 v5, 15, v6
	v_and_or_b32 v4, v4, s5, v5
	v_mad_u32_u24 v7, v4, s4, 0
	v_add_u32_e32 v8, v7, v1
	ds_read2st64_b32 v[4:5], v8 offset1:1
	global_store_dwordx2 v15, v[2:3], s[2:3] offset:512
	ds_read2st64_b32 v[2:3], v8 offset0:33 offset1:34
	v_lshlrev_b32_e32 v12, 7, v6
	ds_read2st64_b32 v[6:7], v7 offset0:2 offset1:35
	s_waitcnt lgkmcnt(2)
	v_cvt_f32_f16_e32 v8, v4
	v_cvt_f32_f16_sdwa v9, v4 dst_sel:DWORD dst_unused:UNUSED_PAD src0_sel:WORD_1
	s_waitcnt lgkmcnt(1)
	v_cvt_f32_f16_e32 v10, v2
	v_cvt_f32_f16_sdwa v11, v2 dst_sel:DWORD dst_unused:UNUSED_PAD src0_sel:WORD_1
	s_waitcnt lgkmcnt(0)
	v_mov_b32_e32 v2, v7
	v_pk_fma_f32 v[8:9], v[6:7], v[8:9], 0 op_sel_hi:[0,1,0]
	v_add_lshl_u32 v12, v64, v12, 3
	v_pk_fma_f32 v[8:9], v[2:3], v[10:11], v[8:9] op_sel_hi:[0,1,1]
	v_add_u32_e32 v13, 10, v0
	global_store_dwordx2 v12, v[8:9], s[2:3]
	v_cvt_f32_f16_e32 v8, v3
	v_cvt_f32_f16_sdwa v9, v3 dst_sel:DWORD dst_unused:UNUSED_PAD src0_sel:WORD_1
	v_lshlrev_b32_e32 v3, 1, v13
	v_and_b32_e32 v7, 15, v13
	v_and_or_b32 v3, v3, s5, v7
	v_mad_u32_u24 v7, v3, s4, 0
	v_cvt_f32_f16_e32 v4, v5
	v_cvt_f32_f16_sdwa v5, v5 dst_sel:DWORD dst_unused:UNUSED_PAD src0_sel:WORD_1
	v_add_u32_e32 v15, v7, v1
	;; [unrolled: 58-line block ×3, first 2 shown]
	ds_read2st64_b32 v[10:11], v15 offset1:1
	v_pk_fma_f32 v[4:5], v[6:7], v[4:5], 0 op_sel_hi:[0,1,0]
	v_pk_fma_f32 v[2:3], v[2:3], v[8:9], v[4:5] op_sel_hi:[0,1,1]
	ds_read2st64_b32 v[4:5], v7 offset0:2 offset1:35
	ds_read2st64_b32 v[6:7], v15 offset0:33 offset1:34
	s_waitcnt lgkmcnt(2)
	v_cvt_f32_f16_e32 v8, v10
	v_cvt_f32_f16_sdwa v9, v10 dst_sel:DWORD dst_unused:UNUSED_PAD src0_sel:WORD_1
	global_store_dwordx2 v12, v[2:3], s[2:3] offset:512
	v_lshlrev_b32_e32 v2, 7, v13
	v_add_lshl_u32 v15, v64, v2, 3
	s_waitcnt lgkmcnt(1)
	v_pk_fma_f32 v[2:3], v[4:5], v[8:9], 0 op_sel_hi:[0,1,0]
	s_waitcnt lgkmcnt(0)
	v_cvt_f32_f16_e32 v8, v6
	v_cvt_f32_f16_sdwa v9, v6 dst_sel:DWORD dst_unused:UNUSED_PAD src0_sel:WORD_1
	v_cvt_f32_f16_e32 v10, v11
	v_cvt_f32_f16_sdwa v11, v11 dst_sel:DWORD dst_unused:UNUSED_PAD src0_sel:WORD_1
	;; [unrolled: 2-line block ×3, first 2 shown]
	v_mov_b32_e32 v6, v5
	v_pk_fma_f32 v[2:3], v[6:7], v[8:9], v[2:3] op_sel_hi:[0,1,1]
	global_store_dwordx2 v15, v[2:3], s[2:3]
	v_pk_fma_f32 v[2:3], v[4:5], v[10:11], 0 op_sel_hi:[0,1,0]
	v_pk_fma_f32 v[2:3], v[6:7], v[12:13], v[2:3] op_sel_hi:[0,1,1]
	v_add_u32_e32 v6, 16, v0
	v_lshlrev_b32_e32 v4, 1, v6
	v_and_or_b32 v4, v4, s5, v14
	v_mad_u32_u24 v7, v4, s4, 0
	v_add_u32_e32 v8, v7, v1
	ds_read2st64_b32 v[4:5], v8 offset1:1
	global_store_dwordx2 v15, v[2:3], s[2:3] offset:512
	ds_read2st64_b32 v[2:3], v8 offset0:33 offset1:34
	v_lshlrev_b32_e32 v12, 7, v6
	ds_read2st64_b32 v[6:7], v7 offset0:2 offset1:35
	s_waitcnt lgkmcnt(2)
	v_cvt_f32_f16_e32 v8, v4
	v_cvt_f32_f16_sdwa v9, v4 dst_sel:DWORD dst_unused:UNUSED_PAD src0_sel:WORD_1
	s_waitcnt lgkmcnt(1)
	v_cvt_f32_f16_e32 v10, v2
	v_cvt_f32_f16_sdwa v11, v2 dst_sel:DWORD dst_unused:UNUSED_PAD src0_sel:WORD_1
	s_waitcnt lgkmcnt(0)
	v_mov_b32_e32 v2, v7
	v_pk_fma_f32 v[8:9], v[6:7], v[8:9], 0 op_sel_hi:[0,1,0]
	v_add_lshl_u32 v12, v64, v12, 3
	v_pk_fma_f32 v[8:9], v[2:3], v[10:11], v[8:9] op_sel_hi:[0,1,1]
	v_add_u32_e32 v13, 18, v0
	global_store_dwordx2 v12, v[8:9], s[2:3]
	v_cvt_f32_f16_e32 v8, v3
	v_cvt_f32_f16_sdwa v9, v3 dst_sel:DWORD dst_unused:UNUSED_PAD src0_sel:WORD_1
	v_lshlrev_b32_e32 v3, 1, v13
	v_and_b32_e32 v7, 15, v13
	v_and_or_b32 v3, v3, s5, v7
	v_mad_u32_u24 v7, v3, s4, 0
	v_cvt_f32_f16_e32 v4, v5
	v_cvt_f32_f16_sdwa v5, v5 dst_sel:DWORD dst_unused:UNUSED_PAD src0_sel:WORD_1
	v_add_u32_e32 v14, v7, v1
	ds_read2st64_b32 v[10:11], v14 offset1:1
	v_pk_fma_f32 v[4:5], v[6:7], v[4:5], 0 op_sel_hi:[0,1,0]
	v_pk_fma_f32 v[2:3], v[2:3], v[8:9], v[4:5] op_sel_hi:[0,1,1]
	ds_read2st64_b32 v[4:5], v7 offset0:2 offset1:35
	ds_read2st64_b32 v[6:7], v14 offset0:33 offset1:34
	s_waitcnt lgkmcnt(2)
	v_cvt_f32_f16_e32 v8, v10
	v_cvt_f32_f16_sdwa v9, v10 dst_sel:DWORD dst_unused:UNUSED_PAD src0_sel:WORD_1
	global_store_dwordx2 v12, v[2:3], s[2:3] offset:512
	v_lshlrev_b32_e32 v2, 7, v13
	v_add_lshl_u32 v14, v64, v2, 3
	s_waitcnt lgkmcnt(1)
	v_pk_fma_f32 v[2:3], v[4:5], v[8:9], 0 op_sel_hi:[0,1,0]
	s_waitcnt lgkmcnt(0)
	v_cvt_f32_f16_e32 v8, v6
	v_cvt_f32_f16_sdwa v9, v6 dst_sel:DWORD dst_unused:UNUSED_PAD src0_sel:WORD_1
	v_cvt_f32_f16_e32 v10, v11
	v_cvt_f32_f16_sdwa v11, v11 dst_sel:DWORD dst_unused:UNUSED_PAD src0_sel:WORD_1
	v_cvt_f32_f16_e32 v12, v7
	v_cvt_f32_f16_sdwa v13, v7 dst_sel:DWORD dst_unused:UNUSED_PAD src0_sel:WORD_1
	v_mov_b32_e32 v6, v5
	v_pk_fma_f32 v[2:3], v[6:7], v[8:9], v[2:3] op_sel_hi:[0,1,1]
	global_store_dwordx2 v14, v[2:3], s[2:3]
	v_pk_fma_f32 v[2:3], v[4:5], v[10:11], 0 op_sel_hi:[0,1,0]
	v_pk_fma_f32 v[2:3], v[6:7], v[12:13], v[2:3] op_sel_hi:[0,1,1]
	v_add_u32_e32 v6, 20, v0
	v_lshlrev_b32_e32 v4, 1, v6
	v_and_b32_e32 v5, 15, v6
	v_and_or_b32 v4, v4, s5, v5
	v_mad_u32_u24 v7, v4, s4, 0
	v_add_u32_e32 v8, v7, v1
	ds_read2st64_b32 v[4:5], v8 offset1:1
	global_store_dwordx2 v14, v[2:3], s[2:3] offset:512
	ds_read2st64_b32 v[2:3], v8 offset0:33 offset1:34
	v_lshlrev_b32_e32 v12, 7, v6
	ds_read2st64_b32 v[6:7], v7 offset0:2 offset1:35
	s_waitcnt lgkmcnt(2)
	v_cvt_f32_f16_e32 v8, v4
	v_cvt_f32_f16_sdwa v9, v4 dst_sel:DWORD dst_unused:UNUSED_PAD src0_sel:WORD_1
	s_waitcnt lgkmcnt(1)
	v_cvt_f32_f16_e32 v10, v2
	v_cvt_f32_f16_sdwa v11, v2 dst_sel:DWORD dst_unused:UNUSED_PAD src0_sel:WORD_1
	s_waitcnt lgkmcnt(0)
	v_mov_b32_e32 v2, v7
	v_pk_fma_f32 v[8:9], v[6:7], v[8:9], 0 op_sel_hi:[0,1,0]
	v_add_lshl_u32 v12, v64, v12, 3
	v_pk_fma_f32 v[8:9], v[2:3], v[10:11], v[8:9] op_sel_hi:[0,1,1]
	v_add_u32_e32 v13, 22, v0
	global_store_dwordx2 v12, v[8:9], s[2:3]
	v_cvt_f32_f16_e32 v8, v3
	v_cvt_f32_f16_sdwa v9, v3 dst_sel:DWORD dst_unused:UNUSED_PAD src0_sel:WORD_1
	v_lshlrev_b32_e32 v3, 1, v13
	v_and_b32_e32 v7, 15, v13
	v_and_or_b32 v3, v3, s5, v7
	v_mad_u32_u24 v7, v3, s4, 0
	v_cvt_f32_f16_e32 v4, v5
	v_cvt_f32_f16_sdwa v5, v5 dst_sel:DWORD dst_unused:UNUSED_PAD src0_sel:WORD_1
	v_add_u32_e32 v14, v7, v1
	ds_read2st64_b32 v[10:11], v14 offset1:1
	v_pk_fma_f32 v[4:5], v[6:7], v[4:5], 0 op_sel_hi:[0,1,0]
	v_pk_fma_f32 v[2:3], v[2:3], v[8:9], v[4:5] op_sel_hi:[0,1,1]
	ds_read2st64_b32 v[4:5], v7 offset0:2 offset1:35
	ds_read2st64_b32 v[6:7], v14 offset0:33 offset1:34
	s_waitcnt lgkmcnt(2)
	v_cvt_f32_f16_e32 v8, v10
	v_cvt_f32_f16_sdwa v9, v10 dst_sel:DWORD dst_unused:UNUSED_PAD src0_sel:WORD_1
	global_store_dwordx2 v12, v[2:3], s[2:3] offset:512
	v_lshlrev_b32_e32 v2, 7, v13
	v_add_lshl_u32 v14, v64, v2, 3
	s_waitcnt lgkmcnt(1)
	v_pk_fma_f32 v[2:3], v[4:5], v[8:9], 0 op_sel_hi:[0,1,0]
	s_waitcnt lgkmcnt(0)
	v_cvt_f32_f16_e32 v8, v6
	v_cvt_f32_f16_sdwa v9, v6 dst_sel:DWORD dst_unused:UNUSED_PAD src0_sel:WORD_1
	v_cvt_f32_f16_e32 v10, v11
	v_cvt_f32_f16_sdwa v11, v11 dst_sel:DWORD dst_unused:UNUSED_PAD src0_sel:WORD_1
	v_cvt_f32_f16_e32 v12, v7
	v_cvt_f32_f16_sdwa v13, v7 dst_sel:DWORD dst_unused:UNUSED_PAD src0_sel:WORD_1
	v_mov_b32_e32 v6, v5
	v_pk_fma_f32 v[2:3], v[6:7], v[8:9], v[2:3] op_sel_hi:[0,1,1]
	global_store_dwordx2 v14, v[2:3], s[2:3]
	v_pk_fma_f32 v[2:3], v[4:5], v[10:11], 0 op_sel_hi:[0,1,0]
	v_pk_fma_f32 v[2:3], v[6:7], v[12:13], v[2:3] op_sel_hi:[0,1,1]
	v_add_u32_e32 v6, 24, v0
	v_lshlrev_b32_e32 v4, 1, v6
	v_and_b32_e32 v5, 15, v6
	;; [unrolled: 58-line block ×3, first 2 shown]
	v_and_or_b32 v4, v4, s5, v5
	v_mad_u32_u24 v7, v4, s4, 0
	v_add_u32_e32 v8, v7, v1
	ds_read2st64_b32 v[4:5], v8 offset1:1
	global_store_dwordx2 v14, v[2:3], s[2:3] offset:512
	ds_read2st64_b32 v[2:3], v8 offset0:33 offset1:34
	v_lshlrev_b32_e32 v12, 7, v6
	ds_read2st64_b32 v[6:7], v7 offset0:2 offset1:35
	s_waitcnt lgkmcnt(2)
	v_cvt_f32_f16_e32 v8, v4
	v_cvt_f32_f16_sdwa v9, v4 dst_sel:DWORD dst_unused:UNUSED_PAD src0_sel:WORD_1
	s_waitcnt lgkmcnt(1)
	v_cvt_f32_f16_e32 v10, v2
	v_cvt_f32_f16_sdwa v11, v2 dst_sel:DWORD dst_unused:UNUSED_PAD src0_sel:WORD_1
	s_waitcnt lgkmcnt(0)
	v_mov_b32_e32 v2, v7
	v_pk_fma_f32 v[8:9], v[6:7], v[8:9], 0 op_sel_hi:[0,1,0]
	v_add_lshl_u32 v12, v64, v12, 3
	v_pk_fma_f32 v[8:9], v[2:3], v[10:11], v[8:9] op_sel_hi:[0,1,1]
	v_add_u32_e32 v10, 30, v0
	global_store_dwordx2 v12, v[8:9], s[2:3]
	v_cvt_f32_f16_e32 v8, v3
	v_cvt_f32_f16_sdwa v9, v3 dst_sel:DWORD dst_unused:UNUSED_PAD src0_sel:WORD_1
	v_lshlrev_b32_e32 v0, 1, v10
	v_and_b32_e32 v3, 15, v10
	v_and_or_b32 v0, v0, s5, v3
	v_mad_u32_u24 v7, v0, s4, 0
	v_cvt_f32_f16_e32 v4, v5
	v_cvt_f32_f16_sdwa v5, v5 dst_sel:DWORD dst_unused:UNUSED_PAD src0_sel:WORD_1
	v_add_u32_e32 v11, v7, v1
	ds_read2st64_b32 v[0:1], v11 offset1:1
	v_pk_fma_f32 v[4:5], v[6:7], v[4:5], 0 op_sel_hi:[0,1,0]
	v_pk_fma_f32 v[2:3], v[2:3], v[8:9], v[4:5] op_sel_hi:[0,1,1]
	ds_read2st64_b32 v[4:5], v7 offset0:2 offset1:35
	ds_read2st64_b32 v[6:7], v11 offset0:33 offset1:34
	s_waitcnt lgkmcnt(2)
	v_cvt_f32_f16_e32 v8, v0
	v_cvt_f32_f16_sdwa v9, v0 dst_sel:DWORD dst_unused:UNUSED_PAD src0_sel:WORD_1
	global_store_dwordx2 v12, v[2:3], s[2:3] offset:512
	v_lshlrev_b32_e32 v0, 7, v10
	v_cvt_f32_f16_e32 v10, v1
	s_waitcnt lgkmcnt(1)
	v_pk_fma_f32 v[2:3], v[4:5], v[8:9], 0 op_sel_hi:[0,1,0]
	s_waitcnt lgkmcnt(0)
	v_cvt_f32_f16_e32 v8, v6
	v_cvt_f32_f16_sdwa v9, v6 dst_sel:DWORD dst_unused:UNUSED_PAD src0_sel:WORD_1
	v_cvt_f32_f16_sdwa v11, v1 dst_sel:DWORD dst_unused:UNUSED_PAD src0_sel:WORD_1
	v_cvt_f32_f16_e32 v6, v7
	v_cvt_f32_f16_sdwa v7, v7 dst_sel:DWORD dst_unused:UNUSED_PAD src0_sel:WORD_1
	v_add_lshl_u32 v12, v64, v0, 3
	v_mov_b32_e32 v0, v5
	v_pk_fma_f32 v[2:3], v[0:1], v[8:9], v[2:3] op_sel_hi:[0,1,1]
	global_store_dwordx2 v12, v[2:3], s[2:3]
	v_pk_fma_f32 v[2:3], v[4:5], v[10:11], 0 op_sel_hi:[0,1,0]
	v_pk_fma_f32 v[0:1], v[0:1], v[6:7], v[2:3] op_sel_hi:[0,1,1]
	global_store_dwordx2 v12, v[0:1], s[2:3] offset:512
.LBB30_524:
	s_or_b64 exec, exec, s[0:1]
	s_barrier
	s_endpgm
	.section	.rodata,"a",@progbits
	.p2align	6, 0x0
	.amdhsa_kernel _ZL18flash_attn_ext_f16ILi256ELi256ELi8ELi4ELb1ELb0EEvPKcS1_S1_S1_S1_PKiPfP15HIP_vector_typeIfLj2EEffffjfiS5_IjLj3EEiiiiiiiiiiiliiliiiiil
		.amdhsa_group_segment_fixed_size 0
		.amdhsa_private_segment_fixed_size 0
		.amdhsa_kernarg_size 464
		.amdhsa_user_sgpr_count 2
		.amdhsa_user_sgpr_dispatch_ptr 0
		.amdhsa_user_sgpr_queue_ptr 0
		.amdhsa_user_sgpr_kernarg_segment_ptr 1
		.amdhsa_user_sgpr_dispatch_id 0
		.amdhsa_user_sgpr_kernarg_preload_length 0
		.amdhsa_user_sgpr_kernarg_preload_offset 0
		.amdhsa_user_sgpr_private_segment_size 0
		.amdhsa_uses_dynamic_stack 0
		.amdhsa_enable_private_segment 0
		.amdhsa_system_sgpr_workgroup_id_x 1
		.amdhsa_system_sgpr_workgroup_id_y 0
		.amdhsa_system_sgpr_workgroup_id_z 0
		.amdhsa_system_sgpr_workgroup_info 0
		.amdhsa_system_vgpr_workitem_id 1
		.amdhsa_next_free_vgpr 360
		.amdhsa_next_free_sgpr 96
		.amdhsa_accum_offset 256
		.amdhsa_reserve_vcc 1
		.amdhsa_float_round_mode_32 0
		.amdhsa_float_round_mode_16_64 0
		.amdhsa_float_denorm_mode_32 3
		.amdhsa_float_denorm_mode_16_64 3
		.amdhsa_dx10_clamp 1
		.amdhsa_ieee_mode 1
		.amdhsa_fp16_overflow 0
		.amdhsa_tg_split 0
		.amdhsa_exception_fp_ieee_invalid_op 0
		.amdhsa_exception_fp_denorm_src 0
		.amdhsa_exception_fp_ieee_div_zero 0
		.amdhsa_exception_fp_ieee_overflow 0
		.amdhsa_exception_fp_ieee_underflow 0
		.amdhsa_exception_fp_ieee_inexact 0
		.amdhsa_exception_int_div_zero 0
	.end_amdhsa_kernel
	.section	.text._ZL18flash_attn_ext_f16ILi256ELi256ELi8ELi4ELb1ELb0EEvPKcS1_S1_S1_S1_PKiPfP15HIP_vector_typeIfLj2EEffffjfiS5_IjLj3EEiiiiiiiiiiiliiliiiiil,"axG",@progbits,_ZL18flash_attn_ext_f16ILi256ELi256ELi8ELi4ELb1ELb0EEvPKcS1_S1_S1_S1_PKiPfP15HIP_vector_typeIfLj2EEffffjfiS5_IjLj3EEiiiiiiiiiiiliiliiiiil,comdat
.Lfunc_end30:
	.size	_ZL18flash_attn_ext_f16ILi256ELi256ELi8ELi4ELb1ELb0EEvPKcS1_S1_S1_S1_PKiPfP15HIP_vector_typeIfLj2EEffffjfiS5_IjLj3EEiiiiiiiiiiiliiliiiiil, .Lfunc_end30-_ZL18flash_attn_ext_f16ILi256ELi256ELi8ELi4ELb1ELb0EEvPKcS1_S1_S1_S1_PKiPfP15HIP_vector_typeIfLj2EEffffjfiS5_IjLj3EEiiiiiiiiiiiliiliiiiil
                                        ; -- End function
	.set _ZL18flash_attn_ext_f16ILi256ELi256ELi8ELi4ELb1ELb0EEvPKcS1_S1_S1_S1_PKiPfP15HIP_vector_typeIfLj2EEffffjfiS5_IjLj3EEiiiiiiiiiiiliiliiiiil.num_vgpr, 256
	.set _ZL18flash_attn_ext_f16ILi256ELi256ELi8ELi4ELb1ELb0EEvPKcS1_S1_S1_S1_PKiPfP15HIP_vector_typeIfLj2EEffffjfiS5_IjLj3EEiiiiiiiiiiiliiliiiiil.num_agpr, 104
	.set _ZL18flash_attn_ext_f16ILi256ELi256ELi8ELi4ELb1ELb0EEvPKcS1_S1_S1_S1_PKiPfP15HIP_vector_typeIfLj2EEffffjfiS5_IjLj3EEiiiiiiiiiiiliiliiiiil.numbered_sgpr, 96
	.set _ZL18flash_attn_ext_f16ILi256ELi256ELi8ELi4ELb1ELb0EEvPKcS1_S1_S1_S1_PKiPfP15HIP_vector_typeIfLj2EEffffjfiS5_IjLj3EEiiiiiiiiiiiliiliiiiil.num_named_barrier, 0
	.set _ZL18flash_attn_ext_f16ILi256ELi256ELi8ELi4ELb1ELb0EEvPKcS1_S1_S1_S1_PKiPfP15HIP_vector_typeIfLj2EEffffjfiS5_IjLj3EEiiiiiiiiiiiliiliiiiil.private_seg_size, 0
	.set _ZL18flash_attn_ext_f16ILi256ELi256ELi8ELi4ELb1ELb0EEvPKcS1_S1_S1_S1_PKiPfP15HIP_vector_typeIfLj2EEffffjfiS5_IjLj3EEiiiiiiiiiiiliiliiiiil.uses_vcc, 1
	.set _ZL18flash_attn_ext_f16ILi256ELi256ELi8ELi4ELb1ELb0EEvPKcS1_S1_S1_S1_PKiPfP15HIP_vector_typeIfLj2EEffffjfiS5_IjLj3EEiiiiiiiiiiiliiliiiiil.uses_flat_scratch, 0
	.set _ZL18flash_attn_ext_f16ILi256ELi256ELi8ELi4ELb1ELb0EEvPKcS1_S1_S1_S1_PKiPfP15HIP_vector_typeIfLj2EEffffjfiS5_IjLj3EEiiiiiiiiiiiliiliiiiil.has_dyn_sized_stack, 0
	.set _ZL18flash_attn_ext_f16ILi256ELi256ELi8ELi4ELb1ELb0EEvPKcS1_S1_S1_S1_PKiPfP15HIP_vector_typeIfLj2EEffffjfiS5_IjLj3EEiiiiiiiiiiiliiliiiiil.has_recursion, 0
	.set _ZL18flash_attn_ext_f16ILi256ELi256ELi8ELi4ELb1ELb0EEvPKcS1_S1_S1_S1_PKiPfP15HIP_vector_typeIfLj2EEffffjfiS5_IjLj3EEiiiiiiiiiiiliiliiiiil.has_indirect_call, 0
	.section	.AMDGPU.csdata,"",@progbits
; Kernel info:
; codeLenInByte = 88460
; TotalNumSgprs: 102
; NumVgprs: 256
; NumAgprs: 104
; TotalNumVgprs: 360
; ScratchSize: 0
; MemoryBound: 0
; FloatMode: 240
; IeeeMode: 1
; LDSByteSize: 0 bytes/workgroup (compile time only)
; SGPRBlocks: 12
; VGPRBlocks: 44
; NumSGPRsForWavesPerEU: 102
; NumVGPRsForWavesPerEU: 360
; AccumOffset: 256
; Occupancy: 1
; WaveLimiterHint : 1
; COMPUTE_PGM_RSRC2:SCRATCH_EN: 0
; COMPUTE_PGM_RSRC2:USER_SGPR: 2
; COMPUTE_PGM_RSRC2:TRAP_HANDLER: 0
; COMPUTE_PGM_RSRC2:TGID_X_EN: 1
; COMPUTE_PGM_RSRC2:TGID_Y_EN: 0
; COMPUTE_PGM_RSRC2:TGID_Z_EN: 0
; COMPUTE_PGM_RSRC2:TIDIG_COMP_CNT: 1
; COMPUTE_PGM_RSRC3_GFX90A:ACCUM_OFFSET: 63
; COMPUTE_PGM_RSRC3_GFX90A:TG_SPLIT: 0
	.section	.text._ZL33flash_attn_stream_k_fixup_uniformILi256ELi8ELi4EEvPfPK15HIP_vector_typeIfLj2EEiiiiiiS1_IjLj3EES5_S5_,"axG",@progbits,_ZL33flash_attn_stream_k_fixup_uniformILi256ELi8ELi4EEvPfPK15HIP_vector_typeIfLj2EEiiiiiiS1_IjLj3EES5_S5_,comdat
	.globl	_ZL33flash_attn_stream_k_fixup_uniformILi256ELi8ELi4EEvPfPK15HIP_vector_typeIfLj2EEiiiiiiS1_IjLj3EES5_S5_ ; -- Begin function _ZL33flash_attn_stream_k_fixup_uniformILi256ELi8ELi4EEvPfPK15HIP_vector_typeIfLj2EEiiiiiiS1_IjLj3EES5_S5_
	.p2align	8
	.type	_ZL33flash_attn_stream_k_fixup_uniformILi256ELi8ELi4EEvPfPK15HIP_vector_typeIfLj2EEiiiiiiS1_IjLj3EES5_S5_,@function
_ZL33flash_attn_stream_k_fixup_uniformILi256ELi8ELi4EEvPfPK15HIP_vector_typeIfLj2EEiiiiiiS1_IjLj3EES5_S5_: ; @_ZL33flash_attn_stream_k_fixup_uniformILi256ELi8ELi4EEvPfPK15HIP_vector_typeIfLj2EEiiiiiiS1_IjLj3EES5_S5_
; %bb.0:
	s_load_dwordx8 s[8:15], s[0:1], 0x1c
	s_load_dwordx2 s[6:7], s[0:1], 0x10
	s_load_dwordx4 s[20:23], s[0:1], 0x3c
	s_waitcnt lgkmcnt(0)
	s_mul_hi_u32 s5, s11, s2
	s_add_i32 s5, s2, s5
	s_lshr_b32 s5, s5, s12
	s_mul_i32 s11, s5, s13
	s_sub_i32 s11, s2, s11
	s_mul_hi_u32 s12, s11, s14
	s_add_i32 s12, s11, s12
	s_lshr_b32 s16, s12, s15
	s_mul_i32 s12, s16, s20
	s_sub_i32 s11, s11, s12
	;; [unrolled: 5-line block ×3, first 2 shown]
	s_lshl_b32 s11, s12, 2
	s_lshl_b32 s12, s17, 3
	s_add_i32 s12, s12, s3
	s_cmp_lt_i32 s12, s6
	s_cselect_b64 s[12:13], -1, 0
	s_add_i32 s14, s11, s4
	s_cmp_lt_i32 s14, s9
	s_cselect_b64 s[14:15], -1, 0
	s_and_b64 s[12:13], s[12:13], s[14:15]
	s_andn2_b64 vcc, exec, s[12:13]
	s_cbranch_vccnz .LBB31_6
; %bb.1:
	s_load_dwordx4 s[12:15], s[0:1], 0x0
	s_mul_i32 s0, s5, s6
	s_add_i32 s0, s0, s3
	s_mul_i32 s0, s0, s7
	s_mul_i32 s16, s16, s9
	s_add_i32 s0, s0, s4
	s_add_i32 s0, s0, s16
	s_mul_i32 s1, s7, s17
	s_add_i32 s0, s0, s11
	s_lshl_b32 s1, s1, 11
	s_lshl_b32 s0, s0, 8
	s_add_i32 s1, s1, s0
	v_or_b32_e32 v4, s1, v0
	s_waitcnt lgkmcnt(0)
	v_mov_b32_e32 v2, s12
	v_mov_b32_e32 v3, s13
	v_ashrrev_i32_e32 v5, 31, v4
	v_lshl_add_u64 v[2:3], v[4:5], 2, v[2:3]
	global_load_dword v5, v[2:3], off
	s_mul_i32 s5, s10, s2
	s_lshl_b32 s11, s3, 2
	s_add_i32 s9, s5, s10
	s_add_i32 s0, s11, s4
	s_lshl_b32 s1, s9, 5
	s_add_i32 s0, s0, s1
	s_sub_i32 s0, s0, 32
	s_ashr_i32 s1, s0, 31
	s_lshl_b64 s[0:1], s[0:1], 3
	s_add_u32 s0, s14, s0
	s_addc_u32 s1, s15, s1
	s_load_dword s12, s[0:1], 0x4
	s_add_i32 s6, s9, -2
	s_cmp_lt_i32 s6, s5
	s_cbranch_scc1 .LBB31_4
; %bb.2:
	s_lshl_b32 s6, s8, 7
	s_ashr_i32 s7, s6, 31
	s_lshl_b64 s[6:7], s[6:7], 2
	s_add_u32 s6, s14, s6
	s_addc_u32 s7, s15, s7
	s_add_i32 s2, s2, 1
	s_load_dword s0, s[0:1], 0x0
	s_mul_i32 s1, s10, s2
	s_lshl_b32 s3, s3, 10
	s_lshl_b32 s10, s4, 8
	;; [unrolled: 1-line block ×3, first 2 shown]
	s_add_i32 s3, s10, s3
	s_lshl_b32 s1, s1, 5
	s_add_i32 s3, s3, s2
	s_add_i32 s1, s4, s1
	s_lshl_b32 s2, s8, 5
	s_add_i32 s1, s1, s2
	v_or_b32_e32 v0, s3, v0
	s_add_i32 s1, s1, s11
	s_add_i32 s9, s9, -1
	v_add_u32_e32 v0, 0xffffc000, v0
	s_sub_i32 s2, s1, 64
	s_waitcnt lgkmcnt(0)
	v_mov_b32_e32 v7, s0
	v_mov_b32_e32 v4, s12
	s_mov_b32 s4, 0x3fb8aa3b
	s_mov_b32 s8, 0xc2ce8ed0
	s_mov_b32 s10, 0x42b17218
	v_mov_b32_e32 v6, 0x7f800000
	s_mov_b32 s11, 0xc1a00000
.LBB31_3:                               ; =>This Inner Loop Header: Depth=1
	v_ashrrev_i32_e32 v1, 31, v0
	v_lshl_add_u64 v[8:9], v[0:1], 2, s[6:7]
	global_load_dword v9, v[8:9], off
	s_ashr_i32 s3, s2, 31
	s_lshl_b64 s[0:1], s[2:3], 3
	s_add_u32 s0, s14, s0
	s_addc_u32 s1, s15, s1
	s_load_dwordx2 s[0:1], s[0:1], 0x0
	v_max_f32_e32 v1, v7, v7
	s_add_i32 s9, s9, -1
	s_sub_i32 s2, s2, 32
	v_add_u32_e32 v0, 0xffffe000, v0
	s_waitcnt lgkmcnt(0)
	v_max_f32_e64 v10, s0, s0
	v_max_f32_e32 v1, v1, v10
	v_sub_f32_e32 v11, s0, v1
	v_sub_f32_e32 v10, v7, v1
	v_mul_f32_e32 v12, 0x3fb8aa3b, v11
	v_mov_b32_e32 v7, v1
	v_mul_f32_e32 v1, 0x3fb8aa3b, v10
	v_fma_f32 v15, v11, s4, -v12
	v_rndne_f32_e32 v16, v12
	v_fma_f32 v13, v10, s4, -v1
	v_rndne_f32_e32 v14, v1
	v_fmac_f32_e32 v15, 0x32a5705f, v11
	v_sub_f32_e32 v12, v12, v16
	v_fmac_f32_e32 v13, 0x32a5705f, v10
	v_sub_f32_e32 v1, v1, v14
	v_add_f32_e32 v12, v12, v15
	v_cvt_i32_f32_e32 v16, v16
	v_add_f32_e32 v1, v1, v13
	v_exp_f32_e32 v12, v12
	v_cvt_i32_f32_e32 v14, v14
	v_exp_f32_e32 v1, v1
	v_cmp_ngt_f32_e32 vcc, s8, v11
	v_ldexp_f32 v12, v12, v16
	v_mov_b32_e32 v8, s1
	v_ldexp_f32 v1, v1, v14
	v_cmp_ngt_f32_e64 s[0:1], s8, v10
	v_cndmask_b32_e32 v12, 0, v12, vcc
	v_cmp_nlt_f32_e32 vcc, s10, v11
	v_cndmask_b32_e64 v1, 0, v1, s[0:1]
	v_cmp_nlt_f32_e64 s[0:1], s10, v10
	v_cndmask_b32_e32 v12, v6, v12, vcc
	v_cmp_le_f32_e32 vcc, s11, v11
	v_cndmask_b32_e64 v1, v6, v1, s[0:1]
	v_cmp_le_f32_e64 s[0:1], s11, v10
	v_cndmask_b32_e32 v12, 0, v12, vcc
	s_cmp_le_i32 s9, s5
	v_cndmask_b32_e64 v10, 0, v1, s[0:1]
	s_waitcnt vmcnt(0)
	v_pk_mul_f32 v[8:9], v[8:9], v[12:13] op_sel_hi:[1,0]
	s_nop 0
	v_pk_fma_f32 v[4:5], v[4:5], v[10:11], v[8:9] op_sel_hi:[1,0,1]
	s_cbranch_scc0 .LBB31_3
	s_branch .LBB31_5
.LBB31_4:
	s_waitcnt lgkmcnt(0)
	v_mov_b32_e32 v4, s12
.LBB31_5:
	s_waitcnt vmcnt(0)
	v_div_scale_f32 v0, s[0:1], v4, v4, v5
	v_rcp_f32_e32 v1, v0
	v_div_scale_f32 v6, vcc, v5, v4, v5
	v_fma_f32 v7, -v0, v1, 1.0
	v_fmac_f32_e32 v1, v7, v1
	v_mul_f32_e32 v7, v6, v1
	v_fma_f32 v8, -v0, v7, v6
	v_fmac_f32_e32 v7, v8, v1
	v_fma_f32 v0, -v0, v7, v6
	v_div_fmas_f32 v0, v0, v1, v7
	v_div_fixup_f32 v0, v0, v4, v5
	global_store_dword v[2:3], v0, off
.LBB31_6:
	s_endpgm
	.section	.rodata,"a",@progbits
	.p2align	6, 0x0
	.amdhsa_kernel _ZL33flash_attn_stream_k_fixup_uniformILi256ELi8ELi4EEvPfPK15HIP_vector_typeIfLj2EEiiiiiiS1_IjLj3EES5_S5_
		.amdhsa_group_segment_fixed_size 0
		.amdhsa_private_segment_fixed_size 0
		.amdhsa_kernarg_size 76
		.amdhsa_user_sgpr_count 2
		.amdhsa_user_sgpr_dispatch_ptr 0
		.amdhsa_user_sgpr_queue_ptr 0
		.amdhsa_user_sgpr_kernarg_segment_ptr 1
		.amdhsa_user_sgpr_dispatch_id 0
		.amdhsa_user_sgpr_kernarg_preload_length 0
		.amdhsa_user_sgpr_kernarg_preload_offset 0
		.amdhsa_user_sgpr_private_segment_size 0
		.amdhsa_uses_dynamic_stack 0
		.amdhsa_enable_private_segment 0
		.amdhsa_system_sgpr_workgroup_id_x 1
		.amdhsa_system_sgpr_workgroup_id_y 1
		.amdhsa_system_sgpr_workgroup_id_z 1
		.amdhsa_system_sgpr_workgroup_info 0
		.amdhsa_system_vgpr_workitem_id 0
		.amdhsa_next_free_vgpr 17
		.amdhsa_next_free_sgpr 24
		.amdhsa_accum_offset 20
		.amdhsa_reserve_vcc 1
		.amdhsa_float_round_mode_32 0
		.amdhsa_float_round_mode_16_64 0
		.amdhsa_float_denorm_mode_32 3
		.amdhsa_float_denorm_mode_16_64 3
		.amdhsa_dx10_clamp 1
		.amdhsa_ieee_mode 1
		.amdhsa_fp16_overflow 0
		.amdhsa_tg_split 0
		.amdhsa_exception_fp_ieee_invalid_op 0
		.amdhsa_exception_fp_denorm_src 0
		.amdhsa_exception_fp_ieee_div_zero 0
		.amdhsa_exception_fp_ieee_overflow 0
		.amdhsa_exception_fp_ieee_underflow 0
		.amdhsa_exception_fp_ieee_inexact 0
		.amdhsa_exception_int_div_zero 0
	.end_amdhsa_kernel
	.section	.text._ZL33flash_attn_stream_k_fixup_uniformILi256ELi8ELi4EEvPfPK15HIP_vector_typeIfLj2EEiiiiiiS1_IjLj3EES5_S5_,"axG",@progbits,_ZL33flash_attn_stream_k_fixup_uniformILi256ELi8ELi4EEvPfPK15HIP_vector_typeIfLj2EEiiiiiiS1_IjLj3EES5_S5_,comdat
.Lfunc_end31:
	.size	_ZL33flash_attn_stream_k_fixup_uniformILi256ELi8ELi4EEvPfPK15HIP_vector_typeIfLj2EEiiiiiiS1_IjLj3EES5_S5_, .Lfunc_end31-_ZL33flash_attn_stream_k_fixup_uniformILi256ELi8ELi4EEvPfPK15HIP_vector_typeIfLj2EEiiiiiiS1_IjLj3EES5_S5_
                                        ; -- End function
	.set _ZL33flash_attn_stream_k_fixup_uniformILi256ELi8ELi4EEvPfPK15HIP_vector_typeIfLj2EEiiiiiiS1_IjLj3EES5_S5_.num_vgpr, 17
	.set _ZL33flash_attn_stream_k_fixup_uniformILi256ELi8ELi4EEvPfPK15HIP_vector_typeIfLj2EEiiiiiiS1_IjLj3EES5_S5_.num_agpr, 0
	.set _ZL33flash_attn_stream_k_fixup_uniformILi256ELi8ELi4EEvPfPK15HIP_vector_typeIfLj2EEiiiiiiS1_IjLj3EES5_S5_.numbered_sgpr, 24
	.set _ZL33flash_attn_stream_k_fixup_uniformILi256ELi8ELi4EEvPfPK15HIP_vector_typeIfLj2EEiiiiiiS1_IjLj3EES5_S5_.num_named_barrier, 0
	.set _ZL33flash_attn_stream_k_fixup_uniformILi256ELi8ELi4EEvPfPK15HIP_vector_typeIfLj2EEiiiiiiS1_IjLj3EES5_S5_.private_seg_size, 0
	.set _ZL33flash_attn_stream_k_fixup_uniformILi256ELi8ELi4EEvPfPK15HIP_vector_typeIfLj2EEiiiiiiS1_IjLj3EES5_S5_.uses_vcc, 1
	.set _ZL33flash_attn_stream_k_fixup_uniformILi256ELi8ELi4EEvPfPK15HIP_vector_typeIfLj2EEiiiiiiS1_IjLj3EES5_S5_.uses_flat_scratch, 0
	.set _ZL33flash_attn_stream_k_fixup_uniformILi256ELi8ELi4EEvPfPK15HIP_vector_typeIfLj2EEiiiiiiS1_IjLj3EES5_S5_.has_dyn_sized_stack, 0
	.set _ZL33flash_attn_stream_k_fixup_uniformILi256ELi8ELi4EEvPfPK15HIP_vector_typeIfLj2EEiiiiiiS1_IjLj3EES5_S5_.has_recursion, 0
	.set _ZL33flash_attn_stream_k_fixup_uniformILi256ELi8ELi4EEvPfPK15HIP_vector_typeIfLj2EEiiiiiiS1_IjLj3EES5_S5_.has_indirect_call, 0
	.section	.AMDGPU.csdata,"",@progbits
; Kernel info:
; codeLenInByte = 836
; TotalNumSgprs: 30
; NumVgprs: 17
; NumAgprs: 0
; TotalNumVgprs: 17
; ScratchSize: 0
; MemoryBound: 0
; FloatMode: 240
; IeeeMode: 1
; LDSByteSize: 0 bytes/workgroup (compile time only)
; SGPRBlocks: 3
; VGPRBlocks: 2
; NumSGPRsForWavesPerEU: 30
; NumVGPRsForWavesPerEU: 17
; AccumOffset: 20
; Occupancy: 8
; WaveLimiterHint : 0
; COMPUTE_PGM_RSRC2:SCRATCH_EN: 0
; COMPUTE_PGM_RSRC2:USER_SGPR: 2
; COMPUTE_PGM_RSRC2:TRAP_HANDLER: 0
; COMPUTE_PGM_RSRC2:TGID_X_EN: 1
; COMPUTE_PGM_RSRC2:TGID_Y_EN: 1
; COMPUTE_PGM_RSRC2:TGID_Z_EN: 1
; COMPUTE_PGM_RSRC2:TIDIG_COMP_CNT: 0
; COMPUTE_PGM_RSRC3_GFX90A:ACCUM_OFFSET: 4
; COMPUTE_PGM_RSRC3_GFX90A:TG_SPLIT: 0
	.section	.text._ZL33flash_attn_stream_k_fixup_generalILi256ELi8ELi4EEvPfPK15HIP_vector_typeIfLj2EEiiiiS1_IjLj3EES5_S5_S5_,"axG",@progbits,_ZL33flash_attn_stream_k_fixup_generalILi256ELi8ELi4EEvPfPK15HIP_vector_typeIfLj2EEiiiiS1_IjLj3EES5_S5_S5_,comdat
	.globl	_ZL33flash_attn_stream_k_fixup_generalILi256ELi8ELi4EEvPfPK15HIP_vector_typeIfLj2EEiiiiS1_IjLj3EES5_S5_S5_ ; -- Begin function _ZL33flash_attn_stream_k_fixup_generalILi256ELi8ELi4EEvPfPK15HIP_vector_typeIfLj2EEiiiiS1_IjLj3EES5_S5_S5_
	.p2align	8
	.type	_ZL33flash_attn_stream_k_fixup_generalILi256ELi8ELi4EEvPfPK15HIP_vector_typeIfLj2EEiiiiS1_IjLj3EES5_S5_S5_,@function
_ZL33flash_attn_stream_k_fixup_generalILi256ELi8ELi4EEvPfPK15HIP_vector_typeIfLj2EEiiiiS1_IjLj3EES5_S5_S5_: ; @_ZL33flash_attn_stream_k_fixup_generalILi256ELi8ELi4EEvPfPK15HIP_vector_typeIfLj2EEiiiiS1_IjLj3EES5_S5_S5_
; %bb.0:
	s_load_dwordx4 s[8:11], s[0:1], 0x10
	s_load_dword s22, s[0:1], 0x50
	s_mov_b32 s12, 0
	s_waitcnt lgkmcnt(0)
	s_mul_hi_i32 s13, s11, s2
	s_cmp_lg_u64 s[12:13], 0
	s_mul_i32 s5, s11, s2
	s_cbranch_scc0 .LBB32_20
; %bb.1:
	s_add_u32 s6, s22, 0
	s_addc_u32 s7, 0, 0
	s_xor_b64 s[6:7], s[6:7], 0
	v_cvt_f32_u32_e32 v1, s6
	v_cvt_f32_u32_e32 v2, s7
	s_sub_u32 s12, 0, s6
	s_subb_u32 s18, 0, s7
	v_fmamk_f32 v1, v2, 0x4f800000, v1
	v_rcp_f32_e32 v1, v1
	s_nop 0
	v_mul_f32_e32 v1, 0x5f7ffffc, v1
	v_mul_f32_e32 v2, 0x2f800000, v1
	v_trunc_f32_e32 v2, v2
	v_fmamk_f32 v1, v2, 0xcf800000, v1
	v_cvt_u32_f32_e32 v2, v2
	v_cvt_u32_f32_e32 v1, v1
	v_readfirstlane_b32 s19, v2
	v_readfirstlane_b32 s14, v1
	s_mul_i32 s15, s12, s19
	s_mul_hi_u32 s21, s12, s14
	s_mul_i32 s20, s18, s14
	s_add_i32 s15, s21, s15
	s_add_i32 s15, s15, s20
	s_mul_i32 s23, s12, s14
	s_mul_i32 s21, s14, s15
	s_mul_hi_u32 s24, s14, s23
	s_mul_hi_u32 s20, s14, s15
	s_add_u32 s21, s24, s21
	s_addc_u32 s20, 0, s20
	s_mul_hi_u32 s25, s19, s23
	s_mul_i32 s23, s19, s23
	s_add_u32 s21, s21, s23
	s_mul_hi_u32 s24, s19, s15
	s_addc_u32 s20, s20, s25
	s_addc_u32 s21, s24, 0
	s_mul_i32 s15, s19, s15
	s_add_u32 s15, s20, s15
	s_addc_u32 s20, 0, s21
	s_add_u32 s21, s14, s15
	s_cselect_b64 s[14:15], -1, 0
	s_cmp_lg_u64 s[14:15], 0
	s_addc_u32 s19, s19, s20
	s_mul_i32 s14, s12, s19
	s_mul_hi_u32 s15, s12, s21
	s_add_i32 s14, s15, s14
	s_mul_i32 s18, s18, s21
	s_add_i32 s14, s14, s18
	s_mul_i32 s12, s12, s21
	s_mul_hi_u32 s18, s19, s12
	s_mul_i32 s20, s19, s12
	s_mul_i32 s24, s21, s14
	s_mul_hi_u32 s12, s21, s12
	s_mul_hi_u32 s23, s21, s14
	s_add_u32 s12, s12, s24
	s_addc_u32 s23, 0, s23
	s_add_u32 s12, s12, s20
	s_mul_hi_u32 s15, s19, s14
	s_addc_u32 s12, s23, s18
	s_addc_u32 s15, s15, 0
	s_mul_i32 s14, s19, s14
	s_add_u32 s12, s12, s14
	s_addc_u32 s18, 0, s15
	s_add_u32 s20, s21, s12
	s_cselect_b64 s[14:15], -1, 0
	s_cmp_lg_u64 s[14:15], 0
	s_addc_u32 s18, s19, s18
	s_ashr_i32 s14, s13, 31
	s_add_u32 s12, s5, s14
	s_mov_b32 s15, s14
	s_addc_u32 s13, s13, s14
	s_xor_b64 s[12:13], s[12:13], s[14:15]
	s_mul_i32 s21, s12, s18
	s_mul_hi_u32 s23, s12, s20
	s_mul_hi_u32 s19, s12, s18
	s_add_u32 s21, s23, s21
	s_addc_u32 s19, 0, s19
	s_mul_hi_u32 s24, s13, s20
	s_mul_i32 s20, s13, s20
	s_add_u32 s20, s21, s20
	s_mul_hi_u32 s23, s13, s18
	s_addc_u32 s19, s19, s24
	s_addc_u32 s20, s23, 0
	s_mul_i32 s18, s13, s18
	s_add_u32 s23, s19, s18
	s_addc_u32 s24, 0, s20
	s_mul_i32 s18, s6, s24
	s_mul_hi_u32 s19, s6, s23
	s_add_i32 s18, s19, s18
	s_mul_i32 s19, s7, s23
	s_add_i32 s25, s18, s19
	s_sub_i32 s20, s13, s25
	s_mul_i32 s18, s6, s23
	s_sub_u32 s12, s12, s18
	s_cselect_b64 s[18:19], -1, 0
	s_cmp_lg_u64 s[18:19], 0
	s_subb_u32 s26, s20, s7
	s_sub_u32 s27, s12, s6
	s_cselect_b64 s[20:21], -1, 0
	s_cmp_lg_u64 s[20:21], 0
	s_subb_u32 s20, s26, 0
	s_cmp_ge_u32 s20, s7
	s_cselect_b32 s21, -1, 0
	s_cmp_ge_u32 s27, s6
	s_cselect_b32 s26, -1, 0
	s_cmp_eq_u32 s20, s7
	s_cselect_b32 s20, s26, s21
	s_add_u32 s21, s23, 1
	s_addc_u32 s26, s24, 0
	s_add_u32 s27, s23, 2
	s_addc_u32 s28, s24, 0
	s_cmp_lg_u32 s20, 0
	s_cselect_b32 s20, s27, s21
	s_cselect_b32 s21, s28, s26
	s_cmp_lg_u64 s[18:19], 0
	s_subb_u32 s13, s13, s25
	s_cmp_ge_u32 s13, s7
	s_cselect_b32 s18, -1, 0
	s_cmp_ge_u32 s12, s6
	s_cselect_b32 s6, -1, 0
	s_cmp_eq_u32 s13, s7
	s_cselect_b32 s6, s6, s18
	s_cmp_lg_u32 s6, 0
	s_cselect_b32 s7, s21, s24
	s_cselect_b32 s6, s20, s23
	s_xor_b64 s[12:13], s[14:15], 0
	s_xor_b64 s[6:7], s[6:7], s[12:13]
	s_sub_u32 s6, s6, s12
	s_load_dwordx4 s[12:15], s[0:1], 0x44
	s_cbranch_execnz .LBB32_3
.LBB32_2:
	v_cvt_f32_u32_e32 v1, s22
	s_sub_i32 s6, 0, s22
	v_rcp_iflag_f32_e32 v1, v1
	s_nop 0
	v_mul_f32_e32 v1, 0x4f7ffffe, v1
	v_cvt_u32_f32_e32 v1, v1
	s_nop 0
	v_readfirstlane_b32 s7, v1
	s_mul_i32 s6, s6, s7
	s_mul_hi_u32 s6, s7, s6
	s_add_i32 s7, s7, s6
	s_mul_hi_u32 s6, s5, s7
	s_waitcnt lgkmcnt(0)
	s_mul_i32 s15, s6, s22
	s_sub_i32 s5, s5, s15
	s_add_i32 s7, s6, 1
	s_sub_i32 s15, s5, s22
	s_cmp_ge_u32 s5, s22
	s_cselect_b32 s6, s7, s6
	s_cselect_b32 s5, s15, s5
	s_add_i32 s7, s6, 1
	s_cmp_ge_u32 s5, s22
	s_cselect_b32 s6, s7, s6
.LBB32_3:
	s_add_i32 s5, s2, 1
	s_mul_hi_i32 s21, s11, s5
	s_mov_b32 s20, 0
	s_cmp_lg_u64 s[20:21], 0
	s_mul_i32 s5, s11, s5
	s_cbranch_scc0 .LBB32_21
; %bb.4:
	s_add_u32 s16, s22, 0
	s_addc_u32 s17, 0, 0
	s_xor_b64 s[18:19], s[16:17], 0
	v_cvt_f32_u32_e32 v1, s18
	v_cvt_f32_u32_e32 v2, s19
	s_sub_u32 s7, 0, s18
	s_waitcnt lgkmcnt(0)
	s_subb_u32 s15, 0, s19
	v_fmamk_f32 v1, v2, 0x4f800000, v1
	v_rcp_f32_e32 v1, v1
	s_nop 0
	v_mul_f32_e32 v1, 0x5f7ffffc, v1
	v_mul_f32_e32 v2, 0x2f800000, v1
	v_trunc_f32_e32 v2, v2
	v_fmamk_f32 v1, v2, 0xcf800000, v1
	v_cvt_u32_f32_e32 v2, v2
	v_cvt_u32_f32_e32 v1, v1
	v_readfirstlane_b32 s20, v2
	v_readfirstlane_b32 s23, v1
	s_mul_i32 s24, s7, s20
	s_mul_hi_u32 s26, s7, s23
	s_mul_i32 s25, s15, s23
	s_add_i32 s24, s26, s24
	s_add_i32 s24, s24, s25
	s_mul_i32 s27, s7, s23
	s_mul_i32 s26, s23, s24
	s_mul_hi_u32 s28, s23, s27
	s_mul_hi_u32 s25, s23, s24
	s_add_u32 s26, s28, s26
	s_addc_u32 s25, 0, s25
	s_mul_hi_u32 s29, s20, s27
	s_mul_i32 s27, s20, s27
	s_add_u32 s26, s26, s27
	s_mul_hi_u32 s28, s20, s24
	s_addc_u32 s25, s25, s29
	s_addc_u32 s26, s28, 0
	s_mul_i32 s24, s20, s24
	s_add_u32 s24, s25, s24
	s_addc_u32 s26, 0, s26
	s_add_u32 s23, s23, s24
	s_cselect_b64 s[24:25], -1, 0
	s_cmp_lg_u64 s[24:25], 0
	s_addc_u32 s20, s20, s26
	s_mul_i32 s24, s7, s20
	s_mul_hi_u32 s25, s7, s23
	s_add_i32 s24, s25, s24
	s_mul_i32 s15, s15, s23
	s_add_i32 s24, s24, s15
	s_mul_i32 s7, s7, s23
	s_mul_hi_u32 s25, s20, s7
	s_mul_i32 s26, s20, s7
	s_mul_i32 s28, s23, s24
	s_mul_hi_u32 s7, s23, s7
	s_mul_hi_u32 s27, s23, s24
	s_add_u32 s7, s7, s28
	s_addc_u32 s27, 0, s27
	s_add_u32 s7, s7, s26
	s_mul_hi_u32 s15, s20, s24
	s_addc_u32 s7, s27, s25
	s_addc_u32 s15, s15, 0
	s_mul_i32 s24, s20, s24
	s_add_u32 s7, s7, s24
	s_addc_u32 s15, 0, s15
	s_add_u32 s7, s23, s7
	s_cselect_b64 s[24:25], -1, 0
	s_cmp_lg_u64 s[24:25], 0
	s_addc_u32 s15, s20, s15
	s_ashr_i32 s24, s21, 31
	s_add_u32 s20, s5, s24
	s_mov_b32 s25, s24
	s_addc_u32 s21, s21, s24
	s_xor_b64 s[20:21], s[20:21], s[24:25]
	s_mul_i32 s26, s20, s15
	s_mul_hi_u32 s27, s20, s7
	s_mul_hi_u32 s23, s20, s15
	s_add_u32 s26, s27, s26
	s_addc_u32 s23, 0, s23
	s_mul_hi_u32 s28, s21, s7
	s_mul_i32 s7, s21, s7
	s_add_u32 s7, s26, s7
	s_mul_hi_u32 s27, s21, s15
	s_addc_u32 s7, s23, s28
	s_addc_u32 s23, s27, 0
	s_mul_i32 s15, s21, s15
	s_add_u32 s7, s7, s15
	s_addc_u32 s15, 0, s23
	s_mul_i32 s23, s18, s15
	s_mul_hi_u32 s26, s18, s7
	s_add_i32 s23, s26, s23
	s_mul_i32 s26, s19, s7
	s_add_i32 s23, s23, s26
	s_sub_i32 s28, s21, s23
	s_mul_i32 s26, s18, s7
	s_sub_u32 s20, s20, s26
	s_cselect_b64 s[26:27], -1, 0
	s_cmp_lg_u64 s[26:27], 0
	s_subb_u32 s30, s28, s19
	s_sub_u32 s31, s20, s18
	s_cselect_b64 s[28:29], -1, 0
	s_cmp_lg_u64 s[28:29], 0
	s_subb_u32 s28, s30, 0
	s_cmp_ge_u32 s28, s19
	s_cselect_b32 s29, -1, 0
	s_cmp_ge_u32 s31, s18
	s_cselect_b32 s30, -1, 0
	s_cmp_eq_u32 s28, s19
	s_cselect_b32 s28, s30, s29
	s_add_u32 s29, s7, 1
	s_addc_u32 s30, s15, 0
	s_add_u32 s31, s7, 2
	s_addc_u32 s33, s15, 0
	s_cmp_lg_u32 s28, 0
	s_cselect_b32 s28, s31, s29
	s_cselect_b32 s29, s33, s30
	s_cmp_lg_u64 s[26:27], 0
	s_subb_u32 s21, s21, s23
	s_cmp_ge_u32 s21, s19
	s_cselect_b32 s23, -1, 0
	s_cmp_ge_u32 s20, s18
	s_cselect_b32 s18, -1, 0
	s_cmp_eq_u32 s21, s19
	s_cselect_b32 s18, s18, s23
	s_cmp_lg_u32 s18, 0
	s_cselect_b32 s19, s29, s15
	s_cselect_b32 s18, s28, s7
	s_xor_b64 s[20:21], s[24:25], 0
	s_xor_b64 s[18:19], s[18:19], s[20:21]
	s_sub_u32 s18, s18, s20
	s_cbranch_execnz .LBB32_6
.LBB32_5:
	v_cvt_f32_u32_e32 v1, s22
	s_sub_i32 s7, 0, s22
	v_rcp_iflag_f32_e32 v1, v1
	s_nop 0
	v_mul_f32_e32 v1, 0x4f7ffffe, v1
	v_cvt_u32_f32_e32 v1, v1
	s_waitcnt lgkmcnt(0)
	v_readfirstlane_b32 s15, v1
	s_mul_i32 s7, s7, s15
	s_mul_hi_u32 s7, s15, s7
	s_add_i32 s15, s15, s7
	s_mul_hi_u32 s7, s5, s15
	s_mul_i32 s16, s7, s22
	s_sub_i32 s5, s5, s16
	s_add_i32 s15, s7, 1
	s_sub_i32 s16, s5, s22
	s_cmp_ge_u32 s5, s22
	s_cselect_b32 s7, s15, s7
	s_cselect_b32 s5, s16, s5
	s_add_i32 s15, s7, 1
	s_cmp_ge_u32 s5, s22
	s_cselect_b32 s18, s15, s7
.LBB32_6:
	s_cmp_eq_u32 s6, s18
	s_waitcnt lgkmcnt(0)
	s_mul_hi_u32 s5, s6, s12
	s_cselect_b64 s[16:17], -1, 0
	s_add_i32 s5, s5, s6
	s_lshr_b32 s7, s5, s13
	s_mul_i32 s5, s7, s14
	s_cmp_eq_u32 s5, s6
	s_mul_hi_u32 s5, s18, s12
	s_cselect_b64 s[20:21], -1, 0
	s_add_i32 s5, s5, s18
	s_lshr_b32 s5, s5, s13
	s_cmp_eq_u32 s7, s5
	s_mul_i32 s5, s5, s14
	s_cselect_b64 s[24:25], -1, 0
	s_cmp_lg_u32 s5, s18
	s_cselect_b64 s[18:19], -1, 0
	s_and_b64 s[18:19], s[24:25], s[18:19]
	s_or_b64 s[16:17], s[16:17], s[20:21]
	s_or_b64 s[16:17], s[16:17], s[18:19]
	s_and_b64 vcc, exec, s[16:17]
	s_cbranch_vccnz .LBB32_23
; %bb.7:
	s_load_dwordx8 s[24:31], s[0:1], 0x20
	s_load_dword s15, s[0:1], 0x40
	s_waitcnt lgkmcnt(0)
	s_mul_hi_u32 s5, s6, s24
	s_add_i32 s5, s5, s6
	s_lshr_b32 s5, s5, s25
	s_mul_i32 s16, s5, s26
	s_sub_i32 s16, s6, s16
	s_mul_hi_u32 s17, s16, s27
	s_add_i32 s17, s16, s17
	s_lshr_b32 s20, s17, s28
	s_mul_i32 s17, s20, s29
	s_sub_i32 s16, s16, s17
	;; [unrolled: 5-line block ×3, first 2 shown]
	s_mul_hi_u32 s16, s15, s12
	s_add_i32 s15, s15, s16
	s_lshr_b32 s23, s15, s13
	s_lshl_b32 s15, s23, 3
	s_lshl_b32 s21, s17, 2
	s_add_i32 s15, s15, s3
	s_cmp_lt_i32 s15, s8
	s_cselect_b64 s[16:17], -1, 0
	s_add_i32 s15, s21, s4
	s_cmp_lt_i32 s15, s10
	s_cselect_b64 s[18:19], -1, 0
	s_and_b64 s[16:17], s[16:17], s[18:19]
	s_andn2_b64 vcc, exec, s[16:17]
	s_cbranch_vccnz .LBB32_23
; %bb.8:
	s_load_dwordx4 s[16:19], s[0:1], 0x0
	s_mov_b32 s0, 0
	s_lshl_b32 s15, s3, 2
	s_lshl_b32 s24, s22, 7
	s_mov_b32 s25, s0
	s_add_i32 s15, s15, s4
	s_waitcnt lgkmcnt(0)
	v_mov_b32_e32 v2, s16
	v_mov_b32_e32 v3, s17
	s_lshl_b64 s[16:17], s[24:25], 2
	s_add_u32 s16, s18, s16
	s_mul_i32 s1, s5, s8
	s_addc_u32 s17, s19, s17
	s_add_i32 s1, s1, s3
	s_mul_i32 s1, s1, s9
	s_mul_i32 s20, s20, s10
	s_add_i32 s1, s1, s4
	s_add_i32 s1, s1, s20
	s_mul_i32 s5, s9, s23
	s_add_i32 s1, s1, s21
	s_lshl_b32 s5, s5, 11
	s_lshl_b32 s1, s1, 8
	s_add_i32 s5, s5, s1
	v_or_b32_e32 v4, s5, v0
	v_ashrrev_i32_e32 v5, 31, v4
	v_lshl_add_u64 v[2:3], v[4:5], 2, v[2:3]
	global_load_dword v1, v[2:3], off
	v_cvt_f32_u32_e32 v4, s22
	s_lshl_b32 s1, s2, 5
	s_add_i32 s4, s15, s1
	s_ashr_i32 s5, s4, 31
	s_lshl_b64 s[4:5], s[4:5], 3
	v_rcp_iflag_f32_e32 v4, v4
	s_add_u32 s4, s18, s4
	s_addc_u32 s5, s19, s5
	s_load_dwordx2 s[4:5], s[4:5], 0x0
	v_mul_f32_e32 v4, 0x4f7ffffe, v4
	v_cvt_u32_f32_e32 v7, v4
	s_add_i32 s24, s2, -1
	v_lshl_or_b32 v6, s15, 8, v0
	s_waitcnt lgkmcnt(0)
	v_mov_b32_e32 v0, s5
	v_mov_b32_e32 v9, s4
	s_mov_b32 s10, 0x3fb8aa3b
	s_mov_b32 s20, 0xc2ce8ed0
	;; [unrolled: 1-line block ×4, first 2 shown]
	v_mov_b32_e32 v8, 0x7f800000
	s_mul_hi_i32 s1, s24, s11
	s_cmp_lg_u64 s[0:1], 0
	s_mul_i32 s8, s24, s11
	s_cbranch_scc0 .LBB32_19
.LBB32_9:
	s_add_u32 s2, s22, 0
	s_addc_u32 s3, 0, 0
	s_xor_b64 s[2:3], s[2:3], 0
	v_cvt_f32_u32_e32 v4, s2
	v_cvt_f32_u32_e32 v5, s3
	s_sub_u32 s9, 0, s2
	s_subb_u32 s25, 0, s3
	v_fmac_f32_e32 v4, 0x4f800000, v5
	v_rcp_f32_e32 v4, v4
	s_nop 0
	v_mul_f32_e32 v4, 0x5f7ffffc, v4
	v_mul_f32_e32 v5, 0x2f800000, v4
	v_trunc_f32_e32 v5, v5
	v_fmac_f32_e32 v4, 0xcf800000, v5
	v_cvt_u32_f32_e32 v5, v5
	v_cvt_u32_f32_e32 v4, v4
	v_readfirstlane_b32 s26, v5
	v_readfirstlane_b32 s4, v4
	s_mul_i32 s5, s9, s26
	s_mul_hi_u32 s28, s9, s4
	s_mul_i32 s27, s25, s4
	s_add_i32 s5, s28, s5
	s_mul_i32 s29, s9, s4
	s_add_i32 s5, s5, s27
	s_mul_i32 s28, s4, s5
	s_mul_hi_u32 s30, s4, s29
	s_mul_hi_u32 s27, s4, s5
	s_add_u32 s28, s30, s28
	s_addc_u32 s27, 0, s27
	s_mul_hi_u32 s31, s26, s29
	s_mul_i32 s29, s26, s29
	s_add_u32 s28, s28, s29
	s_mul_hi_u32 s30, s26, s5
	s_addc_u32 s27, s27, s31
	s_addc_u32 s28, s30, 0
	s_mul_i32 s5, s26, s5
	s_add_u32 s5, s27, s5
	s_addc_u32 s27, 0, s28
	s_add_u32 s28, s4, s5
	s_cselect_b64 s[4:5], -1, 0
	s_cmp_lg_u64 s[4:5], 0
	s_addc_u32 s26, s26, s27
	s_mul_i32 s4, s9, s26
	s_mul_hi_u32 s5, s9, s28
	s_add_i32 s4, s5, s4
	s_mul_i32 s25, s25, s28
	s_add_i32 s4, s4, s25
	s_mul_i32 s9, s9, s28
	s_mul_hi_u32 s25, s26, s9
	s_mul_i32 s27, s26, s9
	s_mul_i32 s30, s28, s4
	s_mul_hi_u32 s9, s28, s9
	s_mul_hi_u32 s29, s28, s4
	s_add_u32 s9, s9, s30
	s_addc_u32 s29, 0, s29
	s_add_u32 s9, s9, s27
	s_mul_hi_u32 s5, s26, s4
	s_addc_u32 s9, s29, s25
	s_addc_u32 s5, s5, 0
	s_mul_i32 s4, s26, s4
	s_add_u32 s4, s9, s4
	s_addc_u32 s9, 0, s5
	s_add_u32 s25, s28, s4
	s_cselect_b64 s[4:5], -1, 0
	s_cmp_lg_u64 s[4:5], 0
	s_addc_u32 s9, s26, s9
	s_ashr_i32 s4, s1, 31
	s_add_u32 s26, s8, s4
	s_mov_b32 s5, s4
	s_addc_u32 s27, s1, s4
	s_xor_b64 s[26:27], s[26:27], s[4:5]
	s_mul_i32 s28, s26, s9
	s_mul_hi_u32 s29, s26, s25
	s_mul_hi_u32 s1, s26, s9
	s_add_u32 s28, s29, s28
	s_addc_u32 s1, 0, s1
	s_mul_hi_u32 s30, s27, s25
	s_mul_i32 s25, s27, s25
	s_add_u32 s25, s28, s25
	s_mul_hi_u32 s29, s27, s9
	s_addc_u32 s1, s1, s30
	s_addc_u32 s25, s29, 0
	s_mul_i32 s9, s27, s9
	s_add_u32 s1, s1, s9
	s_addc_u32 s9, 0, s25
	s_mul_i32 s25, s2, s9
	s_mul_hi_u32 s28, s2, s1
	s_add_i32 s25, s28, s25
	s_mul_i32 s28, s3, s1
	s_add_i32 s25, s25, s28
	s_sub_i32 s30, s27, s25
	s_mul_i32 s28, s2, s1
	s_sub_u32 s26, s26, s28
	s_cselect_b64 s[28:29], -1, 0
	s_cmp_lg_u64 s[28:29], 0
	s_subb_u32 s33, s30, s3
	s_sub_u32 s34, s26, s2
	s_cselect_b64 s[30:31], -1, 0
	s_cmp_lg_u64 s[30:31], 0
	s_subb_u32 s30, s33, 0
	s_cmp_ge_u32 s30, s3
	s_cselect_b32 s31, -1, 0
	s_cmp_ge_u32 s34, s2
	s_cselect_b32 s33, -1, 0
	s_cmp_eq_u32 s30, s3
	s_cselect_b32 s30, s33, s31
	s_add_u32 s31, s1, 1
	s_addc_u32 s33, s9, 0
	s_add_u32 s34, s1, 2
	s_addc_u32 s35, s9, 0
	s_cmp_lg_u32 s30, 0
	s_cselect_b32 s30, s34, s31
	s_cselect_b32 s31, s35, s33
	s_cmp_lg_u64 s[28:29], 0
	s_subb_u32 s25, s27, s25
	s_cmp_ge_u32 s25, s3
	s_cselect_b32 s27, -1, 0
	s_cmp_ge_u32 s26, s2
	s_cselect_b32 s2, -1, 0
	s_cmp_eq_u32 s25, s3
	s_cselect_b32 s2, s2, s27
	s_cmp_lg_u32 s2, 0
	s_cselect_b32 s3, s31, s9
	s_cselect_b32 s2, s30, s1
	s_xor_b64 s[4:5], s[4:5], 0
	s_xor_b64 s[2:3], s[2:3], s[4:5]
	s_sub_u32 s4, s2, s4
	s_cbranch_execnz .LBB32_11
.LBB32_10:
	s_sub_i32 s1, 0, s22
	v_readfirstlane_b32 s2, v7
	s_mul_i32 s1, s1, s2
	s_mul_hi_u32 s1, s2, s1
	s_add_i32 s2, s2, s1
	s_mul_hi_u32 s1, s8, s2
	s_mul_i32 s3, s1, s22
	s_sub_i32 s3, s8, s3
	s_add_i32 s2, s1, 1
	s_sub_i32 s4, s3, s22
	s_cmp_ge_u32 s3, s22
	s_cselect_b32 s1, s2, s1
	s_cselect_b32 s3, s4, s3
	s_add_i32 s2, s1, 1
	s_cmp_ge_u32 s3, s22
	s_cselect_b32 s4, s2, s1
.LBB32_11:
	s_cmp_lg_u32 s6, s4
	s_cbranch_scc0 .LBB32_15
; %bb.12:
	s_add_i32 s1, s24, s22
	s_lshl_b32 s1, s1, 5
	s_add_i32 s2, s1, s15
	s_mov_b32 s3, s0
	s_lshl_b64 s[2:3], s[2:3], 3
	s_add_u32 s8, s18, s2
	s_mul_hi_u32 s1, s4, s12
	s_addc_u32 s9, s19, s3
	s_add_i32 s1, s1, s4
	s_lshr_b32 s1, s1, s13
	s_mul_i32 s2, s1, s14
	s_cmp_eq_u32 s2, s4
	s_cselect_b64 s[2:3], -1, 0
	s_cmp_lt_u32 s1, s7
	s_cselect_b64 s[26:27], -1, 0
	s_or_b64 s[26:27], s[26:27], s[2:3]
	s_mov_b64 s[2:3], -1
	s_and_b64 vcc, exec, s[26:27]
	s_mov_b32 s1, s24
	s_mov_b32 s25, s6
	s_cbranch_vccnz .LBB32_14
; %bb.13:
	s_add_i32 s1, s24, -1
	s_mov_b64 s[2:3], 0
	s_mov_b32 s25, s4
.LBB32_14:
	v_lshl_add_u32 v4, s24, 13, v6
	v_ashrrev_i32_e32 v5, 31, v4
	v_lshl_add_u64 v[4:5], v[4:5], 2, s[16:17]
	global_load_dword v5, v[4:5], off
	s_load_dwordx2 s[4:5], s[8:9], 0x0
	v_max_f32_e32 v4, v9, v9
	s_waitcnt lgkmcnt(0)
	v_max_f32_e64 v10, s4, s4
	v_max_f32_e32 v10, v4, v10
	v_sub_f32_e32 v11, v9, v10
	v_sub_f32_e32 v13, s4, v10
	v_mul_f32_e32 v4, 0x3fb8aa3b, v11
	v_mul_f32_e32 v12, 0x3fb8aa3b, v13
	v_fma_f32 v14, v11, s10, -v4
	v_rndne_f32_e32 v15, v4
	v_fma_f32 v16, v13, s10, -v12
	v_rndne_f32_e32 v17, v12
	v_fmac_f32_e32 v14, 0x32a5705f, v11
	v_sub_f32_e32 v4, v4, v15
	v_fmac_f32_e32 v16, 0x32a5705f, v13
	v_sub_f32_e32 v12, v12, v17
	v_add_f32_e32 v4, v4, v14
	v_cvt_i32_f32_e32 v15, v15
	v_add_f32_e32 v12, v12, v16
	v_exp_f32_e32 v14, v4
	v_cvt_i32_f32_e32 v17, v17
	v_exp_f32_e32 v12, v12
	v_cmp_ngt_f32_e32 vcc, s20, v11
	v_ldexp_f32 v14, v14, v15
	v_mov_b32_e32 v4, s5
	v_ldexp_f32 v12, v12, v17
	v_cndmask_b32_e32 v14, 0, v14, vcc
	v_cmp_ngt_f32_e32 vcc, s20, v13
	s_nop 1
	v_cndmask_b32_e32 v12, 0, v12, vcc
	v_cmp_nlt_f32_e32 vcc, s21, v11
	s_nop 1
	v_cndmask_b32_e32 v14, v8, v14, vcc
	v_cmp_nlt_f32_e32 vcc, s21, v13
	s_nop 1
	v_cndmask_b32_e32 v15, v8, v12, vcc
	v_cmp_le_f32_e32 vcc, s23, v11
	s_nop 1
	v_cndmask_b32_e32 v12, 0, v14, vcc
	v_cmp_le_f32_e32 vcc, s23, v13
	s_nop 1
	v_cndmask_b32_e32 v14, 0, v15, vcc
	s_waitcnt vmcnt(0)
	v_pk_mul_f32 v[4:5], v[4:5], v[14:15] op_sel_hi:[1,0]
	s_nop 0
	v_pk_fma_f32 v[4:5], v[0:1], v[12:13], v[4:5] op_sel_hi:[1,0,1]
	s_cbranch_execz .LBB32_16
	s_branch .LBB32_17
.LBB32_15:
                                        ; implicit-def: $vgpr4_vgpr5
                                        ; implicit-def: $sgpr2_sgpr3
                                        ; implicit-def: $vgpr10
                                        ; implicit-def: $sgpr1
                                        ; implicit-def: $sgpr25
.LBB32_16:
	s_add_i32 s1, s24, -1
	s_mov_b64 s[2:3], 0
	s_mov_b32 s25, s6
	v_mov_b32_e32 v10, v9
	s_waitcnt vmcnt(0)
	v_mov_b64_e32 v[4:5], v[0:1]
.LBB32_17:
	s_andn2_b64 vcc, exec, s[2:3]
	s_cbranch_vccz .LBB32_22
; %bb.18:
	s_mov_b32 s6, s25
	s_mov_b32 s24, s1
	v_mov_b32_e32 v9, v10
	s_waitcnt vmcnt(0)
	v_mov_b64_e32 v[0:1], v[4:5]
	s_mul_hi_i32 s1, s24, s11
	s_cmp_lg_u64 s[0:1], 0
	s_mul_i32 s8, s24, s11
	s_cbranch_scc1 .LBB32_9
.LBB32_19:
                                        ; implicit-def: $sgpr4_sgpr5
	s_branch .LBB32_10
.LBB32_20:
                                        ; implicit-def: $sgpr6_sgpr7
	s_load_dwordx4 s[12:15], s[0:1], 0x44
	s_branch .LBB32_2
.LBB32_21:
                                        ; implicit-def: $sgpr18_sgpr19
	s_branch .LBB32_5
.LBB32_22:
	v_div_scale_f32 v0, s[0:1], v4, v4, v5
	s_waitcnt vmcnt(0)
	v_rcp_f32_e32 v1, v0
	v_div_scale_f32 v6, vcc, v5, v4, v5
	v_fma_f32 v7, -v0, v1, 1.0
	v_fmac_f32_e32 v1, v7, v1
	v_mul_f32_e32 v7, v6, v1
	v_fma_f32 v8, -v0, v7, v6
	v_fmac_f32_e32 v7, v8, v1
	v_fma_f32 v0, -v0, v7, v6
	v_div_fmas_f32 v0, v0, v1, v7
	v_div_fixup_f32 v0, v0, v4, v5
	global_store_dword v[2:3], v0, off
.LBB32_23:
	s_endpgm
	.section	.rodata,"a",@progbits
	.p2align	6, 0x0
	.amdhsa_kernel _ZL33flash_attn_stream_k_fixup_generalILi256ELi8ELi4EEvPfPK15HIP_vector_typeIfLj2EEiiiiS1_IjLj3EES5_S5_S5_
		.amdhsa_group_segment_fixed_size 0
		.amdhsa_private_segment_fixed_size 0
		.amdhsa_kernarg_size 336
		.amdhsa_user_sgpr_count 2
		.amdhsa_user_sgpr_dispatch_ptr 0
		.amdhsa_user_sgpr_queue_ptr 0
		.amdhsa_user_sgpr_kernarg_segment_ptr 1
		.amdhsa_user_sgpr_dispatch_id 0
		.amdhsa_user_sgpr_kernarg_preload_length 0
		.amdhsa_user_sgpr_kernarg_preload_offset 0
		.amdhsa_user_sgpr_private_segment_size 0
		.amdhsa_uses_dynamic_stack 0
		.amdhsa_enable_private_segment 0
		.amdhsa_system_sgpr_workgroup_id_x 1
		.amdhsa_system_sgpr_workgroup_id_y 1
		.amdhsa_system_sgpr_workgroup_id_z 1
		.amdhsa_system_sgpr_workgroup_info 0
		.amdhsa_system_vgpr_workitem_id 0
		.amdhsa_next_free_vgpr 18
		.amdhsa_next_free_sgpr 36
		.amdhsa_accum_offset 20
		.amdhsa_reserve_vcc 1
		.amdhsa_float_round_mode_32 0
		.amdhsa_float_round_mode_16_64 0
		.amdhsa_float_denorm_mode_32 3
		.amdhsa_float_denorm_mode_16_64 3
		.amdhsa_dx10_clamp 1
		.amdhsa_ieee_mode 1
		.amdhsa_fp16_overflow 0
		.amdhsa_tg_split 0
		.amdhsa_exception_fp_ieee_invalid_op 0
		.amdhsa_exception_fp_denorm_src 0
		.amdhsa_exception_fp_ieee_div_zero 0
		.amdhsa_exception_fp_ieee_overflow 0
		.amdhsa_exception_fp_ieee_underflow 0
		.amdhsa_exception_fp_ieee_inexact 0
		.amdhsa_exception_int_div_zero 0
	.end_amdhsa_kernel
	.section	.text._ZL33flash_attn_stream_k_fixup_generalILi256ELi8ELi4EEvPfPK15HIP_vector_typeIfLj2EEiiiiS1_IjLj3EES5_S5_S5_,"axG",@progbits,_ZL33flash_attn_stream_k_fixup_generalILi256ELi8ELi4EEvPfPK15HIP_vector_typeIfLj2EEiiiiS1_IjLj3EES5_S5_S5_,comdat
.Lfunc_end32:
	.size	_ZL33flash_attn_stream_k_fixup_generalILi256ELi8ELi4EEvPfPK15HIP_vector_typeIfLj2EEiiiiS1_IjLj3EES5_S5_S5_, .Lfunc_end32-_ZL33flash_attn_stream_k_fixup_generalILi256ELi8ELi4EEvPfPK15HIP_vector_typeIfLj2EEiiiiS1_IjLj3EES5_S5_S5_
                                        ; -- End function
	.set _ZL33flash_attn_stream_k_fixup_generalILi256ELi8ELi4EEvPfPK15HIP_vector_typeIfLj2EEiiiiS1_IjLj3EES5_S5_S5_.num_vgpr, 18
	.set _ZL33flash_attn_stream_k_fixup_generalILi256ELi8ELi4EEvPfPK15HIP_vector_typeIfLj2EEiiiiS1_IjLj3EES5_S5_S5_.num_agpr, 0
	.set _ZL33flash_attn_stream_k_fixup_generalILi256ELi8ELi4EEvPfPK15HIP_vector_typeIfLj2EEiiiiS1_IjLj3EES5_S5_S5_.numbered_sgpr, 36
	.set _ZL33flash_attn_stream_k_fixup_generalILi256ELi8ELi4EEvPfPK15HIP_vector_typeIfLj2EEiiiiS1_IjLj3EES5_S5_S5_.num_named_barrier, 0
	.set _ZL33flash_attn_stream_k_fixup_generalILi256ELi8ELi4EEvPfPK15HIP_vector_typeIfLj2EEiiiiS1_IjLj3EES5_S5_S5_.private_seg_size, 0
	.set _ZL33flash_attn_stream_k_fixup_generalILi256ELi8ELi4EEvPfPK15HIP_vector_typeIfLj2EEiiiiS1_IjLj3EES5_S5_S5_.uses_vcc, 1
	.set _ZL33flash_attn_stream_k_fixup_generalILi256ELi8ELi4EEvPfPK15HIP_vector_typeIfLj2EEiiiiS1_IjLj3EES5_S5_S5_.uses_flat_scratch, 0
	.set _ZL33flash_attn_stream_k_fixup_generalILi256ELi8ELi4EEvPfPK15HIP_vector_typeIfLj2EEiiiiS1_IjLj3EES5_S5_S5_.has_dyn_sized_stack, 0
	.set _ZL33flash_attn_stream_k_fixup_generalILi256ELi8ELi4EEvPfPK15HIP_vector_typeIfLj2EEiiiiS1_IjLj3EES5_S5_S5_.has_recursion, 0
	.set _ZL33flash_attn_stream_k_fixup_generalILi256ELi8ELi4EEvPfPK15HIP_vector_typeIfLj2EEiiiiS1_IjLj3EES5_S5_S5_.has_indirect_call, 0
	.section	.AMDGPU.csdata,"",@progbits
; Kernel info:
; codeLenInByte = 2940
; TotalNumSgprs: 42
; NumVgprs: 18
; NumAgprs: 0
; TotalNumVgprs: 18
; ScratchSize: 0
; MemoryBound: 0
; FloatMode: 240
; IeeeMode: 1
; LDSByteSize: 0 bytes/workgroup (compile time only)
; SGPRBlocks: 5
; VGPRBlocks: 2
; NumSGPRsForWavesPerEU: 42
; NumVGPRsForWavesPerEU: 18
; AccumOffset: 20
; Occupancy: 8
; WaveLimiterHint : 0
; COMPUTE_PGM_RSRC2:SCRATCH_EN: 0
; COMPUTE_PGM_RSRC2:USER_SGPR: 2
; COMPUTE_PGM_RSRC2:TRAP_HANDLER: 0
; COMPUTE_PGM_RSRC2:TGID_X_EN: 1
; COMPUTE_PGM_RSRC2:TGID_Y_EN: 1
; COMPUTE_PGM_RSRC2:TGID_Z_EN: 1
; COMPUTE_PGM_RSRC2:TIDIG_COMP_CNT: 0
; COMPUTE_PGM_RSRC3_GFX90A:ACCUM_OFFSET: 4
; COMPUTE_PGM_RSRC3_GFX90A:TG_SPLIT: 0
	.section	.text._ZL26flash_attn_combine_resultsILi256EEvPKfPK15HIP_vector_typeIfLj2EEPfi,"axG",@progbits,_ZL26flash_attn_combine_resultsILi256EEvPKfPK15HIP_vector_typeIfLj2EEPfi,comdat
	.globl	_ZL26flash_attn_combine_resultsILi256EEvPKfPK15HIP_vector_typeIfLj2EEPfi ; -- Begin function _ZL26flash_attn_combine_resultsILi256EEvPKfPK15HIP_vector_typeIfLj2EEPfi
	.p2align	8
	.type	_ZL26flash_attn_combine_resultsILi256EEvPKfPK15HIP_vector_typeIfLj2EEPfi,@function
_ZL26flash_attn_combine_resultsILi256EEvPKfPK15HIP_vector_typeIfLj2EEPfi: ; @_ZL26flash_attn_combine_resultsILi256EEvPKfPK15HIP_vector_typeIfLj2EEPfi
; %bb.0:
	s_load_dwordx2 s[6:7], s[0:1], 0x20
	s_load_dword s19, s[0:1], 0x18
	s_load_dwordx4 s[8:11], s[0:1], 0x0
	s_load_dwordx2 s[14:15], s[0:1], 0x10
	s_waitcnt lgkmcnt(0)
	s_mul_i32 s0, s6, s4
	s_add_i32 s0, s0, s2
	s_mul_i32 s18, s0, s7
	s_add_i32 s18, s18, s3
	s_lshl_b32 s20, s19, 1
	s_mul_i32 s2, s18, s19
	v_cmp_gt_i32_e32 vcc, s20, v0
	s_and_saveexec_b64 s[0:1], vcc
	s_cbranch_execz .LBB33_13
; %bb.1:
	v_xad_u32 v1, v0, -1, s20
	s_movk_i32 s4, 0xff
	s_ashr_i32 s3, s2, 31
	v_cmp_lt_u32_e32 vcc, s4, v1
	s_mov_b64 s[6:7], -1
	v_mov_b32_e32 v2, v0
	s_and_saveexec_b64 s[4:5], vcc
	s_cbranch_execz .LBB33_10
; %bb.2:
	v_lshrrev_b32_e32 v6, 8, v1
	s_lshl_b64 s[6:7], s[2:3], 3
	v_add_u32_e32 v2, -1, v6
	s_add_u32 s6, s10, s6
	v_or_b32_e32 v1, 0x100, v0
	v_lshrrev_b32_e32 v3, 1, v2
	s_addc_u32 s7, s11, s7
	s_mov_b32 s21, 0
	v_add_u32_e32 v7, 1, v3
	v_cmp_lt_u32_e32 vcc, 13, v2
	v_mov_b32_e32 v4, 0
	v_mov_b64_e32 v[2:3], v[0:1]
	s_and_saveexec_b64 s[12:13], vcc
	s_cbranch_execz .LBB33_6
; %bb.3:
	v_and_b32_e32 v8, -8, v7
	v_lshl_add_u32 v9, v0, 2, 0
	s_mov_b64 s[16:17], 0
	v_mov_b32_e32 v5, 0
	v_mov_b64_e32 v[2:3], v[0:1]
.LBB33_4:                               ; =>This Inner Loop Header: Depth=1
	v_mov_b32_e32 v4, v2
	v_lshl_add_u64 v[24:25], v[4:5], 2, s[6:7]
	v_mov_b32_e32 v4, v3
	v_add_u32_e32 v10, 0x200, v3
	v_mov_b32_e32 v11, v5
	v_lshl_add_u64 v[26:27], v[4:5], 2, s[6:7]
	v_add_u32_e32 v4, 0x200, v2
	v_lshl_add_u64 v[10:11], v[10:11], 2, s[6:7]
	global_load_dword v1, v[24:25], off
	v_lshl_add_u64 v[24:25], v[4:5], 2, s[6:7]
	v_add_u32_e32 v4, 0x400, v2
	global_load_dword v28, v[26:27], off
	global_load_dword v29, v[24:25], off
	global_load_dword v30, v[10:11], off
	v_lshl_add_u64 v[10:11], v[4:5], 2, s[6:7]
	v_add_u32_e32 v4, 0x600, v2
	v_add_u32_e32 v12, 0x400, v3
	v_mov_b32_e32 v13, v5
	v_add_u32_e32 v14, 0x600, v3
	v_mov_b32_e32 v15, v5
	v_lshl_add_u64 v[24:25], v[4:5], 2, s[6:7]
	v_add_u32_e32 v4, 0x800, v2
	v_lshl_add_u64 v[12:13], v[12:13], 2, s[6:7]
	v_lshl_add_u64 v[14:15], v[14:15], 2, s[6:7]
	global_load_dword v26, v[10:11], off
	global_load_dword v27, v[12:13], off
	;; [unrolled: 1-line block ×4, first 2 shown]
	v_lshl_add_u64 v[10:11], v[4:5], 2, s[6:7]
	v_add_u32_e32 v4, 0xa00, v2
	v_add_u32_e32 v16, 0x800, v3
	v_mov_b32_e32 v17, v5
	v_add_u32_e32 v18, 0xa00, v3
	v_mov_b32_e32 v19, v5
	v_lshl_add_u64 v[12:13], v[4:5], 2, s[6:7]
	v_add_u32_e32 v4, 0xc00, v2
	v_add_u32_e32 v20, 0xc00, v3
	v_mov_b32_e32 v21, v5
	v_add_u32_e32 v22, 0xe00, v3
	v_mov_b32_e32 v23, v5
	v_lshl_add_u64 v[16:17], v[16:17], 2, s[6:7]
	v_lshl_add_u64 v[18:19], v[18:19], 2, s[6:7]
	global_load_dword v14, v[10:11], off
	global_load_dword v15, v[16:17], off
	;; [unrolled: 1-line block ×4, first 2 shown]
	v_lshl_add_u64 v[10:11], v[4:5], 2, s[6:7]
	v_add_u32_e32 v4, 0xe00, v2
	v_lshl_add_u64 v[20:21], v[20:21], 2, s[6:7]
	v_lshl_add_u64 v[22:23], v[22:23], 2, s[6:7]
	;; [unrolled: 1-line block ×3, first 2 shown]
	global_load_dword v16, v[10:11], off
	global_load_dword v17, v[20:21], off
	;; [unrolled: 1-line block ×4, first 2 shown]
	v_add_u32_e32 v8, -8, v8
	s_add_i32 s21, s21, 16
	v_cmp_eq_u32_e32 vcc, 0, v8
	v_add_u32_e32 v3, 0x1000, v3
	v_mov_b32_e32 v4, s21
	s_or_b64 s[16:17], vcc, s[16:17]
	v_add_u32_e32 v2, 0x1000, v2
	s_waitcnt vmcnt(14)
	ds_write2st64_b32 v9, v1, v28 offset1:4
	s_waitcnt vmcnt(12)
	ds_write2st64_b32 v9, v29, v30 offset0:8 offset1:12
	s_waitcnt vmcnt(10)
	ds_write2st64_b32 v9, v26, v27 offset0:16 offset1:20
	;; [unrolled: 2-line block ×7, first 2 shown]
	v_add_u32_e32 v9, 0x4000, v9
	s_andn2_b64 exec, exec, s[16:17]
	s_cbranch_execnz .LBB33_4
; %bb.5:
	s_or_b64 exec, exec, s[16:17]
.LBB33_6:
	s_or_b64 exec, exec, s[12:13]
	v_and_b32_e32 v1, 7, v7
	v_cmp_ne_u32_e32 vcc, 0, v1
	s_and_saveexec_b64 s[12:13], vcc
	s_cbranch_execz .LBB33_9
; %bb.7:
	v_lshlrev_b32_e32 v5, 2, v0
	v_lshl_or_b32 v4, v4, 10, v5
	v_add_u32_e32 v7, 0, v4
	s_mov_b64 s[16:17], 0
	v_mov_b32_e32 v5, 0
.LBB33_8:                               ; =>This Inner Loop Header: Depth=1
	v_mov_b32_e32 v4, v2
	v_lshl_add_u64 v[8:9], v[4:5], 2, s[6:7]
	v_mov_b32_e32 v4, v3
	v_lshl_add_u64 v[10:11], v[4:5], 2, s[6:7]
	global_load_dword v4, v[8:9], off
	global_load_dword v12, v[10:11], off
	v_add_u32_e32 v1, -1, v1
	v_cmp_eq_u32_e32 vcc, 0, v1
	v_add_u32_e32 v2, 0x200, v2
	v_add_u32_e32 v3, 0x200, v3
	s_or_b64 s[16:17], vcc, s[16:17]
	s_waitcnt vmcnt(0)
	ds_write2st64_b32 v7, v4, v12 offset1:4
	v_add_u32_e32 v7, 0x800, v7
	s_andn2_b64 exec, exec, s[16:17]
	s_cbranch_execnz .LBB33_8
.LBB33_9:
	s_or_b64 exec, exec, s[12:13]
	v_add_u32_e32 v1, 1, v6
	v_and_b32_e32 v3, 0x1fffffe, v1
	v_cmp_ne_u32_e32 vcc, v1, v3
	v_lshl_or_b32 v2, v3, 8, v0
	s_orn2_b64 s[6:7], vcc, exec
.LBB33_10:
	s_or_b64 exec, exec, s[4:5]
	s_and_b64 exec, exec, s[6:7]
	s_cbranch_execz .LBB33_13
; %bb.11:
	s_lshl_b64 s[4:5], s[2:3], 3
	s_add_u32 s4, s10, s4
	v_mov_b32_e32 v3, 0
	s_addc_u32 s5, s11, s5
	v_lshl_add_u64 v[4:5], v[2:3], 2, s[4:5]
	v_lshl_add_u32 v1, v2, 2, 0
	s_mov_b64 s[4:5], 0
	s_mov_b64 s[6:7], 0x400
.LBB33_12:                              ; =>This Inner Loop Header: Depth=1
	global_load_dword v3, v[4:5], off
	v_add_u32_e32 v2, 0x100, v2
	v_cmp_le_i32_e32 vcc, s20, v2
	v_lshl_add_u64 v[4:5], v[4:5], 0, s[6:7]
	s_or_b64 s[4:5], vcc, s[4:5]
	s_waitcnt vmcnt(0)
	ds_write_b32 v1, v3
	v_add_u32_e32 v1, 0x400, v1
	s_andn2_b64 exec, exec, s[4:5]
	s_cbranch_execnz .LBB33_12
.LBB33_13:
	s_or_b64 exec, exec, s[0:1]
	v_mov_b32_e32 v1, 0
	s_waitcnt lgkmcnt(0)
	s_barrier
	ds_read_b32 v1, v1
	s_cmp_lt_i32 s19, 2
	s_cbranch_scc1 .LBB33_21
; %bb.14:
	s_cmp_eq_u32 s19, 2
	s_cbranch_scc1 .LBB33_18
; %bb.15:
	s_add_i32 s3, s19, -1
	s_and_b32 s4, s3, -2
	s_add_i32 s6, 0, 8
	s_mov_b32 s5, 2
	s_waitcnt lgkmcnt(0)
	v_mov_b32_e32 v4, v1
.LBB33_16:                              ; =>This Inner Loop Header: Depth=1
	v_mov_b32_e32 v2, v1
	v_mov_b32_e32 v1, s6
	v_mov_b32_e32 v3, v4
	ds_read2_b32 v[4:5], v1 offset1:2
	s_cmp_lg_u32 s4, s5
	s_cselect_b64 s[10:11], -1, 0
	v_max_f32_e32 v1, v3, v3
	v_max_f32_e32 v6, v2, v2
	s_waitcnt lgkmcnt(0)
	v_cmp_u_f32_e32 vcc, v5, v5
	v_max_f32_e32 v7, v5, v5
	v_max_f32_e32 v8, v4, v4
	v_cndmask_b32_e64 v5, 0, 1, vcc
	v_cmp_u_f32_e32 vcc, v4, v4
	v_readfirstlane_b32 s0, v5
	s_lshl_b32 s0, s0, 1
	v_cndmask_b32_e64 v9, 0, 1, vcc
	v_max_f32_e32 v4, v1, v7
	v_readfirstlane_b32 s1, v9
	s_or_b32 s0, s1, s0
	s_and_b32 s7, s0, 3
	s_cmp_lg_u32 s7, 0
	s_cselect_b64 s[0:1], -1, 0
	s_cmp_eq_u32 s7, 0
	s_cselect_b64 s[12:13], -1, 0
	s_and_b64 s[10:11], s[12:13], s[10:11]
	v_max_f32_e32 v1, v6, v8
	s_add_i32 s5, s5, 2
	s_add_i32 s6, s6, 16
	s_and_b64 vcc, exec, s[10:11]
	s_cbranch_vccnz .LBB33_16
; %bb.17:
	s_add_i32 s5, s5, -4
	s_and_b64 s[6:7], s[0:1], exec
	s_cselect_b32 s5, s5, s3
	s_or_b32 s5, s5, 1
	v_cndmask_b32_e64 v1, v1, v2, s[0:1]
	v_cndmask_b32_e64 v2, v4, v3, s[0:1]
	s_cmp_lg_u32 s3, s4
	v_max_f32_e32 v2, v2, v2
	v_max_f32_e32 v1, v1, v1
	s_cselect_b64 s[6:7], -1, 0
	v_max_f32_e32 v1, v1, v2
	s_or_b64 s[0:1], s[6:7], s[0:1]
	s_and_b64 vcc, exec, s[0:1]
	s_cbranch_vccnz .LBB33_19
	s_branch .LBB33_21
.LBB33_18:
	s_mov_b32 s5, 1
	s_cbranch_execz .LBB33_21
.LBB33_19:
	s_lshl_b32 s1, s5, 3
	s_sub_i32 s0, s19, s5
	s_add_i32 s1, s1, 0
.LBB33_20:                              ; =>This Inner Loop Header: Depth=1
	v_mov_b32_e32 v2, s1
	ds_read_b32 v2, v2
	s_waitcnt lgkmcnt(1)
	v_max_f32_e32 v1, v1, v1
	s_add_i32 s0, s0, -1
	s_add_i32 s1, s1, 8
	s_cmp_eq_u32 s0, 0
	s_waitcnt lgkmcnt(0)
	v_max_f32_e32 v2, v2, v2
	v_max_f32_e32 v1, v1, v2
	s_cbranch_scc0 .LBB33_20
.LBB33_21:
	s_cmp_lt_i32 s19, 1
	s_cbranch_scc1 .LBB33_26
; %bb.22:
	s_lshl_b32 s0, s2, 8
	s_ashr_i32 s1, s0, 31
	s_lshl_b64 s[0:1], s[0:1], 2
	s_add_u32 s16, s8, s0
	s_addc_u32 s17, s9, s1
	s_cmp_lt_u32 s19, 8
	s_cbranch_scc1 .LBB33_27
; %bb.23:
	v_mov_b32_e32 v7, 0
	s_and_b32 s20, s19, 0x7ffffff8
	v_or_b32_e32 v4, 0x700, v0
	s_mov_b32 s21, 0
	s_mov_b32 s22, 0x3fb8aa3b
	;; [unrolled: 1-line block ×4, first 2 shown]
	v_mov_b32_e32 v8, 0x7f800000
	s_mov_b32 s25, 0
	v_mov_b32_e32 v2, v7
	v_mov_b32_e32 v3, v7
.LBB33_24:                              ; =>This Inner Loop Header: Depth=1
	v_add_u32_e32 v6, 0xfffff900, v4
	v_lshl_add_u64 v[26:27], v[6:7], 2, s[16:17]
	v_add_u32_e32 v6, 0xfffffa00, v4
	v_mov_b32_e32 v9, s21
	v_lshl_add_u64 v[30:31], v[6:7], 2, s[16:17]
	v_add_u32_e32 v6, 0xfffffb00, v4
	ds_read2_b64 v[10:13], v9 offset1:1
	ds_read2_b64 v[14:17], v9 offset0:2 offset1:3
	ds_read2_b64 v[18:21], v9 offset0:4 offset1:5
	;; [unrolled: 1-line block ×3, first 2 shown]
	global_load_dword v33, v[26:27], off
	global_load_dword v35, v[30:31], off
	v_lshl_add_u64 v[26:27], v[6:7], 2, s[16:17]
	v_add_u32_e32 v6, 0xfffffc00, v4
	v_lshl_add_u64 v[30:31], v[6:7], 2, s[16:17]
	v_add_u32_e32 v6, 0xfffffd00, v4
	global_load_dword v37, v[26:27], off
	global_load_dword v39, v[30:31], off
	v_lshl_add_u64 v[26:27], v[6:7], 2, s[16:17]
	v_add_u32_e32 v6, 0xfffffe00, v4
	s_waitcnt lgkmcnt(3)
	v_mov_b32_e32 v32, v11
	v_sub_f32_e32 v9, v12, v1
	v_mov_b32_e32 v34, v13
	global_load_dword v11, v[26:27], off
	v_lshl_add_u64 v[12:13], v[6:7], 2, s[16:17]
	s_waitcnt lgkmcnt(2)
	v_mov_b32_e32 v36, v15
	v_add_u32_e32 v6, 0xffffff00, v4
	global_load_dword v15, v[12:13], off
	v_mov_b32_e32 v5, v7
	v_lshl_add_u64 v[12:13], v[6:7], 2, s[16:17]
	v_lshl_add_u64 v[28:29], v[4:5], 2, s[16:17]
	v_sub_f32_e32 v5, v10, v1
	v_mov_b32_e32 v38, v17
	s_waitcnt lgkmcnt(1)
	v_mov_b32_e32 v10, v19
	global_load_dword v17, v[12:13], off
	global_load_dword v19, v[28:29], off
	v_sub_f32_e32 v30, v14, v1
	v_sub_f32_e32 v31, v16, v1
	;; [unrolled: 1-line block ×3, first 2 shown]
	v_mov_b32_e32 v14, v21
	s_waitcnt lgkmcnt(0)
	v_sub_f32_e32 v21, v22, v1
	v_mov_b32_e32 v16, v23
	v_sub_f32_e32 v22, v24, v1
	v_mul_f32_e32 v23, 0x3fb8aa3b, v5
	v_mov_b32_e32 v18, v25
	v_mul_f32_e32 v24, 0x3fb8aa3b, v9
	v_mul_f32_e32 v25, 0x3fb8aa3b, v30
	;; [unrolled: 1-line block ×5, first 2 shown]
	v_fma_f32 v43, v5, s22, -v23
	v_rndne_f32_e32 v44, v23
	v_sub_f32_e32 v20, v20, v1
	v_fma_f32 v45, v9, s22, -v24
	v_rndne_f32_e32 v46, v24
	v_fma_f32 v47, v30, s22, -v25
	v_rndne_f32_e32 v48, v25
	;; [unrolled: 2-line block ×5, first 2 shown]
	v_fmac_f32_e32 v43, 0x32a5705f, v5
	v_sub_f32_e32 v12, v23, v44
	v_mul_f32_e32 v26, 0x3fb8aa3b, v31
	v_mul_f32_e32 v41, 0x3fb8aa3b, v20
	v_fmac_f32_e32 v45, 0x32a5705f, v9
	v_sub_f32_e32 v23, v24, v46
	v_fmac_f32_e32 v47, 0x32a5705f, v30
	v_sub_f32_e32 v25, v25, v48
	;; [unrolled: 2-line block ×5, first 2 shown]
	v_add_f32_e32 v12, v12, v43
	v_fma_f32 v49, v31, s22, -v26
	v_rndne_f32_e32 v50, v26
	v_fma_f32 v53, v20, s22, -v41
	v_rndne_f32_e32 v54, v41
	v_cvt_i32_f32_e32 v13, v44
	v_add_f32_e32 v23, v23, v45
	v_add_f32_e32 v25, v25, v47
	;; [unrolled: 1-line block ×5, first 2 shown]
	v_exp_f32_e32 v12, v12
	v_cvt_i32_f32_e32 v24, v46
	v_cvt_i32_f32_e32 v28, v48
	v_fmac_f32_e32 v49, 0x32a5705f, v31
	v_sub_f32_e32 v26, v26, v50
	v_cvt_i32_f32_e32 v29, v50
	v_cvt_i32_f32_e32 v44, v52
	v_fmac_f32_e32 v53, 0x32a5705f, v20
	v_sub_f32_e32 v41, v41, v54
	v_cvt_i32_f32_e32 v48, v56
	v_cvt_i32_f32_e32 v50, v58
	v_exp_f32_e32 v23, v23
	v_exp_f32_e32 v25, v25
	;; [unrolled: 1-line block ×5, first 2 shown]
	v_add_f32_e32 v26, v26, v49
	v_add_f32_e32 v41, v41, v53
	v_cvt_i32_f32_e32 v46, v54
	v_exp_f32_e32 v26, v26
	v_exp_f32_e32 v41, v41
	v_ldexp_f32 v12, v12, v13
	v_cmp_ngt_f32_e64 s[12:13], s23, v5
	v_ldexp_f32 v13, v23, v24
	v_cmp_ngt_f32_e32 vcc, s23, v9
	v_ldexp_f32 v23, v25, v28
	v_ldexp_f32 v25, v27, v44
	;; [unrolled: 1-line block ×3, first 2 shown]
	v_cmp_ngt_f32_e64 s[8:9], s23, v21
	v_ldexp_f32 v6, v6, v50
	v_cmp_ngt_f32_e64 s[10:11], s23, v22
	v_cndmask_b32_e64 v12, 0, v12, s[12:13]
	v_cmp_nlt_f32_e64 s[12:13], s24, v5
	v_cmp_ngt_f32_e64 s[0:1], s23, v30
	v_cndmask_b32_e32 v13, 0, v13, vcc
	v_cmp_nlt_f32_e32 vcc, s24, v9
	v_cndmask_b32_e64 v27, 0, v27, s[8:9]
	v_cmp_nlt_f32_e64 s[8:9], s24, v21
	v_cndmask_b32_e64 v21, 0, v6, s[10:11]
	v_cndmask_b32_e64 v6, v8, v12, s[12:13]
	v_ldexp_f32 v24, v26, v29
	v_cmp_ngt_f32_e64 s[2:3], s23, v31
	v_cmp_ngt_f32_e64 s[4:5], s23, v40
	v_ldexp_f32 v26, v41, v46
	v_cmp_ngt_f32_e64 s[6:7], s23, v20
	v_cndmask_b32_e64 v9, 0, v23, s[0:1]
	v_cmp_nlt_f32_e64 s[0:1], s24, v30
	v_cndmask_b32_e32 v12, v8, v13, vcc
	s_waitcnt vmcnt(7)
	v_pk_fma_f32 v[2:3], v[6:7], v[32:33], v[2:3] op_sel_hi:[0,1,1]
	v_cndmask_b32_e64 v23, 0, v24, s[2:3]
	v_cmp_nlt_f32_e64 s[2:3], s24, v31
	v_cndmask_b32_e64 v24, 0, v25, s[4:5]
	v_cndmask_b32_e64 v25, 0, v26, s[6:7]
	v_cmp_nlt_f32_e64 s[6:7], s24, v20
	v_cndmask_b32_e64 v20, v8, v9, s[0:1]
	s_waitcnt vmcnt(6)
	v_pk_fma_f32 v[2:3], v[12:13], v[34:35], v[2:3] op_sel_hi:[0,1,1]
	v_cmp_nlt_f32_e64 s[4:5], s24, v40
	v_cmp_nlt_f32_e64 s[10:11], s24, v22
	v_cndmask_b32_e64 v22, v8, v23, s[2:3]
	s_waitcnt vmcnt(5)
	v_pk_fma_f32 v[2:3], v[20:21], v[36:37], v[2:3] op_sel_hi:[0,1,1]
	v_cndmask_b32_e64 v24, v8, v24, s[4:5]
	s_waitcnt vmcnt(4)
	v_pk_fma_f32 v[2:3], v[22:23], v[38:39], v[2:3] op_sel_hi:[0,1,1]
	;; [unrolled: 3-line block ×4, first 2 shown]
	s_add_i32 s25, s25, 8
	s_add_i32 s21, s21, 64
	v_cndmask_b32_e64 v30, v8, v21, s[10:11]
	s_waitcnt vmcnt(1)
	v_pk_fma_f32 v[2:3], v[28:29], v[16:17], v[2:3] op_sel_hi:[0,1,1]
	s_cmp_eq_u32 s20, s25
	v_add_u32_e32 v4, 0x800, v4
	s_waitcnt vmcnt(0)
	v_pk_fma_f32 v[2:3], v[30:31], v[18:19], v[2:3] op_sel_hi:[0,1,1]
	s_cbranch_scc0 .LBB33_24
; %bb.25:
	s_and_b32 s0, s19, 7
	s_cmp_eq_u32 s0, 0
	s_cbranch_scc0 .LBB33_28
	s_branch .LBB33_30
.LBB33_26:
	s_waitcnt lgkmcnt(0)
	v_mov_b32_e32 v1, 0x7fc00000
	s_branch .LBB33_31
.LBB33_27:
	v_mov_b32_e32 v2, 0
	s_mov_b32 s20, 0
	v_mov_b32_e32 v3, v2
	s_and_b32 s0, s19, 7
	s_cmp_eq_u32 s0, 0
	s_cbranch_scc1 .LBB33_30
.LBB33_28:
	s_lshl_b32 s1, s20, 3
	v_lshl_or_b32 v4, s20, 8, v0
	s_add_i32 s1, s1, 0
	s_mov_b32 s2, 0x3fb8aa3b
	s_mov_b32 s3, 0xc2ce8ed0
	;; [unrolled: 1-line block ×3, first 2 shown]
	v_mov_b32_e32 v6, 0x7f800000
	v_mov_b32_e32 v5, 0
.LBB33_29:                              ; =>This Inner Loop Header: Depth=1
	v_lshl_add_u64 v[8:9], v[4:5], 2, s[16:17]
	global_load_dword v9, v[8:9], off
	v_mov_b32_e32 v7, s1
	ds_read_b64 v[10:11], v7
	s_add_i32 s1, s1, 8
	s_add_i32 s0, s0, -1
	v_add_u32_e32 v4, 0x100, v4
	s_cmp_lg_u32 s0, 0
	s_waitcnt lgkmcnt(0)
	v_sub_f32_e32 v7, v10, v1
	v_mul_f32_e32 v8, 0x3fb8aa3b, v7
	v_fma_f32 v10, v7, s2, -v8
	v_rndne_f32_e32 v12, v8
	v_fmac_f32_e32 v10, 0x32a5705f, v7
	v_sub_f32_e32 v8, v8, v12
	v_add_f32_e32 v8, v8, v10
	v_cvt_i32_f32_e32 v12, v12
	v_exp_f32_e32 v10, v8
	v_cmp_ngt_f32_e32 vcc, s3, v7
	v_mov_b32_e32 v8, v11
	v_ldexp_f32 v10, v10, v12
	v_cndmask_b32_e32 v10, 0, v10, vcc
	v_cmp_nlt_f32_e32 vcc, s4, v7
	s_nop 1
	v_cndmask_b32_e32 v10, v6, v10, vcc
	s_waitcnt vmcnt(0)
	v_pk_fma_f32 v[2:3], v[10:11], v[8:9], v[2:3] op_sel_hi:[0,1,1]
	s_cbranch_scc1 .LBB33_29
.LBB33_30:
	s_waitcnt lgkmcnt(0)
	v_div_scale_f32 v1, s[0:1], v2, v2, v3
	v_rcp_f32_e32 v4, v1
	v_div_scale_f32 v5, vcc, v3, v2, v3
	v_fma_f32 v6, -v1, v4, 1.0
	v_fmac_f32_e32 v4, v6, v4
	v_mul_f32_e32 v6, v5, v4
	v_fma_f32 v7, -v1, v6, v5
	v_fmac_f32_e32 v6, v7, v4
	v_fma_f32 v1, -v1, v6, v5
	v_div_fmas_f32 v1, v1, v4, v6
	v_div_fixup_f32 v1, v1, v2, v3
.LBB33_31:
	s_lshl_b32 s0, s18, 8
	s_ashr_i32 s1, s0, 31
	s_lshl_b64 s[0:1], s[0:1], 2
	s_add_u32 s0, s14, s0
	s_addc_u32 s1, s15, s1
	v_lshlrev_b32_e32 v0, 2, v0
	global_store_dword v0, v1, s[0:1]
	s_endpgm
	.section	.rodata,"a",@progbits
	.p2align	6, 0x0
	.amdhsa_kernel _ZL26flash_attn_combine_resultsILi256EEvPKfPK15HIP_vector_typeIfLj2EEPfi
		.amdhsa_group_segment_fixed_size 0
		.amdhsa_private_segment_fixed_size 0
		.amdhsa_kernarg_size 288
		.amdhsa_user_sgpr_count 2
		.amdhsa_user_sgpr_dispatch_ptr 0
		.amdhsa_user_sgpr_queue_ptr 0
		.amdhsa_user_sgpr_kernarg_segment_ptr 1
		.amdhsa_user_sgpr_dispatch_id 0
		.amdhsa_user_sgpr_kernarg_preload_length 0
		.amdhsa_user_sgpr_kernarg_preload_offset 0
		.amdhsa_user_sgpr_private_segment_size 0
		.amdhsa_uses_dynamic_stack 0
		.amdhsa_enable_private_segment 0
		.amdhsa_system_sgpr_workgroup_id_x 1
		.amdhsa_system_sgpr_workgroup_id_y 1
		.amdhsa_system_sgpr_workgroup_id_z 1
		.amdhsa_system_sgpr_workgroup_info 0
		.amdhsa_system_vgpr_workitem_id 0
		.amdhsa_next_free_vgpr 59
		.amdhsa_next_free_sgpr 26
		.amdhsa_accum_offset 60
		.amdhsa_reserve_vcc 1
		.amdhsa_float_round_mode_32 0
		.amdhsa_float_round_mode_16_64 0
		.amdhsa_float_denorm_mode_32 3
		.amdhsa_float_denorm_mode_16_64 3
		.amdhsa_dx10_clamp 1
		.amdhsa_ieee_mode 1
		.amdhsa_fp16_overflow 0
		.amdhsa_tg_split 0
		.amdhsa_exception_fp_ieee_invalid_op 0
		.amdhsa_exception_fp_denorm_src 0
		.amdhsa_exception_fp_ieee_div_zero 0
		.amdhsa_exception_fp_ieee_overflow 0
		.amdhsa_exception_fp_ieee_underflow 0
		.amdhsa_exception_fp_ieee_inexact 0
		.amdhsa_exception_int_div_zero 0
	.end_amdhsa_kernel
	.section	.text._ZL26flash_attn_combine_resultsILi256EEvPKfPK15HIP_vector_typeIfLj2EEPfi,"axG",@progbits,_ZL26flash_attn_combine_resultsILi256EEvPKfPK15HIP_vector_typeIfLj2EEPfi,comdat
.Lfunc_end33:
	.size	_ZL26flash_attn_combine_resultsILi256EEvPKfPK15HIP_vector_typeIfLj2EEPfi, .Lfunc_end33-_ZL26flash_attn_combine_resultsILi256EEvPKfPK15HIP_vector_typeIfLj2EEPfi
                                        ; -- End function
	.set _ZL26flash_attn_combine_resultsILi256EEvPKfPK15HIP_vector_typeIfLj2EEPfi.num_vgpr, 59
	.set _ZL26flash_attn_combine_resultsILi256EEvPKfPK15HIP_vector_typeIfLj2EEPfi.num_agpr, 0
	.set _ZL26flash_attn_combine_resultsILi256EEvPKfPK15HIP_vector_typeIfLj2EEPfi.numbered_sgpr, 26
	.set _ZL26flash_attn_combine_resultsILi256EEvPKfPK15HIP_vector_typeIfLj2EEPfi.num_named_barrier, 0
	.set _ZL26flash_attn_combine_resultsILi256EEvPKfPK15HIP_vector_typeIfLj2EEPfi.private_seg_size, 0
	.set _ZL26flash_attn_combine_resultsILi256EEvPKfPK15HIP_vector_typeIfLj2EEPfi.uses_vcc, 1
	.set _ZL26flash_attn_combine_resultsILi256EEvPKfPK15HIP_vector_typeIfLj2EEPfi.uses_flat_scratch, 0
	.set _ZL26flash_attn_combine_resultsILi256EEvPKfPK15HIP_vector_typeIfLj2EEPfi.has_dyn_sized_stack, 0
	.set _ZL26flash_attn_combine_resultsILi256EEvPKfPK15HIP_vector_typeIfLj2EEPfi.has_recursion, 0
	.set _ZL26flash_attn_combine_resultsILi256EEvPKfPK15HIP_vector_typeIfLj2EEPfi.has_indirect_call, 0
	.section	.AMDGPU.csdata,"",@progbits
; Kernel info:
; codeLenInByte = 2924
; TotalNumSgprs: 32
; NumVgprs: 59
; NumAgprs: 0
; TotalNumVgprs: 59
; ScratchSize: 0
; MemoryBound: 0
; FloatMode: 240
; IeeeMode: 1
; LDSByteSize: 0 bytes/workgroup (compile time only)
; SGPRBlocks: 3
; VGPRBlocks: 7
; NumSGPRsForWavesPerEU: 32
; NumVGPRsForWavesPerEU: 59
; AccumOffset: 60
; Occupancy: 8
; WaveLimiterHint : 0
; COMPUTE_PGM_RSRC2:SCRATCH_EN: 0
; COMPUTE_PGM_RSRC2:USER_SGPR: 2
; COMPUTE_PGM_RSRC2:TRAP_HANDLER: 0
; COMPUTE_PGM_RSRC2:TGID_X_EN: 1
; COMPUTE_PGM_RSRC2:TGID_Y_EN: 1
; COMPUTE_PGM_RSRC2:TGID_Z_EN: 1
; COMPUTE_PGM_RSRC2:TIDIG_COMP_CNT: 0
; COMPUTE_PGM_RSRC3_GFX90A:ACCUM_OFFSET: 14
; COMPUTE_PGM_RSRC3_GFX90A:TG_SPLIT: 0
	.section	.text._ZL18flash_attn_ext_f16ILi512ELi512ELi8ELi4ELb0ELb0EEvPKcS1_S1_S1_S1_PKiPfP15HIP_vector_typeIfLj2EEffffjfiS5_IjLj3EEiiiiiiiiiiiliiliiiiil,"axG",@progbits,_ZL18flash_attn_ext_f16ILi512ELi512ELi8ELi4ELb0ELb0EEvPKcS1_S1_S1_S1_PKiPfP15HIP_vector_typeIfLj2EEffffjfiS5_IjLj3EEiiiiiiiiiiiliiliiiiil,comdat
	.globl	_ZL18flash_attn_ext_f16ILi512ELi512ELi8ELi4ELb0ELb0EEvPKcS1_S1_S1_S1_PKiPfP15HIP_vector_typeIfLj2EEffffjfiS5_IjLj3EEiiiiiiiiiiiliiliiiiil ; -- Begin function _ZL18flash_attn_ext_f16ILi512ELi512ELi8ELi4ELb0ELb0EEvPKcS1_S1_S1_S1_PKiPfP15HIP_vector_typeIfLj2EEffffjfiS5_IjLj3EEiiiiiiiiiiiliiliiiiil
	.p2align	8
	.type	_ZL18flash_attn_ext_f16ILi512ELi512ELi8ELi4ELb0ELb0EEvPKcS1_S1_S1_S1_PKiPfP15HIP_vector_typeIfLj2EEffffjfiS5_IjLj3EEiiiiiiiiiiiliiliiiiil,@function
_ZL18flash_attn_ext_f16ILi512ELi512ELi8ELi4ELb0ELb0EEvPKcS1_S1_S1_S1_PKiPfP15HIP_vector_typeIfLj2EEffffjfiS5_IjLj3EEiiiiiiiiiiiliiliiiiil: ; @_ZL18flash_attn_ext_f16ILi512ELi512ELi8ELi4ELb0ELb0EEvPKcS1_S1_S1_S1_PKiPfP15HIP_vector_typeIfLj2EEffffjfiS5_IjLj3EEiiiiiiiiiiiliiliiiiil
; %bb.0:
	s_add_u32 s8, s0, 0xd0
	s_addc_u32 s9, s1, 0
	s_getpc_b64 s[0:1]
	s_add_u32 s0, s0, _ZL14no_device_codePKciS0_iS0_@rel32@lo+4
	s_addc_u32 s1, s1, _ZL14no_device_codePKciS0_iS0_@rel32@hi+12
	v_mov_b32_e32 v0, 0x6ea
	s_mov_b32 s32, 0
	s_swappc_b64 s[30:31], s[0:1]
	.section	.rodata,"a",@progbits
	.p2align	6, 0x0
	.amdhsa_kernel _ZL18flash_attn_ext_f16ILi512ELi512ELi8ELi4ELb0ELb0EEvPKcS1_S1_S1_S1_PKiPfP15HIP_vector_typeIfLj2EEffffjfiS5_IjLj3EEiiiiiiiiiiiliiliiiiil
		.amdhsa_group_segment_fixed_size 0
		.amdhsa_private_segment_fixed_size 16
		.amdhsa_kernarg_size 464
		.amdhsa_user_sgpr_count 2
		.amdhsa_user_sgpr_dispatch_ptr 0
		.amdhsa_user_sgpr_queue_ptr 0
		.amdhsa_user_sgpr_kernarg_segment_ptr 1
		.amdhsa_user_sgpr_dispatch_id 0
		.amdhsa_user_sgpr_kernarg_preload_length 0
		.amdhsa_user_sgpr_kernarg_preload_offset 0
		.amdhsa_user_sgpr_private_segment_size 0
		.amdhsa_uses_dynamic_stack 0
		.amdhsa_enable_private_segment 1
		.amdhsa_system_sgpr_workgroup_id_x 1
		.amdhsa_system_sgpr_workgroup_id_y 0
		.amdhsa_system_sgpr_workgroup_id_z 0
		.amdhsa_system_sgpr_workgroup_info 0
		.amdhsa_system_vgpr_workitem_id 0
		.amdhsa_next_free_vgpr 52
		.amdhsa_next_free_sgpr 34
		.amdhsa_accum_offset 52
		.amdhsa_reserve_vcc 1
		.amdhsa_float_round_mode_32 0
		.amdhsa_float_round_mode_16_64 0
		.amdhsa_float_denorm_mode_32 3
		.amdhsa_float_denorm_mode_16_64 3
		.amdhsa_dx10_clamp 1
		.amdhsa_ieee_mode 1
		.amdhsa_fp16_overflow 0
		.amdhsa_tg_split 0
		.amdhsa_exception_fp_ieee_invalid_op 0
		.amdhsa_exception_fp_denorm_src 0
		.amdhsa_exception_fp_ieee_div_zero 0
		.amdhsa_exception_fp_ieee_overflow 0
		.amdhsa_exception_fp_ieee_underflow 0
		.amdhsa_exception_fp_ieee_inexact 0
		.amdhsa_exception_int_div_zero 0
	.end_amdhsa_kernel
	.section	.text._ZL18flash_attn_ext_f16ILi512ELi512ELi8ELi4ELb0ELb0EEvPKcS1_S1_S1_S1_PKiPfP15HIP_vector_typeIfLj2EEffffjfiS5_IjLj3EEiiiiiiiiiiiliiliiiiil,"axG",@progbits,_ZL18flash_attn_ext_f16ILi512ELi512ELi8ELi4ELb0ELb0EEvPKcS1_S1_S1_S1_PKiPfP15HIP_vector_typeIfLj2EEffffjfiS5_IjLj3EEiiiiiiiiiiiliiliiiiil,comdat
.Lfunc_end34:
	.size	_ZL18flash_attn_ext_f16ILi512ELi512ELi8ELi4ELb0ELb0EEvPKcS1_S1_S1_S1_PKiPfP15HIP_vector_typeIfLj2EEffffjfiS5_IjLj3EEiiiiiiiiiiiliiliiiiil, .Lfunc_end34-_ZL18flash_attn_ext_f16ILi512ELi512ELi8ELi4ELb0ELb0EEvPKcS1_S1_S1_S1_PKiPfP15HIP_vector_typeIfLj2EEffffjfiS5_IjLj3EEiiiiiiiiiiiliiliiiiil
                                        ; -- End function
	.set _ZL18flash_attn_ext_f16ILi512ELi512ELi8ELi4ELb0ELb0EEvPKcS1_S1_S1_S1_PKiPfP15HIP_vector_typeIfLj2EEffffjfiS5_IjLj3EEiiiiiiiiiiiliiliiiiil.num_vgpr, max(1, .L_ZL14no_device_codePKciS0_iS0_.num_vgpr)
	.set _ZL18flash_attn_ext_f16ILi512ELi512ELi8ELi4ELb0ELb0EEvPKcS1_S1_S1_S1_PKiPfP15HIP_vector_typeIfLj2EEffffjfiS5_IjLj3EEiiiiiiiiiiiliiliiiiil.num_agpr, max(0, .L_ZL14no_device_codePKciS0_iS0_.num_agpr)
	.set _ZL18flash_attn_ext_f16ILi512ELi512ELi8ELi4ELb0ELb0EEvPKcS1_S1_S1_S1_PKiPfP15HIP_vector_typeIfLj2EEffffjfiS5_IjLj3EEiiiiiiiiiiiliiliiiiil.numbered_sgpr, max(33, .L_ZL14no_device_codePKciS0_iS0_.numbered_sgpr)
	.set _ZL18flash_attn_ext_f16ILi512ELi512ELi8ELi4ELb0ELb0EEvPKcS1_S1_S1_S1_PKiPfP15HIP_vector_typeIfLj2EEffffjfiS5_IjLj3EEiiiiiiiiiiiliiliiiiil.num_named_barrier, max(0, .L_ZL14no_device_codePKciS0_iS0_.num_named_barrier)
	.set _ZL18flash_attn_ext_f16ILi512ELi512ELi8ELi4ELb0ELb0EEvPKcS1_S1_S1_S1_PKiPfP15HIP_vector_typeIfLj2EEffffjfiS5_IjLj3EEiiiiiiiiiiiliiliiiiil.private_seg_size, 0+max(.L_ZL14no_device_codePKciS0_iS0_.private_seg_size)
	.set _ZL18flash_attn_ext_f16ILi512ELi512ELi8ELi4ELb0ELb0EEvPKcS1_S1_S1_S1_PKiPfP15HIP_vector_typeIfLj2EEffffjfiS5_IjLj3EEiiiiiiiiiiiliiliiiiil.uses_vcc, or(1, .L_ZL14no_device_codePKciS0_iS0_.uses_vcc)
	.set _ZL18flash_attn_ext_f16ILi512ELi512ELi8ELi4ELb0ELb0EEvPKcS1_S1_S1_S1_PKiPfP15HIP_vector_typeIfLj2EEffffjfiS5_IjLj3EEiiiiiiiiiiiliiliiiiil.uses_flat_scratch, or(0, .L_ZL14no_device_codePKciS0_iS0_.uses_flat_scratch)
	.set _ZL18flash_attn_ext_f16ILi512ELi512ELi8ELi4ELb0ELb0EEvPKcS1_S1_S1_S1_PKiPfP15HIP_vector_typeIfLj2EEffffjfiS5_IjLj3EEiiiiiiiiiiiliiliiiiil.has_dyn_sized_stack, or(0, .L_ZL14no_device_codePKciS0_iS0_.has_dyn_sized_stack)
	.set _ZL18flash_attn_ext_f16ILi512ELi512ELi8ELi4ELb0ELb0EEvPKcS1_S1_S1_S1_PKiPfP15HIP_vector_typeIfLj2EEffffjfiS5_IjLj3EEiiiiiiiiiiiliiliiiiil.has_recursion, or(0, .L_ZL14no_device_codePKciS0_iS0_.has_recursion)
	.set _ZL18flash_attn_ext_f16ILi512ELi512ELi8ELi4ELb0ELb0EEvPKcS1_S1_S1_S1_PKiPfP15HIP_vector_typeIfLj2EEffffjfiS5_IjLj3EEiiiiiiiiiiiliiliiiiil.has_indirect_call, or(0, .L_ZL14no_device_codePKciS0_iS0_.has_indirect_call)
	.section	.AMDGPU.csdata,"",@progbits
; Kernel info:
; codeLenInByte = 48
; TotalNumSgprs: 40
; NumVgprs: 52
; NumAgprs: 0
; TotalNumVgprs: 52
; ScratchSize: 16
; MemoryBound: 0
; FloatMode: 240
; IeeeMode: 1
; LDSByteSize: 0 bytes/workgroup (compile time only)
; SGPRBlocks: 4
; VGPRBlocks: 6
; NumSGPRsForWavesPerEU: 40
; NumVGPRsForWavesPerEU: 52
; AccumOffset: 52
; Occupancy: 8
; WaveLimiterHint : 1
; COMPUTE_PGM_RSRC2:SCRATCH_EN: 1
; COMPUTE_PGM_RSRC2:USER_SGPR: 2
; COMPUTE_PGM_RSRC2:TRAP_HANDLER: 0
; COMPUTE_PGM_RSRC2:TGID_X_EN: 1
; COMPUTE_PGM_RSRC2:TGID_Y_EN: 0
; COMPUTE_PGM_RSRC2:TGID_Z_EN: 0
; COMPUTE_PGM_RSRC2:TIDIG_COMP_CNT: 0
; COMPUTE_PGM_RSRC3_GFX90A:ACCUM_OFFSET: 12
; COMPUTE_PGM_RSRC3_GFX90A:TG_SPLIT: 0
	.section	.text._ZL18flash_attn_ext_f16ILi512ELi512ELi8ELi4ELb1ELb0EEvPKcS1_S1_S1_S1_PKiPfP15HIP_vector_typeIfLj2EEffffjfiS5_IjLj3EEiiiiiiiiiiiliiliiiiil,"axG",@progbits,_ZL18flash_attn_ext_f16ILi512ELi512ELi8ELi4ELb1ELb0EEvPKcS1_S1_S1_S1_PKiPfP15HIP_vector_typeIfLj2EEffffjfiS5_IjLj3EEiiiiiiiiiiiliiliiiiil,comdat
	.globl	_ZL18flash_attn_ext_f16ILi512ELi512ELi8ELi4ELb1ELb0EEvPKcS1_S1_S1_S1_PKiPfP15HIP_vector_typeIfLj2EEffffjfiS5_IjLj3EEiiiiiiiiiiiliiliiiiil ; -- Begin function _ZL18flash_attn_ext_f16ILi512ELi512ELi8ELi4ELb1ELb0EEvPKcS1_S1_S1_S1_PKiPfP15HIP_vector_typeIfLj2EEffffjfiS5_IjLj3EEiiiiiiiiiiiliiliiiiil
	.p2align	8
	.type	_ZL18flash_attn_ext_f16ILi512ELi512ELi8ELi4ELb1ELb0EEvPKcS1_S1_S1_S1_PKiPfP15HIP_vector_typeIfLj2EEffffjfiS5_IjLj3EEiiiiiiiiiiiliiliiiiil,@function
_ZL18flash_attn_ext_f16ILi512ELi512ELi8ELi4ELb1ELb0EEvPKcS1_S1_S1_S1_PKiPfP15HIP_vector_typeIfLj2EEffffjfiS5_IjLj3EEiiiiiiiiiiiliiliiiiil: ; @_ZL18flash_attn_ext_f16ILi512ELi512ELi8ELi4ELb1ELb0EEvPKcS1_S1_S1_S1_PKiPfP15HIP_vector_typeIfLj2EEffffjfiS5_IjLj3EEiiiiiiiiiiiliiliiiiil
; %bb.0:
	s_add_u32 s8, s0, 0xd0
	s_addc_u32 s9, s1, 0
	s_getpc_b64 s[0:1]
	s_add_u32 s0, s0, _ZL14no_device_codePKciS0_iS0_@rel32@lo+4
	s_addc_u32 s1, s1, _ZL14no_device_codePKciS0_iS0_@rel32@hi+12
	v_mov_b32_e32 v0, 0x6ea
	s_mov_b32 s32, 0
	s_swappc_b64 s[30:31], s[0:1]
	.section	.rodata,"a",@progbits
	.p2align	6, 0x0
	.amdhsa_kernel _ZL18flash_attn_ext_f16ILi512ELi512ELi8ELi4ELb1ELb0EEvPKcS1_S1_S1_S1_PKiPfP15HIP_vector_typeIfLj2EEffffjfiS5_IjLj3EEiiiiiiiiiiiliiliiiiil
		.amdhsa_group_segment_fixed_size 0
		.amdhsa_private_segment_fixed_size 16
		.amdhsa_kernarg_size 464
		.amdhsa_user_sgpr_count 2
		.amdhsa_user_sgpr_dispatch_ptr 0
		.amdhsa_user_sgpr_queue_ptr 0
		.amdhsa_user_sgpr_kernarg_segment_ptr 1
		.amdhsa_user_sgpr_dispatch_id 0
		.amdhsa_user_sgpr_kernarg_preload_length 0
		.amdhsa_user_sgpr_kernarg_preload_offset 0
		.amdhsa_user_sgpr_private_segment_size 0
		.amdhsa_uses_dynamic_stack 0
		.amdhsa_enable_private_segment 1
		.amdhsa_system_sgpr_workgroup_id_x 1
		.amdhsa_system_sgpr_workgroup_id_y 0
		.amdhsa_system_sgpr_workgroup_id_z 0
		.amdhsa_system_sgpr_workgroup_info 0
		.amdhsa_system_vgpr_workitem_id 0
		.amdhsa_next_free_vgpr 52
		.amdhsa_next_free_sgpr 34
		.amdhsa_accum_offset 52
		.amdhsa_reserve_vcc 1
		.amdhsa_float_round_mode_32 0
		.amdhsa_float_round_mode_16_64 0
		.amdhsa_float_denorm_mode_32 3
		.amdhsa_float_denorm_mode_16_64 3
		.amdhsa_dx10_clamp 1
		.amdhsa_ieee_mode 1
		.amdhsa_fp16_overflow 0
		.amdhsa_tg_split 0
		.amdhsa_exception_fp_ieee_invalid_op 0
		.amdhsa_exception_fp_denorm_src 0
		.amdhsa_exception_fp_ieee_div_zero 0
		.amdhsa_exception_fp_ieee_overflow 0
		.amdhsa_exception_fp_ieee_underflow 0
		.amdhsa_exception_fp_ieee_inexact 0
		.amdhsa_exception_int_div_zero 0
	.end_amdhsa_kernel
	.section	.text._ZL18flash_attn_ext_f16ILi512ELi512ELi8ELi4ELb1ELb0EEvPKcS1_S1_S1_S1_PKiPfP15HIP_vector_typeIfLj2EEffffjfiS5_IjLj3EEiiiiiiiiiiiliiliiiiil,"axG",@progbits,_ZL18flash_attn_ext_f16ILi512ELi512ELi8ELi4ELb1ELb0EEvPKcS1_S1_S1_S1_PKiPfP15HIP_vector_typeIfLj2EEffffjfiS5_IjLj3EEiiiiiiiiiiiliiliiiiil,comdat
.Lfunc_end35:
	.size	_ZL18flash_attn_ext_f16ILi512ELi512ELi8ELi4ELb1ELb0EEvPKcS1_S1_S1_S1_PKiPfP15HIP_vector_typeIfLj2EEffffjfiS5_IjLj3EEiiiiiiiiiiiliiliiiiil, .Lfunc_end35-_ZL18flash_attn_ext_f16ILi512ELi512ELi8ELi4ELb1ELb0EEvPKcS1_S1_S1_S1_PKiPfP15HIP_vector_typeIfLj2EEffffjfiS5_IjLj3EEiiiiiiiiiiiliiliiiiil
                                        ; -- End function
	.set _ZL18flash_attn_ext_f16ILi512ELi512ELi8ELi4ELb1ELb0EEvPKcS1_S1_S1_S1_PKiPfP15HIP_vector_typeIfLj2EEffffjfiS5_IjLj3EEiiiiiiiiiiiliiliiiiil.num_vgpr, max(1, .L_ZL14no_device_codePKciS0_iS0_.num_vgpr)
	.set _ZL18flash_attn_ext_f16ILi512ELi512ELi8ELi4ELb1ELb0EEvPKcS1_S1_S1_S1_PKiPfP15HIP_vector_typeIfLj2EEffffjfiS5_IjLj3EEiiiiiiiiiiiliiliiiiil.num_agpr, max(0, .L_ZL14no_device_codePKciS0_iS0_.num_agpr)
	.set _ZL18flash_attn_ext_f16ILi512ELi512ELi8ELi4ELb1ELb0EEvPKcS1_S1_S1_S1_PKiPfP15HIP_vector_typeIfLj2EEffffjfiS5_IjLj3EEiiiiiiiiiiiliiliiiiil.numbered_sgpr, max(33, .L_ZL14no_device_codePKciS0_iS0_.numbered_sgpr)
	.set _ZL18flash_attn_ext_f16ILi512ELi512ELi8ELi4ELb1ELb0EEvPKcS1_S1_S1_S1_PKiPfP15HIP_vector_typeIfLj2EEffffjfiS5_IjLj3EEiiiiiiiiiiiliiliiiiil.num_named_barrier, max(0, .L_ZL14no_device_codePKciS0_iS0_.num_named_barrier)
	.set _ZL18flash_attn_ext_f16ILi512ELi512ELi8ELi4ELb1ELb0EEvPKcS1_S1_S1_S1_PKiPfP15HIP_vector_typeIfLj2EEffffjfiS5_IjLj3EEiiiiiiiiiiiliiliiiiil.private_seg_size, 0+max(.L_ZL14no_device_codePKciS0_iS0_.private_seg_size)
	.set _ZL18flash_attn_ext_f16ILi512ELi512ELi8ELi4ELb1ELb0EEvPKcS1_S1_S1_S1_PKiPfP15HIP_vector_typeIfLj2EEffffjfiS5_IjLj3EEiiiiiiiiiiiliiliiiiil.uses_vcc, or(1, .L_ZL14no_device_codePKciS0_iS0_.uses_vcc)
	.set _ZL18flash_attn_ext_f16ILi512ELi512ELi8ELi4ELb1ELb0EEvPKcS1_S1_S1_S1_PKiPfP15HIP_vector_typeIfLj2EEffffjfiS5_IjLj3EEiiiiiiiiiiiliiliiiiil.uses_flat_scratch, or(0, .L_ZL14no_device_codePKciS0_iS0_.uses_flat_scratch)
	.set _ZL18flash_attn_ext_f16ILi512ELi512ELi8ELi4ELb1ELb0EEvPKcS1_S1_S1_S1_PKiPfP15HIP_vector_typeIfLj2EEffffjfiS5_IjLj3EEiiiiiiiiiiiliiliiiiil.has_dyn_sized_stack, or(0, .L_ZL14no_device_codePKciS0_iS0_.has_dyn_sized_stack)
	.set _ZL18flash_attn_ext_f16ILi512ELi512ELi8ELi4ELb1ELb0EEvPKcS1_S1_S1_S1_PKiPfP15HIP_vector_typeIfLj2EEffffjfiS5_IjLj3EEiiiiiiiiiiiliiliiiiil.has_recursion, or(0, .L_ZL14no_device_codePKciS0_iS0_.has_recursion)
	.set _ZL18flash_attn_ext_f16ILi512ELi512ELi8ELi4ELb1ELb0EEvPKcS1_S1_S1_S1_PKiPfP15HIP_vector_typeIfLj2EEffffjfiS5_IjLj3EEiiiiiiiiiiiliiliiiiil.has_indirect_call, or(0, .L_ZL14no_device_codePKciS0_iS0_.has_indirect_call)
	.section	.AMDGPU.csdata,"",@progbits
; Kernel info:
; codeLenInByte = 48
; TotalNumSgprs: 40
; NumVgprs: 52
; NumAgprs: 0
; TotalNumVgprs: 52
; ScratchSize: 16
; MemoryBound: 0
; FloatMode: 240
; IeeeMode: 1
; LDSByteSize: 0 bytes/workgroup (compile time only)
; SGPRBlocks: 4
; VGPRBlocks: 6
; NumSGPRsForWavesPerEU: 40
; NumVGPRsForWavesPerEU: 52
; AccumOffset: 52
; Occupancy: 8
; WaveLimiterHint : 1
; COMPUTE_PGM_RSRC2:SCRATCH_EN: 1
; COMPUTE_PGM_RSRC2:USER_SGPR: 2
; COMPUTE_PGM_RSRC2:TRAP_HANDLER: 0
; COMPUTE_PGM_RSRC2:TGID_X_EN: 1
; COMPUTE_PGM_RSRC2:TGID_Y_EN: 0
; COMPUTE_PGM_RSRC2:TGID_Z_EN: 0
; COMPUTE_PGM_RSRC2:TIDIG_COMP_CNT: 0
; COMPUTE_PGM_RSRC3_GFX90A:ACCUM_OFFSET: 12
; COMPUTE_PGM_RSRC3_GFX90A:TG_SPLIT: 0
	.section	.text._ZL33flash_attn_stream_k_fixup_uniformILi512ELi8ELi4EEvPfPK15HIP_vector_typeIfLj2EEiiiiiiS1_IjLj3EES5_S5_,"axG",@progbits,_ZL33flash_attn_stream_k_fixup_uniformILi512ELi8ELi4EEvPfPK15HIP_vector_typeIfLj2EEiiiiiiS1_IjLj3EES5_S5_,comdat
	.globl	_ZL33flash_attn_stream_k_fixup_uniformILi512ELi8ELi4EEvPfPK15HIP_vector_typeIfLj2EEiiiiiiS1_IjLj3EES5_S5_ ; -- Begin function _ZL33flash_attn_stream_k_fixup_uniformILi512ELi8ELi4EEvPfPK15HIP_vector_typeIfLj2EEiiiiiiS1_IjLj3EES5_S5_
	.p2align	8
	.type	_ZL33flash_attn_stream_k_fixup_uniformILi512ELi8ELi4EEvPfPK15HIP_vector_typeIfLj2EEiiiiiiS1_IjLj3EES5_S5_,@function
_ZL33flash_attn_stream_k_fixup_uniformILi512ELi8ELi4EEvPfPK15HIP_vector_typeIfLj2EEiiiiiiS1_IjLj3EES5_S5_: ; @_ZL33flash_attn_stream_k_fixup_uniformILi512ELi8ELi4EEvPfPK15HIP_vector_typeIfLj2EEiiiiiiS1_IjLj3EES5_S5_
; %bb.0:
	s_load_dwordx8 s[8:15], s[0:1], 0x1c
	s_load_dwordx2 s[6:7], s[0:1], 0x10
	s_load_dwordx4 s[20:23], s[0:1], 0x3c
	s_waitcnt lgkmcnt(0)
	s_mul_hi_u32 s5, s11, s2
	s_add_i32 s5, s2, s5
	s_lshr_b32 s5, s5, s12
	s_mul_i32 s11, s5, s13
	s_sub_i32 s11, s2, s11
	s_mul_hi_u32 s12, s11, s14
	s_add_i32 s12, s11, s12
	s_lshr_b32 s16, s12, s15
	s_mul_i32 s12, s16, s20
	s_sub_i32 s11, s11, s12
	;; [unrolled: 5-line block ×3, first 2 shown]
	s_lshl_b32 s11, s12, 2
	s_lshl_b32 s12, s17, 3
	s_add_i32 s12, s12, s3
	s_cmp_lt_i32 s12, s6
	s_cselect_b64 s[12:13], -1, 0
	s_add_i32 s14, s11, s4
	s_cmp_lt_i32 s14, s9
	s_cselect_b64 s[14:15], -1, 0
	s_and_b64 s[12:13], s[12:13], s[14:15]
	s_andn2_b64 vcc, exec, s[12:13]
	s_cbranch_vccnz .LBB36_6
; %bb.1:
	s_load_dwordx4 s[12:15], s[0:1], 0x0
	s_mul_i32 s0, s5, s6
	s_add_i32 s0, s0, s3
	s_mul_i32 s0, s0, s7
	s_mul_i32 s16, s16, s9
	s_add_i32 s0, s0, s4
	s_add_i32 s0, s0, s16
	s_mul_i32 s1, s7, s17
	s_add_i32 s0, s0, s11
	s_lshl_b32 s1, s1, 12
	s_lshl_b32 s0, s0, 9
	s_add_i32 s1, s1, s0
	v_or_b32_e32 v4, s1, v0
	s_waitcnt lgkmcnt(0)
	v_mov_b32_e32 v2, s12
	v_mov_b32_e32 v3, s13
	v_ashrrev_i32_e32 v5, 31, v4
	v_lshl_add_u64 v[2:3], v[4:5], 2, v[2:3]
	global_load_dword v5, v[2:3], off
	s_mul_i32 s5, s10, s2
	s_lshl_b32 s11, s3, 2
	s_add_i32 s9, s5, s10
	s_add_i32 s0, s11, s4
	s_lshl_b32 s1, s9, 5
	s_add_i32 s0, s0, s1
	s_sub_i32 s0, s0, 32
	s_ashr_i32 s1, s0, 31
	s_lshl_b64 s[0:1], s[0:1], 3
	s_add_u32 s0, s14, s0
	s_addc_u32 s1, s15, s1
	s_load_dword s12, s[0:1], 0x4
	s_add_i32 s6, s9, -2
	s_cmp_lt_i32 s6, s5
	s_cbranch_scc1 .LBB36_4
; %bb.2:
	s_lshl_b32 s6, s8, 7
	s_ashr_i32 s7, s6, 31
	s_lshl_b64 s[6:7], s[6:7], 2
	s_add_u32 s6, s14, s6
	s_addc_u32 s7, s15, s7
	s_add_i32 s2, s2, 1
	s_load_dword s0, s[0:1], 0x0
	s_mul_i32 s1, s10, s2
	s_lshl_b32 s3, s3, 11
	s_lshl_b32 s10, s4, 9
	;; [unrolled: 1-line block ×3, first 2 shown]
	s_add_i32 s3, s10, s3
	s_lshl_b32 s1, s1, 5
	s_add_i32 s3, s3, s2
	s_add_i32 s1, s4, s1
	s_lshl_b32 s2, s8, 5
	s_add_i32 s1, s1, s2
	v_or_b32_e32 v0, s3, v0
	s_add_i32 s1, s1, s11
	s_add_i32 s9, s9, -1
	v_add_u32_e32 v0, 0xffff8000, v0
	s_sub_i32 s2, s1, 64
	s_waitcnt lgkmcnt(0)
	v_mov_b32_e32 v7, s0
	v_mov_b32_e32 v4, s12
	s_mov_b32 s4, 0x3fb8aa3b
	s_mov_b32 s8, 0xc2ce8ed0
	;; [unrolled: 1-line block ×3, first 2 shown]
	v_mov_b32_e32 v6, 0x7f800000
	s_mov_b32 s11, 0xc1a00000
.LBB36_3:                               ; =>This Inner Loop Header: Depth=1
	v_ashrrev_i32_e32 v1, 31, v0
	v_lshl_add_u64 v[8:9], v[0:1], 2, s[6:7]
	global_load_dword v9, v[8:9], off
	s_ashr_i32 s3, s2, 31
	s_lshl_b64 s[0:1], s[2:3], 3
	s_add_u32 s0, s14, s0
	s_addc_u32 s1, s15, s1
	s_load_dwordx2 s[0:1], s[0:1], 0x0
	v_max_f32_e32 v1, v7, v7
	s_add_i32 s9, s9, -1
	s_sub_i32 s2, s2, 32
	v_add_u32_e32 v0, 0xffffc000, v0
	s_waitcnt lgkmcnt(0)
	v_max_f32_e64 v10, s0, s0
	v_max_f32_e32 v1, v1, v10
	v_sub_f32_e32 v11, s0, v1
	v_sub_f32_e32 v10, v7, v1
	v_mul_f32_e32 v12, 0x3fb8aa3b, v11
	v_mov_b32_e32 v7, v1
	v_mul_f32_e32 v1, 0x3fb8aa3b, v10
	v_fma_f32 v15, v11, s4, -v12
	v_rndne_f32_e32 v16, v12
	v_fma_f32 v13, v10, s4, -v1
	v_rndne_f32_e32 v14, v1
	v_fmac_f32_e32 v15, 0x32a5705f, v11
	v_sub_f32_e32 v12, v12, v16
	v_fmac_f32_e32 v13, 0x32a5705f, v10
	v_sub_f32_e32 v1, v1, v14
	v_add_f32_e32 v12, v12, v15
	v_cvt_i32_f32_e32 v16, v16
	v_add_f32_e32 v1, v1, v13
	v_exp_f32_e32 v12, v12
	v_cvt_i32_f32_e32 v14, v14
	v_exp_f32_e32 v1, v1
	v_cmp_ngt_f32_e32 vcc, s8, v11
	v_ldexp_f32 v12, v12, v16
	v_mov_b32_e32 v8, s1
	v_ldexp_f32 v1, v1, v14
	v_cmp_ngt_f32_e64 s[0:1], s8, v10
	v_cndmask_b32_e32 v12, 0, v12, vcc
	v_cmp_nlt_f32_e32 vcc, s10, v11
	v_cndmask_b32_e64 v1, 0, v1, s[0:1]
	v_cmp_nlt_f32_e64 s[0:1], s10, v10
	v_cndmask_b32_e32 v12, v6, v12, vcc
	v_cmp_le_f32_e32 vcc, s11, v11
	v_cndmask_b32_e64 v1, v6, v1, s[0:1]
	v_cmp_le_f32_e64 s[0:1], s11, v10
	v_cndmask_b32_e32 v12, 0, v12, vcc
	s_cmp_le_i32 s9, s5
	v_cndmask_b32_e64 v10, 0, v1, s[0:1]
	s_waitcnt vmcnt(0)
	v_pk_mul_f32 v[8:9], v[8:9], v[12:13] op_sel_hi:[1,0]
	s_nop 0
	v_pk_fma_f32 v[4:5], v[4:5], v[10:11], v[8:9] op_sel_hi:[1,0,1]
	s_cbranch_scc0 .LBB36_3
	s_branch .LBB36_5
.LBB36_4:
	s_waitcnt lgkmcnt(0)
	v_mov_b32_e32 v4, s12
.LBB36_5:
	s_waitcnt vmcnt(0)
	v_div_scale_f32 v0, s[0:1], v4, v4, v5
	v_rcp_f32_e32 v1, v0
	v_div_scale_f32 v6, vcc, v5, v4, v5
	v_fma_f32 v7, -v0, v1, 1.0
	v_fmac_f32_e32 v1, v7, v1
	v_mul_f32_e32 v7, v6, v1
	v_fma_f32 v8, -v0, v7, v6
	v_fmac_f32_e32 v7, v8, v1
	v_fma_f32 v0, -v0, v7, v6
	v_div_fmas_f32 v0, v0, v1, v7
	v_div_fixup_f32 v0, v0, v4, v5
	global_store_dword v[2:3], v0, off
.LBB36_6:
	s_endpgm
	.section	.rodata,"a",@progbits
	.p2align	6, 0x0
	.amdhsa_kernel _ZL33flash_attn_stream_k_fixup_uniformILi512ELi8ELi4EEvPfPK15HIP_vector_typeIfLj2EEiiiiiiS1_IjLj3EES5_S5_
		.amdhsa_group_segment_fixed_size 0
		.amdhsa_private_segment_fixed_size 0
		.amdhsa_kernarg_size 76
		.amdhsa_user_sgpr_count 2
		.amdhsa_user_sgpr_dispatch_ptr 0
		.amdhsa_user_sgpr_queue_ptr 0
		.amdhsa_user_sgpr_kernarg_segment_ptr 1
		.amdhsa_user_sgpr_dispatch_id 0
		.amdhsa_user_sgpr_kernarg_preload_length 0
		.amdhsa_user_sgpr_kernarg_preload_offset 0
		.amdhsa_user_sgpr_private_segment_size 0
		.amdhsa_uses_dynamic_stack 0
		.amdhsa_enable_private_segment 0
		.amdhsa_system_sgpr_workgroup_id_x 1
		.amdhsa_system_sgpr_workgroup_id_y 1
		.amdhsa_system_sgpr_workgroup_id_z 1
		.amdhsa_system_sgpr_workgroup_info 0
		.amdhsa_system_vgpr_workitem_id 0
		.amdhsa_next_free_vgpr 17
		.amdhsa_next_free_sgpr 24
		.amdhsa_accum_offset 20
		.amdhsa_reserve_vcc 1
		.amdhsa_float_round_mode_32 0
		.amdhsa_float_round_mode_16_64 0
		.amdhsa_float_denorm_mode_32 3
		.amdhsa_float_denorm_mode_16_64 3
		.amdhsa_dx10_clamp 1
		.amdhsa_ieee_mode 1
		.amdhsa_fp16_overflow 0
		.amdhsa_tg_split 0
		.amdhsa_exception_fp_ieee_invalid_op 0
		.amdhsa_exception_fp_denorm_src 0
		.amdhsa_exception_fp_ieee_div_zero 0
		.amdhsa_exception_fp_ieee_overflow 0
		.amdhsa_exception_fp_ieee_underflow 0
		.amdhsa_exception_fp_ieee_inexact 0
		.amdhsa_exception_int_div_zero 0
	.end_amdhsa_kernel
	.section	.text._ZL33flash_attn_stream_k_fixup_uniformILi512ELi8ELi4EEvPfPK15HIP_vector_typeIfLj2EEiiiiiiS1_IjLj3EES5_S5_,"axG",@progbits,_ZL33flash_attn_stream_k_fixup_uniformILi512ELi8ELi4EEvPfPK15HIP_vector_typeIfLj2EEiiiiiiS1_IjLj3EES5_S5_,comdat
.Lfunc_end36:
	.size	_ZL33flash_attn_stream_k_fixup_uniformILi512ELi8ELi4EEvPfPK15HIP_vector_typeIfLj2EEiiiiiiS1_IjLj3EES5_S5_, .Lfunc_end36-_ZL33flash_attn_stream_k_fixup_uniformILi512ELi8ELi4EEvPfPK15HIP_vector_typeIfLj2EEiiiiiiS1_IjLj3EES5_S5_
                                        ; -- End function
	.set _ZL33flash_attn_stream_k_fixup_uniformILi512ELi8ELi4EEvPfPK15HIP_vector_typeIfLj2EEiiiiiiS1_IjLj3EES5_S5_.num_vgpr, 17
	.set _ZL33flash_attn_stream_k_fixup_uniformILi512ELi8ELi4EEvPfPK15HIP_vector_typeIfLj2EEiiiiiiS1_IjLj3EES5_S5_.num_agpr, 0
	.set _ZL33flash_attn_stream_k_fixup_uniformILi512ELi8ELi4EEvPfPK15HIP_vector_typeIfLj2EEiiiiiiS1_IjLj3EES5_S5_.numbered_sgpr, 24
	.set _ZL33flash_attn_stream_k_fixup_uniformILi512ELi8ELi4EEvPfPK15HIP_vector_typeIfLj2EEiiiiiiS1_IjLj3EES5_S5_.num_named_barrier, 0
	.set _ZL33flash_attn_stream_k_fixup_uniformILi512ELi8ELi4EEvPfPK15HIP_vector_typeIfLj2EEiiiiiiS1_IjLj3EES5_S5_.private_seg_size, 0
	.set _ZL33flash_attn_stream_k_fixup_uniformILi512ELi8ELi4EEvPfPK15HIP_vector_typeIfLj2EEiiiiiiS1_IjLj3EES5_S5_.uses_vcc, 1
	.set _ZL33flash_attn_stream_k_fixup_uniformILi512ELi8ELi4EEvPfPK15HIP_vector_typeIfLj2EEiiiiiiS1_IjLj3EES5_S5_.uses_flat_scratch, 0
	.set _ZL33flash_attn_stream_k_fixup_uniformILi512ELi8ELi4EEvPfPK15HIP_vector_typeIfLj2EEiiiiiiS1_IjLj3EES5_S5_.has_dyn_sized_stack, 0
	.set _ZL33flash_attn_stream_k_fixup_uniformILi512ELi8ELi4EEvPfPK15HIP_vector_typeIfLj2EEiiiiiiS1_IjLj3EES5_S5_.has_recursion, 0
	.set _ZL33flash_attn_stream_k_fixup_uniformILi512ELi8ELi4EEvPfPK15HIP_vector_typeIfLj2EEiiiiiiS1_IjLj3EES5_S5_.has_indirect_call, 0
	.section	.AMDGPU.csdata,"",@progbits
; Kernel info:
; codeLenInByte = 836
; TotalNumSgprs: 30
; NumVgprs: 17
; NumAgprs: 0
; TotalNumVgprs: 17
; ScratchSize: 0
; MemoryBound: 0
; FloatMode: 240
; IeeeMode: 1
; LDSByteSize: 0 bytes/workgroup (compile time only)
; SGPRBlocks: 3
; VGPRBlocks: 2
; NumSGPRsForWavesPerEU: 30
; NumVGPRsForWavesPerEU: 17
; AccumOffset: 20
; Occupancy: 8
; WaveLimiterHint : 0
; COMPUTE_PGM_RSRC2:SCRATCH_EN: 0
; COMPUTE_PGM_RSRC2:USER_SGPR: 2
; COMPUTE_PGM_RSRC2:TRAP_HANDLER: 0
; COMPUTE_PGM_RSRC2:TGID_X_EN: 1
; COMPUTE_PGM_RSRC2:TGID_Y_EN: 1
; COMPUTE_PGM_RSRC2:TGID_Z_EN: 1
; COMPUTE_PGM_RSRC2:TIDIG_COMP_CNT: 0
; COMPUTE_PGM_RSRC3_GFX90A:ACCUM_OFFSET: 4
; COMPUTE_PGM_RSRC3_GFX90A:TG_SPLIT: 0
	.section	.text._ZL33flash_attn_stream_k_fixup_generalILi512ELi8ELi4EEvPfPK15HIP_vector_typeIfLj2EEiiiiS1_IjLj3EES5_S5_S5_,"axG",@progbits,_ZL33flash_attn_stream_k_fixup_generalILi512ELi8ELi4EEvPfPK15HIP_vector_typeIfLj2EEiiiiS1_IjLj3EES5_S5_S5_,comdat
	.globl	_ZL33flash_attn_stream_k_fixup_generalILi512ELi8ELi4EEvPfPK15HIP_vector_typeIfLj2EEiiiiS1_IjLj3EES5_S5_S5_ ; -- Begin function _ZL33flash_attn_stream_k_fixup_generalILi512ELi8ELi4EEvPfPK15HIP_vector_typeIfLj2EEiiiiS1_IjLj3EES5_S5_S5_
	.p2align	8
	.type	_ZL33flash_attn_stream_k_fixup_generalILi512ELi8ELi4EEvPfPK15HIP_vector_typeIfLj2EEiiiiS1_IjLj3EES5_S5_S5_,@function
_ZL33flash_attn_stream_k_fixup_generalILi512ELi8ELi4EEvPfPK15HIP_vector_typeIfLj2EEiiiiS1_IjLj3EES5_S5_S5_: ; @_ZL33flash_attn_stream_k_fixup_generalILi512ELi8ELi4EEvPfPK15HIP_vector_typeIfLj2EEiiiiS1_IjLj3EES5_S5_S5_
; %bb.0:
	s_load_dwordx4 s[8:11], s[0:1], 0x10
	s_load_dword s22, s[0:1], 0x50
	s_mov_b32 s12, 0
	s_waitcnt lgkmcnt(0)
	s_mul_hi_i32 s13, s11, s2
	s_cmp_lg_u64 s[12:13], 0
	s_mul_i32 s5, s11, s2
	s_cbranch_scc0 .LBB37_20
; %bb.1:
	s_add_u32 s6, s22, 0
	s_addc_u32 s7, 0, 0
	s_xor_b64 s[6:7], s[6:7], 0
	v_cvt_f32_u32_e32 v1, s6
	v_cvt_f32_u32_e32 v2, s7
	s_sub_u32 s12, 0, s6
	s_subb_u32 s18, 0, s7
	v_fmamk_f32 v1, v2, 0x4f800000, v1
	v_rcp_f32_e32 v1, v1
	s_nop 0
	v_mul_f32_e32 v1, 0x5f7ffffc, v1
	v_mul_f32_e32 v2, 0x2f800000, v1
	v_trunc_f32_e32 v2, v2
	v_fmamk_f32 v1, v2, 0xcf800000, v1
	v_cvt_u32_f32_e32 v2, v2
	v_cvt_u32_f32_e32 v1, v1
	v_readfirstlane_b32 s19, v2
	v_readfirstlane_b32 s14, v1
	s_mul_i32 s15, s12, s19
	s_mul_hi_u32 s21, s12, s14
	s_mul_i32 s20, s18, s14
	s_add_i32 s15, s21, s15
	s_add_i32 s15, s15, s20
	s_mul_i32 s23, s12, s14
	s_mul_i32 s21, s14, s15
	s_mul_hi_u32 s24, s14, s23
	s_mul_hi_u32 s20, s14, s15
	s_add_u32 s21, s24, s21
	s_addc_u32 s20, 0, s20
	s_mul_hi_u32 s25, s19, s23
	s_mul_i32 s23, s19, s23
	s_add_u32 s21, s21, s23
	s_mul_hi_u32 s24, s19, s15
	s_addc_u32 s20, s20, s25
	s_addc_u32 s21, s24, 0
	s_mul_i32 s15, s19, s15
	s_add_u32 s15, s20, s15
	s_addc_u32 s20, 0, s21
	s_add_u32 s21, s14, s15
	s_cselect_b64 s[14:15], -1, 0
	s_cmp_lg_u64 s[14:15], 0
	s_addc_u32 s19, s19, s20
	s_mul_i32 s14, s12, s19
	s_mul_hi_u32 s15, s12, s21
	s_add_i32 s14, s15, s14
	s_mul_i32 s18, s18, s21
	s_add_i32 s14, s14, s18
	s_mul_i32 s12, s12, s21
	s_mul_hi_u32 s18, s19, s12
	s_mul_i32 s20, s19, s12
	s_mul_i32 s24, s21, s14
	s_mul_hi_u32 s12, s21, s12
	s_mul_hi_u32 s23, s21, s14
	s_add_u32 s12, s12, s24
	s_addc_u32 s23, 0, s23
	s_add_u32 s12, s12, s20
	s_mul_hi_u32 s15, s19, s14
	s_addc_u32 s12, s23, s18
	s_addc_u32 s15, s15, 0
	s_mul_i32 s14, s19, s14
	s_add_u32 s12, s12, s14
	s_addc_u32 s18, 0, s15
	s_add_u32 s20, s21, s12
	s_cselect_b64 s[14:15], -1, 0
	s_cmp_lg_u64 s[14:15], 0
	s_addc_u32 s18, s19, s18
	s_ashr_i32 s14, s13, 31
	s_add_u32 s12, s5, s14
	s_mov_b32 s15, s14
	s_addc_u32 s13, s13, s14
	s_xor_b64 s[12:13], s[12:13], s[14:15]
	s_mul_i32 s21, s12, s18
	s_mul_hi_u32 s23, s12, s20
	s_mul_hi_u32 s19, s12, s18
	s_add_u32 s21, s23, s21
	s_addc_u32 s19, 0, s19
	s_mul_hi_u32 s24, s13, s20
	s_mul_i32 s20, s13, s20
	s_add_u32 s20, s21, s20
	s_mul_hi_u32 s23, s13, s18
	s_addc_u32 s19, s19, s24
	s_addc_u32 s20, s23, 0
	s_mul_i32 s18, s13, s18
	s_add_u32 s23, s19, s18
	s_addc_u32 s24, 0, s20
	s_mul_i32 s18, s6, s24
	s_mul_hi_u32 s19, s6, s23
	s_add_i32 s18, s19, s18
	s_mul_i32 s19, s7, s23
	s_add_i32 s25, s18, s19
	s_sub_i32 s20, s13, s25
	s_mul_i32 s18, s6, s23
	s_sub_u32 s12, s12, s18
	s_cselect_b64 s[18:19], -1, 0
	s_cmp_lg_u64 s[18:19], 0
	s_subb_u32 s26, s20, s7
	s_sub_u32 s27, s12, s6
	s_cselect_b64 s[20:21], -1, 0
	s_cmp_lg_u64 s[20:21], 0
	s_subb_u32 s20, s26, 0
	s_cmp_ge_u32 s20, s7
	s_cselect_b32 s21, -1, 0
	s_cmp_ge_u32 s27, s6
	s_cselect_b32 s26, -1, 0
	s_cmp_eq_u32 s20, s7
	s_cselect_b32 s20, s26, s21
	s_add_u32 s21, s23, 1
	s_addc_u32 s26, s24, 0
	s_add_u32 s27, s23, 2
	s_addc_u32 s28, s24, 0
	s_cmp_lg_u32 s20, 0
	s_cselect_b32 s20, s27, s21
	s_cselect_b32 s21, s28, s26
	s_cmp_lg_u64 s[18:19], 0
	s_subb_u32 s13, s13, s25
	s_cmp_ge_u32 s13, s7
	s_cselect_b32 s18, -1, 0
	s_cmp_ge_u32 s12, s6
	s_cselect_b32 s6, -1, 0
	s_cmp_eq_u32 s13, s7
	s_cselect_b32 s6, s6, s18
	s_cmp_lg_u32 s6, 0
	s_cselect_b32 s7, s21, s24
	s_cselect_b32 s6, s20, s23
	s_xor_b64 s[12:13], s[14:15], 0
	s_xor_b64 s[6:7], s[6:7], s[12:13]
	s_sub_u32 s6, s6, s12
	s_load_dwordx4 s[12:15], s[0:1], 0x44
	s_cbranch_execnz .LBB37_3
.LBB37_2:
	v_cvt_f32_u32_e32 v1, s22
	s_sub_i32 s6, 0, s22
	v_rcp_iflag_f32_e32 v1, v1
	s_nop 0
	v_mul_f32_e32 v1, 0x4f7ffffe, v1
	v_cvt_u32_f32_e32 v1, v1
	s_nop 0
	v_readfirstlane_b32 s7, v1
	s_mul_i32 s6, s6, s7
	s_mul_hi_u32 s6, s7, s6
	s_add_i32 s7, s7, s6
	s_mul_hi_u32 s6, s5, s7
	s_waitcnt lgkmcnt(0)
	s_mul_i32 s15, s6, s22
	s_sub_i32 s5, s5, s15
	s_add_i32 s7, s6, 1
	s_sub_i32 s15, s5, s22
	s_cmp_ge_u32 s5, s22
	s_cselect_b32 s6, s7, s6
	s_cselect_b32 s5, s15, s5
	s_add_i32 s7, s6, 1
	s_cmp_ge_u32 s5, s22
	s_cselect_b32 s6, s7, s6
.LBB37_3:
	s_add_i32 s5, s2, 1
	s_mul_hi_i32 s21, s11, s5
	s_mov_b32 s20, 0
	s_cmp_lg_u64 s[20:21], 0
	s_mul_i32 s5, s11, s5
	s_cbranch_scc0 .LBB37_21
; %bb.4:
	s_add_u32 s16, s22, 0
	s_addc_u32 s17, 0, 0
	s_xor_b64 s[18:19], s[16:17], 0
	v_cvt_f32_u32_e32 v1, s18
	v_cvt_f32_u32_e32 v2, s19
	s_sub_u32 s7, 0, s18
	s_waitcnt lgkmcnt(0)
	s_subb_u32 s15, 0, s19
	v_fmamk_f32 v1, v2, 0x4f800000, v1
	v_rcp_f32_e32 v1, v1
	s_nop 0
	v_mul_f32_e32 v1, 0x5f7ffffc, v1
	v_mul_f32_e32 v2, 0x2f800000, v1
	v_trunc_f32_e32 v2, v2
	v_fmamk_f32 v1, v2, 0xcf800000, v1
	v_cvt_u32_f32_e32 v2, v2
	v_cvt_u32_f32_e32 v1, v1
	v_readfirstlane_b32 s20, v2
	v_readfirstlane_b32 s23, v1
	s_mul_i32 s24, s7, s20
	s_mul_hi_u32 s26, s7, s23
	s_mul_i32 s25, s15, s23
	s_add_i32 s24, s26, s24
	s_add_i32 s24, s24, s25
	s_mul_i32 s27, s7, s23
	s_mul_i32 s26, s23, s24
	s_mul_hi_u32 s28, s23, s27
	s_mul_hi_u32 s25, s23, s24
	s_add_u32 s26, s28, s26
	s_addc_u32 s25, 0, s25
	s_mul_hi_u32 s29, s20, s27
	s_mul_i32 s27, s20, s27
	s_add_u32 s26, s26, s27
	s_mul_hi_u32 s28, s20, s24
	s_addc_u32 s25, s25, s29
	s_addc_u32 s26, s28, 0
	s_mul_i32 s24, s20, s24
	s_add_u32 s24, s25, s24
	s_addc_u32 s26, 0, s26
	s_add_u32 s23, s23, s24
	s_cselect_b64 s[24:25], -1, 0
	s_cmp_lg_u64 s[24:25], 0
	s_addc_u32 s20, s20, s26
	s_mul_i32 s24, s7, s20
	s_mul_hi_u32 s25, s7, s23
	s_add_i32 s24, s25, s24
	s_mul_i32 s15, s15, s23
	s_add_i32 s24, s24, s15
	s_mul_i32 s7, s7, s23
	s_mul_hi_u32 s25, s20, s7
	s_mul_i32 s26, s20, s7
	s_mul_i32 s28, s23, s24
	s_mul_hi_u32 s7, s23, s7
	s_mul_hi_u32 s27, s23, s24
	s_add_u32 s7, s7, s28
	s_addc_u32 s27, 0, s27
	s_add_u32 s7, s7, s26
	s_mul_hi_u32 s15, s20, s24
	s_addc_u32 s7, s27, s25
	s_addc_u32 s15, s15, 0
	s_mul_i32 s24, s20, s24
	s_add_u32 s7, s7, s24
	s_addc_u32 s15, 0, s15
	s_add_u32 s7, s23, s7
	s_cselect_b64 s[24:25], -1, 0
	s_cmp_lg_u64 s[24:25], 0
	s_addc_u32 s15, s20, s15
	s_ashr_i32 s24, s21, 31
	s_add_u32 s20, s5, s24
	s_mov_b32 s25, s24
	s_addc_u32 s21, s21, s24
	s_xor_b64 s[20:21], s[20:21], s[24:25]
	s_mul_i32 s26, s20, s15
	s_mul_hi_u32 s27, s20, s7
	s_mul_hi_u32 s23, s20, s15
	s_add_u32 s26, s27, s26
	s_addc_u32 s23, 0, s23
	s_mul_hi_u32 s28, s21, s7
	s_mul_i32 s7, s21, s7
	s_add_u32 s7, s26, s7
	s_mul_hi_u32 s27, s21, s15
	s_addc_u32 s7, s23, s28
	s_addc_u32 s23, s27, 0
	s_mul_i32 s15, s21, s15
	s_add_u32 s7, s7, s15
	s_addc_u32 s15, 0, s23
	s_mul_i32 s23, s18, s15
	s_mul_hi_u32 s26, s18, s7
	s_add_i32 s23, s26, s23
	s_mul_i32 s26, s19, s7
	s_add_i32 s23, s23, s26
	s_sub_i32 s28, s21, s23
	s_mul_i32 s26, s18, s7
	s_sub_u32 s20, s20, s26
	s_cselect_b64 s[26:27], -1, 0
	s_cmp_lg_u64 s[26:27], 0
	s_subb_u32 s30, s28, s19
	s_sub_u32 s31, s20, s18
	s_cselect_b64 s[28:29], -1, 0
	s_cmp_lg_u64 s[28:29], 0
	s_subb_u32 s28, s30, 0
	s_cmp_ge_u32 s28, s19
	s_cselect_b32 s29, -1, 0
	s_cmp_ge_u32 s31, s18
	s_cselect_b32 s30, -1, 0
	s_cmp_eq_u32 s28, s19
	s_cselect_b32 s28, s30, s29
	s_add_u32 s29, s7, 1
	s_addc_u32 s30, s15, 0
	s_add_u32 s31, s7, 2
	s_addc_u32 s33, s15, 0
	s_cmp_lg_u32 s28, 0
	s_cselect_b32 s28, s31, s29
	s_cselect_b32 s29, s33, s30
	s_cmp_lg_u64 s[26:27], 0
	s_subb_u32 s21, s21, s23
	s_cmp_ge_u32 s21, s19
	s_cselect_b32 s23, -1, 0
	s_cmp_ge_u32 s20, s18
	s_cselect_b32 s18, -1, 0
	s_cmp_eq_u32 s21, s19
	s_cselect_b32 s18, s18, s23
	s_cmp_lg_u32 s18, 0
	s_cselect_b32 s19, s29, s15
	s_cselect_b32 s18, s28, s7
	s_xor_b64 s[20:21], s[24:25], 0
	s_xor_b64 s[18:19], s[18:19], s[20:21]
	s_sub_u32 s18, s18, s20
	s_cbranch_execnz .LBB37_6
.LBB37_5:
	v_cvt_f32_u32_e32 v1, s22
	s_sub_i32 s7, 0, s22
	v_rcp_iflag_f32_e32 v1, v1
	s_nop 0
	v_mul_f32_e32 v1, 0x4f7ffffe, v1
	v_cvt_u32_f32_e32 v1, v1
	s_waitcnt lgkmcnt(0)
	v_readfirstlane_b32 s15, v1
	s_mul_i32 s7, s7, s15
	s_mul_hi_u32 s7, s15, s7
	s_add_i32 s15, s15, s7
	s_mul_hi_u32 s7, s5, s15
	s_mul_i32 s16, s7, s22
	s_sub_i32 s5, s5, s16
	s_add_i32 s15, s7, 1
	s_sub_i32 s16, s5, s22
	s_cmp_ge_u32 s5, s22
	s_cselect_b32 s7, s15, s7
	s_cselect_b32 s5, s16, s5
	s_add_i32 s15, s7, 1
	s_cmp_ge_u32 s5, s22
	s_cselect_b32 s18, s15, s7
.LBB37_6:
	s_cmp_eq_u32 s6, s18
	s_waitcnt lgkmcnt(0)
	s_mul_hi_u32 s5, s6, s12
	s_cselect_b64 s[16:17], -1, 0
	s_add_i32 s5, s5, s6
	s_lshr_b32 s7, s5, s13
	s_mul_i32 s5, s7, s14
	s_cmp_eq_u32 s5, s6
	s_mul_hi_u32 s5, s18, s12
	s_cselect_b64 s[20:21], -1, 0
	s_add_i32 s5, s5, s18
	s_lshr_b32 s5, s5, s13
	s_cmp_eq_u32 s7, s5
	s_mul_i32 s5, s5, s14
	s_cselect_b64 s[24:25], -1, 0
	s_cmp_lg_u32 s5, s18
	s_cselect_b64 s[18:19], -1, 0
	s_and_b64 s[18:19], s[24:25], s[18:19]
	s_or_b64 s[16:17], s[16:17], s[20:21]
	s_or_b64 s[16:17], s[16:17], s[18:19]
	s_and_b64 vcc, exec, s[16:17]
	s_cbranch_vccnz .LBB37_23
; %bb.7:
	s_load_dwordx8 s[24:31], s[0:1], 0x20
	s_load_dword s15, s[0:1], 0x40
	s_waitcnt lgkmcnt(0)
	s_mul_hi_u32 s5, s6, s24
	s_add_i32 s5, s5, s6
	s_lshr_b32 s5, s5, s25
	s_mul_i32 s16, s5, s26
	s_sub_i32 s16, s6, s16
	s_mul_hi_u32 s17, s16, s27
	s_add_i32 s17, s16, s17
	s_lshr_b32 s20, s17, s28
	s_mul_i32 s17, s20, s29
	s_sub_i32 s16, s16, s17
	;; [unrolled: 5-line block ×3, first 2 shown]
	s_mul_hi_u32 s16, s15, s12
	s_add_i32 s15, s15, s16
	s_lshr_b32 s23, s15, s13
	s_lshl_b32 s15, s23, 3
	s_lshl_b32 s21, s17, 2
	s_add_i32 s15, s15, s3
	s_cmp_lt_i32 s15, s8
	s_cselect_b64 s[16:17], -1, 0
	s_add_i32 s15, s21, s4
	s_cmp_lt_i32 s15, s10
	s_cselect_b64 s[18:19], -1, 0
	s_and_b64 s[16:17], s[16:17], s[18:19]
	s_andn2_b64 vcc, exec, s[16:17]
	s_cbranch_vccnz .LBB37_23
; %bb.8:
	s_load_dwordx4 s[16:19], s[0:1], 0x0
	s_mov_b32 s0, 0
	s_lshl_b32 s15, s3, 2
	s_lshl_b32 s24, s22, 7
	s_mov_b32 s25, s0
	s_add_i32 s15, s15, s4
	s_waitcnt lgkmcnt(0)
	v_mov_b32_e32 v2, s16
	v_mov_b32_e32 v3, s17
	s_lshl_b64 s[16:17], s[24:25], 2
	s_add_u32 s16, s18, s16
	s_mul_i32 s1, s5, s8
	s_addc_u32 s17, s19, s17
	s_add_i32 s1, s1, s3
	s_mul_i32 s1, s1, s9
	s_mul_i32 s20, s20, s10
	s_add_i32 s1, s1, s4
	s_add_i32 s1, s1, s20
	s_mul_i32 s5, s9, s23
	s_add_i32 s1, s1, s21
	s_lshl_b32 s5, s5, 12
	s_lshl_b32 s1, s1, 9
	s_add_i32 s5, s5, s1
	v_or_b32_e32 v4, s5, v0
	v_ashrrev_i32_e32 v5, 31, v4
	v_lshl_add_u64 v[2:3], v[4:5], 2, v[2:3]
	global_load_dword v1, v[2:3], off
	v_cvt_f32_u32_e32 v4, s22
	s_lshl_b32 s1, s2, 5
	s_add_i32 s4, s15, s1
	s_ashr_i32 s5, s4, 31
	s_lshl_b64 s[4:5], s[4:5], 3
	v_rcp_iflag_f32_e32 v4, v4
	s_add_u32 s4, s18, s4
	s_addc_u32 s5, s19, s5
	s_load_dwordx2 s[4:5], s[4:5], 0x0
	v_mul_f32_e32 v4, 0x4f7ffffe, v4
	v_cvt_u32_f32_e32 v7, v4
	s_add_i32 s24, s2, -1
	v_lshl_or_b32 v6, s15, 9, v0
	s_waitcnt lgkmcnt(0)
	v_mov_b32_e32 v0, s5
	v_mov_b32_e32 v9, s4
	s_mov_b32 s10, 0x3fb8aa3b
	s_mov_b32 s20, 0xc2ce8ed0
	;; [unrolled: 1-line block ×4, first 2 shown]
	v_mov_b32_e32 v8, 0x7f800000
	s_mul_hi_i32 s1, s24, s11
	s_cmp_lg_u64 s[0:1], 0
	s_mul_i32 s8, s24, s11
	s_cbranch_scc0 .LBB37_19
.LBB37_9:
	s_add_u32 s2, s22, 0
	s_addc_u32 s3, 0, 0
	s_xor_b64 s[2:3], s[2:3], 0
	v_cvt_f32_u32_e32 v4, s2
	v_cvt_f32_u32_e32 v5, s3
	s_sub_u32 s9, 0, s2
	s_subb_u32 s25, 0, s3
	v_fmac_f32_e32 v4, 0x4f800000, v5
	v_rcp_f32_e32 v4, v4
	s_nop 0
	v_mul_f32_e32 v4, 0x5f7ffffc, v4
	v_mul_f32_e32 v5, 0x2f800000, v4
	v_trunc_f32_e32 v5, v5
	v_fmac_f32_e32 v4, 0xcf800000, v5
	v_cvt_u32_f32_e32 v5, v5
	v_cvt_u32_f32_e32 v4, v4
	v_readfirstlane_b32 s26, v5
	v_readfirstlane_b32 s4, v4
	s_mul_i32 s5, s9, s26
	s_mul_hi_u32 s28, s9, s4
	s_mul_i32 s27, s25, s4
	s_add_i32 s5, s28, s5
	s_mul_i32 s29, s9, s4
	s_add_i32 s5, s5, s27
	s_mul_i32 s28, s4, s5
	s_mul_hi_u32 s30, s4, s29
	s_mul_hi_u32 s27, s4, s5
	s_add_u32 s28, s30, s28
	s_addc_u32 s27, 0, s27
	s_mul_hi_u32 s31, s26, s29
	s_mul_i32 s29, s26, s29
	s_add_u32 s28, s28, s29
	s_mul_hi_u32 s30, s26, s5
	s_addc_u32 s27, s27, s31
	s_addc_u32 s28, s30, 0
	s_mul_i32 s5, s26, s5
	s_add_u32 s5, s27, s5
	s_addc_u32 s27, 0, s28
	s_add_u32 s28, s4, s5
	s_cselect_b64 s[4:5], -1, 0
	s_cmp_lg_u64 s[4:5], 0
	s_addc_u32 s26, s26, s27
	s_mul_i32 s4, s9, s26
	s_mul_hi_u32 s5, s9, s28
	s_add_i32 s4, s5, s4
	s_mul_i32 s25, s25, s28
	s_add_i32 s4, s4, s25
	s_mul_i32 s9, s9, s28
	s_mul_hi_u32 s25, s26, s9
	s_mul_i32 s27, s26, s9
	s_mul_i32 s30, s28, s4
	s_mul_hi_u32 s9, s28, s9
	s_mul_hi_u32 s29, s28, s4
	s_add_u32 s9, s9, s30
	s_addc_u32 s29, 0, s29
	s_add_u32 s9, s9, s27
	s_mul_hi_u32 s5, s26, s4
	s_addc_u32 s9, s29, s25
	s_addc_u32 s5, s5, 0
	s_mul_i32 s4, s26, s4
	s_add_u32 s4, s9, s4
	s_addc_u32 s9, 0, s5
	s_add_u32 s25, s28, s4
	s_cselect_b64 s[4:5], -1, 0
	s_cmp_lg_u64 s[4:5], 0
	s_addc_u32 s9, s26, s9
	s_ashr_i32 s4, s1, 31
	s_add_u32 s26, s8, s4
	s_mov_b32 s5, s4
	s_addc_u32 s27, s1, s4
	s_xor_b64 s[26:27], s[26:27], s[4:5]
	s_mul_i32 s28, s26, s9
	s_mul_hi_u32 s29, s26, s25
	s_mul_hi_u32 s1, s26, s9
	s_add_u32 s28, s29, s28
	s_addc_u32 s1, 0, s1
	s_mul_hi_u32 s30, s27, s25
	s_mul_i32 s25, s27, s25
	s_add_u32 s25, s28, s25
	s_mul_hi_u32 s29, s27, s9
	s_addc_u32 s1, s1, s30
	s_addc_u32 s25, s29, 0
	s_mul_i32 s9, s27, s9
	s_add_u32 s1, s1, s9
	s_addc_u32 s9, 0, s25
	s_mul_i32 s25, s2, s9
	s_mul_hi_u32 s28, s2, s1
	s_add_i32 s25, s28, s25
	s_mul_i32 s28, s3, s1
	s_add_i32 s25, s25, s28
	s_sub_i32 s30, s27, s25
	s_mul_i32 s28, s2, s1
	s_sub_u32 s26, s26, s28
	s_cselect_b64 s[28:29], -1, 0
	s_cmp_lg_u64 s[28:29], 0
	s_subb_u32 s33, s30, s3
	s_sub_u32 s34, s26, s2
	s_cselect_b64 s[30:31], -1, 0
	s_cmp_lg_u64 s[30:31], 0
	s_subb_u32 s30, s33, 0
	s_cmp_ge_u32 s30, s3
	s_cselect_b32 s31, -1, 0
	s_cmp_ge_u32 s34, s2
	s_cselect_b32 s33, -1, 0
	s_cmp_eq_u32 s30, s3
	s_cselect_b32 s30, s33, s31
	s_add_u32 s31, s1, 1
	s_addc_u32 s33, s9, 0
	s_add_u32 s34, s1, 2
	s_addc_u32 s35, s9, 0
	s_cmp_lg_u32 s30, 0
	s_cselect_b32 s30, s34, s31
	s_cselect_b32 s31, s35, s33
	s_cmp_lg_u64 s[28:29], 0
	s_subb_u32 s25, s27, s25
	s_cmp_ge_u32 s25, s3
	s_cselect_b32 s27, -1, 0
	s_cmp_ge_u32 s26, s2
	s_cselect_b32 s2, -1, 0
	s_cmp_eq_u32 s25, s3
	s_cselect_b32 s2, s2, s27
	s_cmp_lg_u32 s2, 0
	s_cselect_b32 s3, s31, s9
	s_cselect_b32 s2, s30, s1
	s_xor_b64 s[4:5], s[4:5], 0
	s_xor_b64 s[2:3], s[2:3], s[4:5]
	s_sub_u32 s4, s2, s4
	s_cbranch_execnz .LBB37_11
.LBB37_10:
	s_sub_i32 s1, 0, s22
	v_readfirstlane_b32 s2, v7
	s_mul_i32 s1, s1, s2
	s_mul_hi_u32 s1, s2, s1
	s_add_i32 s2, s2, s1
	s_mul_hi_u32 s1, s8, s2
	s_mul_i32 s3, s1, s22
	s_sub_i32 s3, s8, s3
	s_add_i32 s2, s1, 1
	s_sub_i32 s4, s3, s22
	s_cmp_ge_u32 s3, s22
	s_cselect_b32 s1, s2, s1
	s_cselect_b32 s3, s4, s3
	s_add_i32 s2, s1, 1
	s_cmp_ge_u32 s3, s22
	s_cselect_b32 s4, s2, s1
.LBB37_11:
	s_cmp_lg_u32 s6, s4
	s_cbranch_scc0 .LBB37_15
; %bb.12:
	s_add_i32 s1, s24, s22
	s_lshl_b32 s1, s1, 5
	s_add_i32 s2, s1, s15
	s_mov_b32 s3, s0
	s_lshl_b64 s[2:3], s[2:3], 3
	s_add_u32 s8, s18, s2
	s_mul_hi_u32 s1, s4, s12
	s_addc_u32 s9, s19, s3
	s_add_i32 s1, s1, s4
	s_lshr_b32 s1, s1, s13
	s_mul_i32 s2, s1, s14
	s_cmp_eq_u32 s2, s4
	s_cselect_b64 s[2:3], -1, 0
	s_cmp_lt_u32 s1, s7
	s_cselect_b64 s[26:27], -1, 0
	s_or_b64 s[26:27], s[26:27], s[2:3]
	s_mov_b64 s[2:3], -1
	s_and_b64 vcc, exec, s[26:27]
	s_mov_b32 s1, s24
	s_mov_b32 s25, s6
	s_cbranch_vccnz .LBB37_14
; %bb.13:
	s_add_i32 s1, s24, -1
	s_mov_b64 s[2:3], 0
	s_mov_b32 s25, s4
.LBB37_14:
	v_lshl_add_u32 v4, s24, 14, v6
	v_ashrrev_i32_e32 v5, 31, v4
	v_lshl_add_u64 v[4:5], v[4:5], 2, s[16:17]
	global_load_dword v5, v[4:5], off
	s_load_dwordx2 s[4:5], s[8:9], 0x0
	v_max_f32_e32 v4, v9, v9
	s_waitcnt lgkmcnt(0)
	v_max_f32_e64 v10, s4, s4
	v_max_f32_e32 v10, v4, v10
	v_sub_f32_e32 v11, v9, v10
	v_sub_f32_e32 v13, s4, v10
	v_mul_f32_e32 v4, 0x3fb8aa3b, v11
	v_mul_f32_e32 v12, 0x3fb8aa3b, v13
	v_fma_f32 v14, v11, s10, -v4
	v_rndne_f32_e32 v15, v4
	v_fma_f32 v16, v13, s10, -v12
	v_rndne_f32_e32 v17, v12
	v_fmac_f32_e32 v14, 0x32a5705f, v11
	v_sub_f32_e32 v4, v4, v15
	v_fmac_f32_e32 v16, 0x32a5705f, v13
	v_sub_f32_e32 v12, v12, v17
	v_add_f32_e32 v4, v4, v14
	v_cvt_i32_f32_e32 v15, v15
	v_add_f32_e32 v12, v12, v16
	v_exp_f32_e32 v14, v4
	v_cvt_i32_f32_e32 v17, v17
	v_exp_f32_e32 v12, v12
	v_cmp_ngt_f32_e32 vcc, s20, v11
	v_ldexp_f32 v14, v14, v15
	v_mov_b32_e32 v4, s5
	v_ldexp_f32 v12, v12, v17
	v_cndmask_b32_e32 v14, 0, v14, vcc
	v_cmp_ngt_f32_e32 vcc, s20, v13
	s_nop 1
	v_cndmask_b32_e32 v12, 0, v12, vcc
	v_cmp_nlt_f32_e32 vcc, s21, v11
	s_nop 1
	v_cndmask_b32_e32 v14, v8, v14, vcc
	v_cmp_nlt_f32_e32 vcc, s21, v13
	s_nop 1
	v_cndmask_b32_e32 v15, v8, v12, vcc
	v_cmp_le_f32_e32 vcc, s23, v11
	s_nop 1
	v_cndmask_b32_e32 v12, 0, v14, vcc
	v_cmp_le_f32_e32 vcc, s23, v13
	s_nop 1
	v_cndmask_b32_e32 v14, 0, v15, vcc
	s_waitcnt vmcnt(0)
	v_pk_mul_f32 v[4:5], v[4:5], v[14:15] op_sel_hi:[1,0]
	s_nop 0
	v_pk_fma_f32 v[4:5], v[0:1], v[12:13], v[4:5] op_sel_hi:[1,0,1]
	s_cbranch_execz .LBB37_16
	s_branch .LBB37_17
.LBB37_15:
                                        ; implicit-def: $vgpr4_vgpr5
                                        ; implicit-def: $sgpr2_sgpr3
                                        ; implicit-def: $vgpr10
                                        ; implicit-def: $sgpr1
                                        ; implicit-def: $sgpr25
.LBB37_16:
	s_add_i32 s1, s24, -1
	s_mov_b64 s[2:3], 0
	s_mov_b32 s25, s6
	v_mov_b32_e32 v10, v9
	s_waitcnt vmcnt(0)
	v_mov_b64_e32 v[4:5], v[0:1]
.LBB37_17:
	s_andn2_b64 vcc, exec, s[2:3]
	s_cbranch_vccz .LBB37_22
; %bb.18:
	s_mov_b32 s6, s25
	s_mov_b32 s24, s1
	v_mov_b32_e32 v9, v10
	s_waitcnt vmcnt(0)
	v_mov_b64_e32 v[0:1], v[4:5]
	s_mul_hi_i32 s1, s24, s11
	s_cmp_lg_u64 s[0:1], 0
	s_mul_i32 s8, s24, s11
	s_cbranch_scc1 .LBB37_9
.LBB37_19:
                                        ; implicit-def: $sgpr4_sgpr5
	s_branch .LBB37_10
.LBB37_20:
                                        ; implicit-def: $sgpr6_sgpr7
	s_load_dwordx4 s[12:15], s[0:1], 0x44
	s_branch .LBB37_2
.LBB37_21:
                                        ; implicit-def: $sgpr18_sgpr19
	s_branch .LBB37_5
.LBB37_22:
	v_div_scale_f32 v0, s[0:1], v4, v4, v5
	s_waitcnt vmcnt(0)
	v_rcp_f32_e32 v1, v0
	v_div_scale_f32 v6, vcc, v5, v4, v5
	v_fma_f32 v7, -v0, v1, 1.0
	v_fmac_f32_e32 v1, v7, v1
	v_mul_f32_e32 v7, v6, v1
	v_fma_f32 v8, -v0, v7, v6
	v_fmac_f32_e32 v7, v8, v1
	v_fma_f32 v0, -v0, v7, v6
	v_div_fmas_f32 v0, v0, v1, v7
	v_div_fixup_f32 v0, v0, v4, v5
	global_store_dword v[2:3], v0, off
.LBB37_23:
	s_endpgm
	.section	.rodata,"a",@progbits
	.p2align	6, 0x0
	.amdhsa_kernel _ZL33flash_attn_stream_k_fixup_generalILi512ELi8ELi4EEvPfPK15HIP_vector_typeIfLj2EEiiiiS1_IjLj3EES5_S5_S5_
		.amdhsa_group_segment_fixed_size 0
		.amdhsa_private_segment_fixed_size 0
		.amdhsa_kernarg_size 336
		.amdhsa_user_sgpr_count 2
		.amdhsa_user_sgpr_dispatch_ptr 0
		.amdhsa_user_sgpr_queue_ptr 0
		.amdhsa_user_sgpr_kernarg_segment_ptr 1
		.amdhsa_user_sgpr_dispatch_id 0
		.amdhsa_user_sgpr_kernarg_preload_length 0
		.amdhsa_user_sgpr_kernarg_preload_offset 0
		.amdhsa_user_sgpr_private_segment_size 0
		.amdhsa_uses_dynamic_stack 0
		.amdhsa_enable_private_segment 0
		.amdhsa_system_sgpr_workgroup_id_x 1
		.amdhsa_system_sgpr_workgroup_id_y 1
		.amdhsa_system_sgpr_workgroup_id_z 1
		.amdhsa_system_sgpr_workgroup_info 0
		.amdhsa_system_vgpr_workitem_id 0
		.amdhsa_next_free_vgpr 18
		.amdhsa_next_free_sgpr 36
		.amdhsa_accum_offset 20
		.amdhsa_reserve_vcc 1
		.amdhsa_float_round_mode_32 0
		.amdhsa_float_round_mode_16_64 0
		.amdhsa_float_denorm_mode_32 3
		.amdhsa_float_denorm_mode_16_64 3
		.amdhsa_dx10_clamp 1
		.amdhsa_ieee_mode 1
		.amdhsa_fp16_overflow 0
		.amdhsa_tg_split 0
		.amdhsa_exception_fp_ieee_invalid_op 0
		.amdhsa_exception_fp_denorm_src 0
		.amdhsa_exception_fp_ieee_div_zero 0
		.amdhsa_exception_fp_ieee_overflow 0
		.amdhsa_exception_fp_ieee_underflow 0
		.amdhsa_exception_fp_ieee_inexact 0
		.amdhsa_exception_int_div_zero 0
	.end_amdhsa_kernel
	.section	.text._ZL33flash_attn_stream_k_fixup_generalILi512ELi8ELi4EEvPfPK15HIP_vector_typeIfLj2EEiiiiS1_IjLj3EES5_S5_S5_,"axG",@progbits,_ZL33flash_attn_stream_k_fixup_generalILi512ELi8ELi4EEvPfPK15HIP_vector_typeIfLj2EEiiiiS1_IjLj3EES5_S5_S5_,comdat
.Lfunc_end37:
	.size	_ZL33flash_attn_stream_k_fixup_generalILi512ELi8ELi4EEvPfPK15HIP_vector_typeIfLj2EEiiiiS1_IjLj3EES5_S5_S5_, .Lfunc_end37-_ZL33flash_attn_stream_k_fixup_generalILi512ELi8ELi4EEvPfPK15HIP_vector_typeIfLj2EEiiiiS1_IjLj3EES5_S5_S5_
                                        ; -- End function
	.set _ZL33flash_attn_stream_k_fixup_generalILi512ELi8ELi4EEvPfPK15HIP_vector_typeIfLj2EEiiiiS1_IjLj3EES5_S5_S5_.num_vgpr, 18
	.set _ZL33flash_attn_stream_k_fixup_generalILi512ELi8ELi4EEvPfPK15HIP_vector_typeIfLj2EEiiiiS1_IjLj3EES5_S5_S5_.num_agpr, 0
	.set _ZL33flash_attn_stream_k_fixup_generalILi512ELi8ELi4EEvPfPK15HIP_vector_typeIfLj2EEiiiiS1_IjLj3EES5_S5_S5_.numbered_sgpr, 36
	.set _ZL33flash_attn_stream_k_fixup_generalILi512ELi8ELi4EEvPfPK15HIP_vector_typeIfLj2EEiiiiS1_IjLj3EES5_S5_S5_.num_named_barrier, 0
	.set _ZL33flash_attn_stream_k_fixup_generalILi512ELi8ELi4EEvPfPK15HIP_vector_typeIfLj2EEiiiiS1_IjLj3EES5_S5_S5_.private_seg_size, 0
	.set _ZL33flash_attn_stream_k_fixup_generalILi512ELi8ELi4EEvPfPK15HIP_vector_typeIfLj2EEiiiiS1_IjLj3EES5_S5_S5_.uses_vcc, 1
	.set _ZL33flash_attn_stream_k_fixup_generalILi512ELi8ELi4EEvPfPK15HIP_vector_typeIfLj2EEiiiiS1_IjLj3EES5_S5_S5_.uses_flat_scratch, 0
	.set _ZL33flash_attn_stream_k_fixup_generalILi512ELi8ELi4EEvPfPK15HIP_vector_typeIfLj2EEiiiiS1_IjLj3EES5_S5_S5_.has_dyn_sized_stack, 0
	.set _ZL33flash_attn_stream_k_fixup_generalILi512ELi8ELi4EEvPfPK15HIP_vector_typeIfLj2EEiiiiS1_IjLj3EES5_S5_S5_.has_recursion, 0
	.set _ZL33flash_attn_stream_k_fixup_generalILi512ELi8ELi4EEvPfPK15HIP_vector_typeIfLj2EEiiiiS1_IjLj3EES5_S5_S5_.has_indirect_call, 0
	.section	.AMDGPU.csdata,"",@progbits
; Kernel info:
; codeLenInByte = 2940
; TotalNumSgprs: 42
; NumVgprs: 18
; NumAgprs: 0
; TotalNumVgprs: 18
; ScratchSize: 0
; MemoryBound: 0
; FloatMode: 240
; IeeeMode: 1
; LDSByteSize: 0 bytes/workgroup (compile time only)
; SGPRBlocks: 5
; VGPRBlocks: 2
; NumSGPRsForWavesPerEU: 42
; NumVGPRsForWavesPerEU: 18
; AccumOffset: 20
; Occupancy: 8
; WaveLimiterHint : 0
; COMPUTE_PGM_RSRC2:SCRATCH_EN: 0
; COMPUTE_PGM_RSRC2:USER_SGPR: 2
; COMPUTE_PGM_RSRC2:TRAP_HANDLER: 0
; COMPUTE_PGM_RSRC2:TGID_X_EN: 1
; COMPUTE_PGM_RSRC2:TGID_Y_EN: 1
; COMPUTE_PGM_RSRC2:TGID_Z_EN: 1
; COMPUTE_PGM_RSRC2:TIDIG_COMP_CNT: 0
; COMPUTE_PGM_RSRC3_GFX90A:ACCUM_OFFSET: 4
; COMPUTE_PGM_RSRC3_GFX90A:TG_SPLIT: 0
	.section	.text._ZL26flash_attn_combine_resultsILi512EEvPKfPK15HIP_vector_typeIfLj2EEPfi,"axG",@progbits,_ZL26flash_attn_combine_resultsILi512EEvPKfPK15HIP_vector_typeIfLj2EEPfi,comdat
	.globl	_ZL26flash_attn_combine_resultsILi512EEvPKfPK15HIP_vector_typeIfLj2EEPfi ; -- Begin function _ZL26flash_attn_combine_resultsILi512EEvPKfPK15HIP_vector_typeIfLj2EEPfi
	.p2align	8
	.type	_ZL26flash_attn_combine_resultsILi512EEvPKfPK15HIP_vector_typeIfLj2EEPfi,@function
_ZL26flash_attn_combine_resultsILi512EEvPKfPK15HIP_vector_typeIfLj2EEPfi: ; @_ZL26flash_attn_combine_resultsILi512EEvPKfPK15HIP_vector_typeIfLj2EEPfi
; %bb.0:
	s_load_dwordx2 s[6:7], s[0:1], 0x20
	s_load_dword s19, s[0:1], 0x18
	s_load_dwordx4 s[8:11], s[0:1], 0x0
	s_load_dwordx2 s[14:15], s[0:1], 0x10
	s_waitcnt lgkmcnt(0)
	s_mul_i32 s0, s6, s4
	s_add_i32 s0, s0, s2
	s_mul_i32 s18, s0, s7
	s_add_i32 s18, s18, s3
	s_lshl_b32 s20, s19, 1
	s_mul_i32 s2, s18, s19
	v_cmp_gt_i32_e32 vcc, s20, v0
	s_and_saveexec_b64 s[0:1], vcc
	s_cbranch_execz .LBB38_13
; %bb.1:
	v_xad_u32 v1, v0, -1, s20
	s_movk_i32 s4, 0x1ff
	s_ashr_i32 s3, s2, 31
	v_cmp_lt_u32_e32 vcc, s4, v1
	s_mov_b64 s[6:7], -1
	v_mov_b32_e32 v2, v0
	s_and_saveexec_b64 s[4:5], vcc
	s_cbranch_execz .LBB38_10
; %bb.2:
	v_lshrrev_b32_e32 v6, 9, v1
	s_lshl_b64 s[6:7], s[2:3], 3
	v_add_u32_e32 v2, -1, v6
	s_add_u32 s6, s10, s6
	v_or_b32_e32 v1, 0x200, v0
	v_lshrrev_b32_e32 v3, 1, v2
	s_addc_u32 s7, s11, s7
	s_mov_b32 s21, 0
	v_add_u32_e32 v7, 1, v3
	v_cmp_lt_u32_e32 vcc, 13, v2
	v_mov_b32_e32 v4, 0
	v_mov_b64_e32 v[2:3], v[0:1]
	s_and_saveexec_b64 s[12:13], vcc
	s_cbranch_execz .LBB38_6
; %bb.3:
	v_and_b32_e32 v8, -8, v7
	v_lshl_add_u32 v9, v0, 2, 0
	s_mov_b64 s[16:17], 0
	v_mov_b32_e32 v5, 0
	v_mov_b64_e32 v[2:3], v[0:1]
.LBB38_4:                               ; =>This Inner Loop Header: Depth=1
	v_mov_b32_e32 v4, v2
	v_lshl_add_u64 v[24:25], v[4:5], 2, s[6:7]
	v_mov_b32_e32 v4, v3
	v_add_u32_e32 v10, 0x400, v3
	v_mov_b32_e32 v11, v5
	v_lshl_add_u64 v[26:27], v[4:5], 2, s[6:7]
	v_add_u32_e32 v4, 0x400, v2
	v_lshl_add_u64 v[10:11], v[10:11], 2, s[6:7]
	global_load_dword v1, v[24:25], off
	v_lshl_add_u64 v[24:25], v[4:5], 2, s[6:7]
	v_add_u32_e32 v4, 0x800, v2
	global_load_dword v28, v[26:27], off
	global_load_dword v29, v[24:25], off
	;; [unrolled: 1-line block ×3, first 2 shown]
	v_lshl_add_u64 v[10:11], v[4:5], 2, s[6:7]
	v_add_u32_e32 v4, 0xc00, v2
	v_add_u32_e32 v12, 0x800, v3
	v_mov_b32_e32 v13, v5
	v_add_u32_e32 v14, 0xc00, v3
	v_mov_b32_e32 v15, v5
	v_lshl_add_u64 v[24:25], v[4:5], 2, s[6:7]
	v_add_u32_e32 v4, 0x1000, v2
	v_lshl_add_u64 v[12:13], v[12:13], 2, s[6:7]
	v_lshl_add_u64 v[14:15], v[14:15], 2, s[6:7]
	global_load_dword v26, v[10:11], off
	global_load_dword v27, v[12:13], off
	;; [unrolled: 1-line block ×4, first 2 shown]
	v_lshl_add_u64 v[10:11], v[4:5], 2, s[6:7]
	v_add_u32_e32 v4, 0x1400, v2
	v_add_u32_e32 v16, 0x1000, v3
	v_mov_b32_e32 v17, v5
	v_add_u32_e32 v18, 0x1400, v3
	v_mov_b32_e32 v19, v5
	v_lshl_add_u64 v[12:13], v[4:5], 2, s[6:7]
	v_add_u32_e32 v4, 0x1800, v2
	v_add_u32_e32 v20, 0x1800, v3
	v_mov_b32_e32 v21, v5
	v_add_u32_e32 v22, 0x1c00, v3
	v_mov_b32_e32 v23, v5
	v_lshl_add_u64 v[16:17], v[16:17], 2, s[6:7]
	v_lshl_add_u64 v[18:19], v[18:19], 2, s[6:7]
	global_load_dword v14, v[10:11], off
	global_load_dword v15, v[16:17], off
	;; [unrolled: 1-line block ×4, first 2 shown]
	v_lshl_add_u64 v[10:11], v[4:5], 2, s[6:7]
	v_add_u32_e32 v4, 0x1c00, v2
	v_lshl_add_u64 v[20:21], v[20:21], 2, s[6:7]
	v_lshl_add_u64 v[22:23], v[22:23], 2, s[6:7]
	;; [unrolled: 1-line block ×3, first 2 shown]
	global_load_dword v16, v[10:11], off
	global_load_dword v17, v[20:21], off
	;; [unrolled: 1-line block ×4, first 2 shown]
	v_add_u32_e32 v8, -8, v8
	s_add_i32 s21, s21, 16
	v_cmp_eq_u32_e32 vcc, 0, v8
	v_add_u32_e32 v3, 0x2000, v3
	v_mov_b32_e32 v4, s21
	s_or_b64 s[16:17], vcc, s[16:17]
	v_add_u32_e32 v2, 0x2000, v2
	s_waitcnt vmcnt(14)
	ds_write2st64_b32 v9, v1, v28 offset1:8
	s_waitcnt vmcnt(12)
	ds_write2st64_b32 v9, v29, v30 offset0:16 offset1:24
	s_waitcnt vmcnt(10)
	ds_write2st64_b32 v9, v26, v27 offset0:32 offset1:40
	;; [unrolled: 2-line block ×7, first 2 shown]
	v_add_u32_e32 v9, 0x8000, v9
	s_andn2_b64 exec, exec, s[16:17]
	s_cbranch_execnz .LBB38_4
; %bb.5:
	s_or_b64 exec, exec, s[16:17]
.LBB38_6:
	s_or_b64 exec, exec, s[12:13]
	v_and_b32_e32 v1, 7, v7
	v_cmp_ne_u32_e32 vcc, 0, v1
	s_and_saveexec_b64 s[12:13], vcc
	s_cbranch_execz .LBB38_9
; %bb.7:
	v_lshlrev_b32_e32 v5, 2, v0
	v_lshl_or_b32 v4, v4, 11, v5
	v_add_u32_e32 v7, 0, v4
	s_mov_b64 s[16:17], 0
	v_mov_b32_e32 v5, 0
.LBB38_8:                               ; =>This Inner Loop Header: Depth=1
	v_mov_b32_e32 v4, v2
	v_lshl_add_u64 v[8:9], v[4:5], 2, s[6:7]
	v_mov_b32_e32 v4, v3
	v_lshl_add_u64 v[10:11], v[4:5], 2, s[6:7]
	global_load_dword v4, v[8:9], off
	global_load_dword v12, v[10:11], off
	v_add_u32_e32 v1, -1, v1
	v_cmp_eq_u32_e32 vcc, 0, v1
	v_add_u32_e32 v2, 0x400, v2
	v_add_u32_e32 v3, 0x400, v3
	s_or_b64 s[16:17], vcc, s[16:17]
	s_waitcnt vmcnt(0)
	ds_write2st64_b32 v7, v4, v12 offset1:8
	v_add_u32_e32 v7, 0x1000, v7
	s_andn2_b64 exec, exec, s[16:17]
	s_cbranch_execnz .LBB38_8
.LBB38_9:
	s_or_b64 exec, exec, s[12:13]
	v_add_u32_e32 v1, 1, v6
	v_and_b32_e32 v3, 0xfffffe, v1
	v_cmp_ne_u32_e32 vcc, v1, v3
	v_lshl_or_b32 v2, v3, 9, v0
	s_orn2_b64 s[6:7], vcc, exec
.LBB38_10:
	s_or_b64 exec, exec, s[4:5]
	s_and_b64 exec, exec, s[6:7]
	s_cbranch_execz .LBB38_13
; %bb.11:
	s_lshl_b64 s[4:5], s[2:3], 3
	s_add_u32 s4, s10, s4
	v_mov_b32_e32 v3, 0
	s_addc_u32 s5, s11, s5
	v_lshl_add_u64 v[4:5], v[2:3], 2, s[4:5]
	v_lshl_add_u32 v1, v2, 2, 0
	s_mov_b64 s[4:5], 0
	s_mov_b64 s[6:7], 0x800
.LBB38_12:                              ; =>This Inner Loop Header: Depth=1
	global_load_dword v3, v[4:5], off
	v_add_u32_e32 v2, 0x200, v2
	v_cmp_le_i32_e32 vcc, s20, v2
	v_lshl_add_u64 v[4:5], v[4:5], 0, s[6:7]
	s_or_b64 s[4:5], vcc, s[4:5]
	s_waitcnt vmcnt(0)
	ds_write_b32 v1, v3
	v_add_u32_e32 v1, 0x800, v1
	s_andn2_b64 exec, exec, s[4:5]
	s_cbranch_execnz .LBB38_12
.LBB38_13:
	s_or_b64 exec, exec, s[0:1]
	v_mov_b32_e32 v1, 0
	s_waitcnt lgkmcnt(0)
	s_barrier
	ds_read_b32 v1, v1
	s_cmp_lt_i32 s19, 2
	s_cbranch_scc1 .LBB38_21
; %bb.14:
	s_cmp_eq_u32 s19, 2
	s_cbranch_scc1 .LBB38_18
; %bb.15:
	s_add_i32 s3, s19, -1
	s_and_b32 s4, s3, -2
	s_add_i32 s6, 0, 8
	s_mov_b32 s5, 2
	s_waitcnt lgkmcnt(0)
	v_mov_b32_e32 v4, v1
.LBB38_16:                              ; =>This Inner Loop Header: Depth=1
	v_mov_b32_e32 v2, v1
	v_mov_b32_e32 v1, s6
	;; [unrolled: 1-line block ×3, first 2 shown]
	ds_read2_b32 v[4:5], v1 offset1:2
	s_cmp_lg_u32 s4, s5
	s_cselect_b64 s[10:11], -1, 0
	v_max_f32_e32 v1, v3, v3
	v_max_f32_e32 v6, v2, v2
	s_waitcnt lgkmcnt(0)
	v_cmp_u_f32_e32 vcc, v5, v5
	v_max_f32_e32 v7, v5, v5
	v_max_f32_e32 v8, v4, v4
	v_cndmask_b32_e64 v5, 0, 1, vcc
	v_cmp_u_f32_e32 vcc, v4, v4
	v_readfirstlane_b32 s0, v5
	s_lshl_b32 s0, s0, 1
	v_cndmask_b32_e64 v9, 0, 1, vcc
	v_max_f32_e32 v4, v1, v7
	v_readfirstlane_b32 s1, v9
	s_or_b32 s0, s1, s0
	s_and_b32 s7, s0, 3
	s_cmp_lg_u32 s7, 0
	s_cselect_b64 s[0:1], -1, 0
	s_cmp_eq_u32 s7, 0
	s_cselect_b64 s[12:13], -1, 0
	s_and_b64 s[10:11], s[12:13], s[10:11]
	v_max_f32_e32 v1, v6, v8
	s_add_i32 s5, s5, 2
	s_add_i32 s6, s6, 16
	s_and_b64 vcc, exec, s[10:11]
	s_cbranch_vccnz .LBB38_16
; %bb.17:
	s_add_i32 s5, s5, -4
	s_and_b64 s[6:7], s[0:1], exec
	s_cselect_b32 s5, s5, s3
	s_or_b32 s5, s5, 1
	v_cndmask_b32_e64 v1, v1, v2, s[0:1]
	v_cndmask_b32_e64 v2, v4, v3, s[0:1]
	s_cmp_lg_u32 s3, s4
	v_max_f32_e32 v2, v2, v2
	v_max_f32_e32 v1, v1, v1
	s_cselect_b64 s[6:7], -1, 0
	v_max_f32_e32 v1, v1, v2
	s_or_b64 s[0:1], s[6:7], s[0:1]
	s_and_b64 vcc, exec, s[0:1]
	s_cbranch_vccnz .LBB38_19
	s_branch .LBB38_21
.LBB38_18:
	s_mov_b32 s5, 1
	s_cbranch_execz .LBB38_21
.LBB38_19:
	s_lshl_b32 s1, s5, 3
	s_sub_i32 s0, s19, s5
	s_add_i32 s1, s1, 0
.LBB38_20:                              ; =>This Inner Loop Header: Depth=1
	v_mov_b32_e32 v2, s1
	ds_read_b32 v2, v2
	s_waitcnt lgkmcnt(1)
	v_max_f32_e32 v1, v1, v1
	s_add_i32 s0, s0, -1
	s_add_i32 s1, s1, 8
	s_cmp_eq_u32 s0, 0
	s_waitcnt lgkmcnt(0)
	v_max_f32_e32 v2, v2, v2
	v_max_f32_e32 v1, v1, v2
	s_cbranch_scc0 .LBB38_20
.LBB38_21:
	s_cmp_lt_i32 s19, 1
	s_cbranch_scc1 .LBB38_26
; %bb.22:
	s_lshl_b32 s0, s2, 9
	s_ashr_i32 s1, s0, 31
	s_lshl_b64 s[0:1], s[0:1], 2
	s_add_u32 s16, s8, s0
	s_addc_u32 s17, s9, s1
	s_cmp_lt_u32 s19, 8
	s_cbranch_scc1 .LBB38_27
; %bb.23:
	v_mov_b32_e32 v7, 0
	s_and_b32 s20, s19, 0x7ffffff8
	v_or_b32_e32 v4, 0xe00, v0
	s_mov_b32 s21, 0
	s_mov_b32 s22, 0x3fb8aa3b
	;; [unrolled: 1-line block ×4, first 2 shown]
	v_mov_b32_e32 v8, 0x7f800000
	s_mov_b32 s25, 0
	v_mov_b32_e32 v2, v7
	v_mov_b32_e32 v3, v7
.LBB38_24:                              ; =>This Inner Loop Header: Depth=1
	v_add_u32_e32 v6, 0xfffff200, v4
	v_lshl_add_u64 v[26:27], v[6:7], 2, s[16:17]
	v_add_u32_e32 v6, 0xfffff400, v4
	v_mov_b32_e32 v9, s21
	v_lshl_add_u64 v[30:31], v[6:7], 2, s[16:17]
	v_add_u32_e32 v6, 0xfffff600, v4
	ds_read2_b64 v[10:13], v9 offset1:1
	ds_read2_b64 v[14:17], v9 offset0:2 offset1:3
	ds_read2_b64 v[18:21], v9 offset0:4 offset1:5
	;; [unrolled: 1-line block ×3, first 2 shown]
	global_load_dword v33, v[26:27], off
	global_load_dword v35, v[30:31], off
	v_lshl_add_u64 v[26:27], v[6:7], 2, s[16:17]
	v_add_u32_e32 v6, 0xfffff800, v4
	v_lshl_add_u64 v[30:31], v[6:7], 2, s[16:17]
	v_add_u32_e32 v6, 0xfffffa00, v4
	global_load_dword v37, v[26:27], off
	global_load_dword v39, v[30:31], off
	v_lshl_add_u64 v[26:27], v[6:7], 2, s[16:17]
	v_add_u32_e32 v6, 0xfffffc00, v4
	s_waitcnt lgkmcnt(3)
	v_mov_b32_e32 v32, v11
	v_sub_f32_e32 v9, v12, v1
	v_mov_b32_e32 v34, v13
	global_load_dword v11, v[26:27], off
	v_lshl_add_u64 v[12:13], v[6:7], 2, s[16:17]
	s_waitcnt lgkmcnt(2)
	v_mov_b32_e32 v36, v15
	v_add_u32_e32 v6, 0xfffffe00, v4
	global_load_dword v15, v[12:13], off
	v_mov_b32_e32 v5, v7
	v_lshl_add_u64 v[12:13], v[6:7], 2, s[16:17]
	v_lshl_add_u64 v[28:29], v[4:5], 2, s[16:17]
	v_sub_f32_e32 v5, v10, v1
	v_mov_b32_e32 v38, v17
	s_waitcnt lgkmcnt(1)
	v_mov_b32_e32 v10, v19
	global_load_dword v17, v[12:13], off
	global_load_dword v19, v[28:29], off
	v_sub_f32_e32 v30, v14, v1
	v_sub_f32_e32 v31, v16, v1
	;; [unrolled: 1-line block ×3, first 2 shown]
	v_mov_b32_e32 v14, v21
	s_waitcnt lgkmcnt(0)
	v_sub_f32_e32 v21, v22, v1
	v_mov_b32_e32 v16, v23
	v_sub_f32_e32 v22, v24, v1
	v_mul_f32_e32 v23, 0x3fb8aa3b, v5
	v_mov_b32_e32 v18, v25
	v_mul_f32_e32 v24, 0x3fb8aa3b, v9
	v_mul_f32_e32 v25, 0x3fb8aa3b, v30
	;; [unrolled: 1-line block ×5, first 2 shown]
	v_fma_f32 v43, v5, s22, -v23
	v_rndne_f32_e32 v44, v23
	v_sub_f32_e32 v20, v20, v1
	v_fma_f32 v45, v9, s22, -v24
	v_rndne_f32_e32 v46, v24
	v_fma_f32 v47, v30, s22, -v25
	v_rndne_f32_e32 v48, v25
	v_fma_f32 v51, v40, s22, -v27
	v_rndne_f32_e32 v52, v27
	v_fma_f32 v55, v21, s22, -v42
	v_rndne_f32_e32 v56, v42
	v_fma_f32 v57, v22, s22, -v6
	v_rndne_f32_e32 v58, v6
	v_fmac_f32_e32 v43, 0x32a5705f, v5
	v_sub_f32_e32 v12, v23, v44
	v_mul_f32_e32 v26, 0x3fb8aa3b, v31
	v_mul_f32_e32 v41, 0x3fb8aa3b, v20
	v_fmac_f32_e32 v45, 0x32a5705f, v9
	v_sub_f32_e32 v23, v24, v46
	v_fmac_f32_e32 v47, 0x32a5705f, v30
	v_sub_f32_e32 v25, v25, v48
	;; [unrolled: 2-line block ×5, first 2 shown]
	v_add_f32_e32 v12, v12, v43
	v_fma_f32 v49, v31, s22, -v26
	v_rndne_f32_e32 v50, v26
	v_fma_f32 v53, v20, s22, -v41
	v_rndne_f32_e32 v54, v41
	v_cvt_i32_f32_e32 v13, v44
	v_add_f32_e32 v23, v23, v45
	v_add_f32_e32 v25, v25, v47
	;; [unrolled: 1-line block ×5, first 2 shown]
	v_exp_f32_e32 v12, v12
	v_cvt_i32_f32_e32 v24, v46
	v_cvt_i32_f32_e32 v28, v48
	v_fmac_f32_e32 v49, 0x32a5705f, v31
	v_sub_f32_e32 v26, v26, v50
	v_cvt_i32_f32_e32 v29, v50
	v_cvt_i32_f32_e32 v44, v52
	v_fmac_f32_e32 v53, 0x32a5705f, v20
	v_sub_f32_e32 v41, v41, v54
	v_cvt_i32_f32_e32 v48, v56
	v_cvt_i32_f32_e32 v50, v58
	v_exp_f32_e32 v23, v23
	v_exp_f32_e32 v25, v25
	;; [unrolled: 1-line block ×5, first 2 shown]
	v_add_f32_e32 v26, v26, v49
	v_add_f32_e32 v41, v41, v53
	v_cvt_i32_f32_e32 v46, v54
	v_exp_f32_e32 v26, v26
	v_exp_f32_e32 v41, v41
	v_ldexp_f32 v12, v12, v13
	v_cmp_ngt_f32_e64 s[12:13], s23, v5
	v_ldexp_f32 v13, v23, v24
	v_cmp_ngt_f32_e32 vcc, s23, v9
	v_ldexp_f32 v23, v25, v28
	v_ldexp_f32 v25, v27, v44
	;; [unrolled: 1-line block ×3, first 2 shown]
	v_cmp_ngt_f32_e64 s[8:9], s23, v21
	v_ldexp_f32 v6, v6, v50
	v_cmp_ngt_f32_e64 s[10:11], s23, v22
	v_cndmask_b32_e64 v12, 0, v12, s[12:13]
	v_cmp_nlt_f32_e64 s[12:13], s24, v5
	v_cmp_ngt_f32_e64 s[0:1], s23, v30
	v_cndmask_b32_e32 v13, 0, v13, vcc
	v_cmp_nlt_f32_e32 vcc, s24, v9
	v_cndmask_b32_e64 v27, 0, v27, s[8:9]
	v_cmp_nlt_f32_e64 s[8:9], s24, v21
	v_cndmask_b32_e64 v21, 0, v6, s[10:11]
	v_cndmask_b32_e64 v6, v8, v12, s[12:13]
	v_ldexp_f32 v24, v26, v29
	v_cmp_ngt_f32_e64 s[2:3], s23, v31
	v_cmp_ngt_f32_e64 s[4:5], s23, v40
	v_ldexp_f32 v26, v41, v46
	v_cmp_ngt_f32_e64 s[6:7], s23, v20
	v_cndmask_b32_e64 v9, 0, v23, s[0:1]
	v_cmp_nlt_f32_e64 s[0:1], s24, v30
	v_cndmask_b32_e32 v12, v8, v13, vcc
	s_waitcnt vmcnt(7)
	v_pk_fma_f32 v[2:3], v[6:7], v[32:33], v[2:3] op_sel_hi:[0,1,1]
	v_cndmask_b32_e64 v23, 0, v24, s[2:3]
	v_cmp_nlt_f32_e64 s[2:3], s24, v31
	v_cndmask_b32_e64 v24, 0, v25, s[4:5]
	v_cndmask_b32_e64 v25, 0, v26, s[6:7]
	v_cmp_nlt_f32_e64 s[6:7], s24, v20
	v_cndmask_b32_e64 v20, v8, v9, s[0:1]
	s_waitcnt vmcnt(6)
	v_pk_fma_f32 v[2:3], v[12:13], v[34:35], v[2:3] op_sel_hi:[0,1,1]
	v_cmp_nlt_f32_e64 s[4:5], s24, v40
	v_cmp_nlt_f32_e64 s[10:11], s24, v22
	v_cndmask_b32_e64 v22, v8, v23, s[2:3]
	s_waitcnt vmcnt(5)
	v_pk_fma_f32 v[2:3], v[20:21], v[36:37], v[2:3] op_sel_hi:[0,1,1]
	v_cndmask_b32_e64 v24, v8, v24, s[4:5]
	s_waitcnt vmcnt(4)
	v_pk_fma_f32 v[2:3], v[22:23], v[38:39], v[2:3] op_sel_hi:[0,1,1]
	;; [unrolled: 3-line block ×4, first 2 shown]
	s_add_i32 s25, s25, 8
	s_add_i32 s21, s21, 64
	v_cndmask_b32_e64 v30, v8, v21, s[10:11]
	s_waitcnt vmcnt(1)
	v_pk_fma_f32 v[2:3], v[28:29], v[16:17], v[2:3] op_sel_hi:[0,1,1]
	s_cmp_eq_u32 s20, s25
	v_add_u32_e32 v4, 0x1000, v4
	s_waitcnt vmcnt(0)
	v_pk_fma_f32 v[2:3], v[30:31], v[18:19], v[2:3] op_sel_hi:[0,1,1]
	s_cbranch_scc0 .LBB38_24
; %bb.25:
	s_and_b32 s0, s19, 7
	s_cmp_eq_u32 s0, 0
	s_cbranch_scc0 .LBB38_28
	s_branch .LBB38_30
.LBB38_26:
	s_waitcnt lgkmcnt(0)
	v_mov_b32_e32 v1, 0x7fc00000
	s_branch .LBB38_31
.LBB38_27:
	v_mov_b32_e32 v2, 0
	s_mov_b32 s20, 0
	v_mov_b32_e32 v3, v2
	s_and_b32 s0, s19, 7
	s_cmp_eq_u32 s0, 0
	s_cbranch_scc1 .LBB38_30
.LBB38_28:
	s_lshl_b32 s1, s20, 3
	v_lshl_or_b32 v4, s20, 9, v0
	s_add_i32 s1, s1, 0
	s_mov_b32 s2, 0x3fb8aa3b
	s_mov_b32 s3, 0xc2ce8ed0
	;; [unrolled: 1-line block ×3, first 2 shown]
	v_mov_b32_e32 v6, 0x7f800000
	v_mov_b32_e32 v5, 0
.LBB38_29:                              ; =>This Inner Loop Header: Depth=1
	v_lshl_add_u64 v[8:9], v[4:5], 2, s[16:17]
	global_load_dword v9, v[8:9], off
	v_mov_b32_e32 v7, s1
	ds_read_b64 v[10:11], v7
	s_add_i32 s1, s1, 8
	s_add_i32 s0, s0, -1
	v_add_u32_e32 v4, 0x200, v4
	s_cmp_lg_u32 s0, 0
	s_waitcnt lgkmcnt(0)
	v_sub_f32_e32 v7, v10, v1
	v_mul_f32_e32 v8, 0x3fb8aa3b, v7
	v_fma_f32 v10, v7, s2, -v8
	v_rndne_f32_e32 v12, v8
	v_fmac_f32_e32 v10, 0x32a5705f, v7
	v_sub_f32_e32 v8, v8, v12
	v_add_f32_e32 v8, v8, v10
	v_cvt_i32_f32_e32 v12, v12
	v_exp_f32_e32 v10, v8
	v_cmp_ngt_f32_e32 vcc, s3, v7
	v_mov_b32_e32 v8, v11
	v_ldexp_f32 v10, v10, v12
	v_cndmask_b32_e32 v10, 0, v10, vcc
	v_cmp_nlt_f32_e32 vcc, s4, v7
	s_nop 1
	v_cndmask_b32_e32 v10, v6, v10, vcc
	s_waitcnt vmcnt(0)
	v_pk_fma_f32 v[2:3], v[10:11], v[8:9], v[2:3] op_sel_hi:[0,1,1]
	s_cbranch_scc1 .LBB38_29
.LBB38_30:
	s_waitcnt lgkmcnt(0)
	v_div_scale_f32 v1, s[0:1], v2, v2, v3
	v_rcp_f32_e32 v4, v1
	v_div_scale_f32 v5, vcc, v3, v2, v3
	v_fma_f32 v6, -v1, v4, 1.0
	v_fmac_f32_e32 v4, v6, v4
	v_mul_f32_e32 v6, v5, v4
	v_fma_f32 v7, -v1, v6, v5
	v_fmac_f32_e32 v6, v7, v4
	v_fma_f32 v1, -v1, v6, v5
	v_div_fmas_f32 v1, v1, v4, v6
	v_div_fixup_f32 v1, v1, v2, v3
.LBB38_31:
	s_lshl_b32 s0, s18, 9
	s_ashr_i32 s1, s0, 31
	s_lshl_b64 s[0:1], s[0:1], 2
	s_add_u32 s0, s14, s0
	s_addc_u32 s1, s15, s1
	v_lshlrev_b32_e32 v0, 2, v0
	global_store_dword v0, v1, s[0:1]
	s_endpgm
	.section	.rodata,"a",@progbits
	.p2align	6, 0x0
	.amdhsa_kernel _ZL26flash_attn_combine_resultsILi512EEvPKfPK15HIP_vector_typeIfLj2EEPfi
		.amdhsa_group_segment_fixed_size 0
		.amdhsa_private_segment_fixed_size 0
		.amdhsa_kernarg_size 288
		.amdhsa_user_sgpr_count 2
		.amdhsa_user_sgpr_dispatch_ptr 0
		.amdhsa_user_sgpr_queue_ptr 0
		.amdhsa_user_sgpr_kernarg_segment_ptr 1
		.amdhsa_user_sgpr_dispatch_id 0
		.amdhsa_user_sgpr_kernarg_preload_length 0
		.amdhsa_user_sgpr_kernarg_preload_offset 0
		.amdhsa_user_sgpr_private_segment_size 0
		.amdhsa_uses_dynamic_stack 0
		.amdhsa_enable_private_segment 0
		.amdhsa_system_sgpr_workgroup_id_x 1
		.amdhsa_system_sgpr_workgroup_id_y 1
		.amdhsa_system_sgpr_workgroup_id_z 1
		.amdhsa_system_sgpr_workgroup_info 0
		.amdhsa_system_vgpr_workitem_id 0
		.amdhsa_next_free_vgpr 59
		.amdhsa_next_free_sgpr 26
		.amdhsa_accum_offset 60
		.amdhsa_reserve_vcc 1
		.amdhsa_float_round_mode_32 0
		.amdhsa_float_round_mode_16_64 0
		.amdhsa_float_denorm_mode_32 3
		.amdhsa_float_denorm_mode_16_64 3
		.amdhsa_dx10_clamp 1
		.amdhsa_ieee_mode 1
		.amdhsa_fp16_overflow 0
		.amdhsa_tg_split 0
		.amdhsa_exception_fp_ieee_invalid_op 0
		.amdhsa_exception_fp_denorm_src 0
		.amdhsa_exception_fp_ieee_div_zero 0
		.amdhsa_exception_fp_ieee_overflow 0
		.amdhsa_exception_fp_ieee_underflow 0
		.amdhsa_exception_fp_ieee_inexact 0
		.amdhsa_exception_int_div_zero 0
	.end_amdhsa_kernel
	.section	.text._ZL26flash_attn_combine_resultsILi512EEvPKfPK15HIP_vector_typeIfLj2EEPfi,"axG",@progbits,_ZL26flash_attn_combine_resultsILi512EEvPKfPK15HIP_vector_typeIfLj2EEPfi,comdat
.Lfunc_end38:
	.size	_ZL26flash_attn_combine_resultsILi512EEvPKfPK15HIP_vector_typeIfLj2EEPfi, .Lfunc_end38-_ZL26flash_attn_combine_resultsILi512EEvPKfPK15HIP_vector_typeIfLj2EEPfi
                                        ; -- End function
	.set _ZL26flash_attn_combine_resultsILi512EEvPKfPK15HIP_vector_typeIfLj2EEPfi.num_vgpr, 59
	.set _ZL26flash_attn_combine_resultsILi512EEvPKfPK15HIP_vector_typeIfLj2EEPfi.num_agpr, 0
	.set _ZL26flash_attn_combine_resultsILi512EEvPKfPK15HIP_vector_typeIfLj2EEPfi.numbered_sgpr, 26
	.set _ZL26flash_attn_combine_resultsILi512EEvPKfPK15HIP_vector_typeIfLj2EEPfi.num_named_barrier, 0
	.set _ZL26flash_attn_combine_resultsILi512EEvPKfPK15HIP_vector_typeIfLj2EEPfi.private_seg_size, 0
	.set _ZL26flash_attn_combine_resultsILi512EEvPKfPK15HIP_vector_typeIfLj2EEPfi.uses_vcc, 1
	.set _ZL26flash_attn_combine_resultsILi512EEvPKfPK15HIP_vector_typeIfLj2EEPfi.uses_flat_scratch, 0
	.set _ZL26flash_attn_combine_resultsILi512EEvPKfPK15HIP_vector_typeIfLj2EEPfi.has_dyn_sized_stack, 0
	.set _ZL26flash_attn_combine_resultsILi512EEvPKfPK15HIP_vector_typeIfLj2EEPfi.has_recursion, 0
	.set _ZL26flash_attn_combine_resultsILi512EEvPKfPK15HIP_vector_typeIfLj2EEPfi.has_indirect_call, 0
	.section	.AMDGPU.csdata,"",@progbits
; Kernel info:
; codeLenInByte = 2924
; TotalNumSgprs: 32
; NumVgprs: 59
; NumAgprs: 0
; TotalNumVgprs: 59
; ScratchSize: 0
; MemoryBound: 0
; FloatMode: 240
; IeeeMode: 1
; LDSByteSize: 0 bytes/workgroup (compile time only)
; SGPRBlocks: 3
; VGPRBlocks: 7
; NumSGPRsForWavesPerEU: 32
; NumVGPRsForWavesPerEU: 59
; AccumOffset: 60
; Occupancy: 8
; WaveLimiterHint : 0
; COMPUTE_PGM_RSRC2:SCRATCH_EN: 0
; COMPUTE_PGM_RSRC2:USER_SGPR: 2
; COMPUTE_PGM_RSRC2:TRAP_HANDLER: 0
; COMPUTE_PGM_RSRC2:TGID_X_EN: 1
; COMPUTE_PGM_RSRC2:TGID_Y_EN: 1
; COMPUTE_PGM_RSRC2:TGID_Z_EN: 1
; COMPUTE_PGM_RSRC2:TIDIG_COMP_CNT: 0
; COMPUTE_PGM_RSRC3_GFX90A:ACCUM_OFFSET: 14
; COMPUTE_PGM_RSRC3_GFX90A:TG_SPLIT: 0
	.section	.text._ZL18flash_attn_ext_f16ILi576ELi512ELi8ELi4ELb0ELb1EEvPKcS1_S1_S1_S1_PKiPfP15HIP_vector_typeIfLj2EEffffjfiS5_IjLj3EEiiiiiiiiiiiliiliiiiil,"axG",@progbits,_ZL18flash_attn_ext_f16ILi576ELi512ELi8ELi4ELb0ELb1EEvPKcS1_S1_S1_S1_PKiPfP15HIP_vector_typeIfLj2EEffffjfiS5_IjLj3EEiiiiiiiiiiiliiliiiiil,comdat
	.globl	_ZL18flash_attn_ext_f16ILi576ELi512ELi8ELi4ELb0ELb1EEvPKcS1_S1_S1_S1_PKiPfP15HIP_vector_typeIfLj2EEffffjfiS5_IjLj3EEiiiiiiiiiiiliiliiiiil ; -- Begin function _ZL18flash_attn_ext_f16ILi576ELi512ELi8ELi4ELb0ELb1EEvPKcS1_S1_S1_S1_PKiPfP15HIP_vector_typeIfLj2EEffffjfiS5_IjLj3EEiiiiiiiiiiiliiliiiiil
	.p2align	8
	.type	_ZL18flash_attn_ext_f16ILi576ELi512ELi8ELi4ELb0ELb1EEvPKcS1_S1_S1_S1_PKiPfP15HIP_vector_typeIfLj2EEffffjfiS5_IjLj3EEiiiiiiiiiiiliiliiiiil,@function
_ZL18flash_attn_ext_f16ILi576ELi512ELi8ELi4ELb0ELb1EEvPKcS1_S1_S1_S1_PKiPfP15HIP_vector_typeIfLj2EEffffjfiS5_IjLj3EEiiiiiiiiiiiliiliiiiil: ; @_ZL18flash_attn_ext_f16ILi576ELi512ELi8ELi4ELb0ELb1EEvPKcS1_S1_S1_S1_PKiPfP15HIP_vector_typeIfLj2EEffffjfiS5_IjLj3EEiiiiiiiiiiiliiliiiiil
; %bb.0:
	s_add_u32 s8, s0, 0xd0
	s_addc_u32 s9, s1, 0
	s_getpc_b64 s[0:1]
	s_add_u32 s0, s0, _ZL14no_device_codePKciS0_iS0_@rel32@lo+4
	s_addc_u32 s1, s1, _ZL14no_device_codePKciS0_iS0_@rel32@hi+12
	v_mov_b32_e32 v0, 0x6ea
	s_mov_b32 s32, 0
	s_swappc_b64 s[30:31], s[0:1]
	.section	.rodata,"a",@progbits
	.p2align	6, 0x0
	.amdhsa_kernel _ZL18flash_attn_ext_f16ILi576ELi512ELi8ELi4ELb0ELb1EEvPKcS1_S1_S1_S1_PKiPfP15HIP_vector_typeIfLj2EEffffjfiS5_IjLj3EEiiiiiiiiiiiliiliiiiil
		.amdhsa_group_segment_fixed_size 0
		.amdhsa_private_segment_fixed_size 16
		.amdhsa_kernarg_size 464
		.amdhsa_user_sgpr_count 2
		.amdhsa_user_sgpr_dispatch_ptr 0
		.amdhsa_user_sgpr_queue_ptr 0
		.amdhsa_user_sgpr_kernarg_segment_ptr 1
		.amdhsa_user_sgpr_dispatch_id 0
		.amdhsa_user_sgpr_kernarg_preload_length 0
		.amdhsa_user_sgpr_kernarg_preload_offset 0
		.amdhsa_user_sgpr_private_segment_size 0
		.amdhsa_uses_dynamic_stack 0
		.amdhsa_enable_private_segment 1
		.amdhsa_system_sgpr_workgroup_id_x 1
		.amdhsa_system_sgpr_workgroup_id_y 0
		.amdhsa_system_sgpr_workgroup_id_z 0
		.amdhsa_system_sgpr_workgroup_info 0
		.amdhsa_system_vgpr_workitem_id 0
		.amdhsa_next_free_vgpr 52
		.amdhsa_next_free_sgpr 34
		.amdhsa_accum_offset 52
		.amdhsa_reserve_vcc 1
		.amdhsa_float_round_mode_32 0
		.amdhsa_float_round_mode_16_64 0
		.amdhsa_float_denorm_mode_32 3
		.amdhsa_float_denorm_mode_16_64 3
		.amdhsa_dx10_clamp 1
		.amdhsa_ieee_mode 1
		.amdhsa_fp16_overflow 0
		.amdhsa_tg_split 0
		.amdhsa_exception_fp_ieee_invalid_op 0
		.amdhsa_exception_fp_denorm_src 0
		.amdhsa_exception_fp_ieee_div_zero 0
		.amdhsa_exception_fp_ieee_overflow 0
		.amdhsa_exception_fp_ieee_underflow 0
		.amdhsa_exception_fp_ieee_inexact 0
		.amdhsa_exception_int_div_zero 0
	.end_amdhsa_kernel
	.section	.text._ZL18flash_attn_ext_f16ILi576ELi512ELi8ELi4ELb0ELb1EEvPKcS1_S1_S1_S1_PKiPfP15HIP_vector_typeIfLj2EEffffjfiS5_IjLj3EEiiiiiiiiiiiliiliiiiil,"axG",@progbits,_ZL18flash_attn_ext_f16ILi576ELi512ELi8ELi4ELb0ELb1EEvPKcS1_S1_S1_S1_PKiPfP15HIP_vector_typeIfLj2EEffffjfiS5_IjLj3EEiiiiiiiiiiiliiliiiiil,comdat
.Lfunc_end39:
	.size	_ZL18flash_attn_ext_f16ILi576ELi512ELi8ELi4ELb0ELb1EEvPKcS1_S1_S1_S1_PKiPfP15HIP_vector_typeIfLj2EEffffjfiS5_IjLj3EEiiiiiiiiiiiliiliiiiil, .Lfunc_end39-_ZL18flash_attn_ext_f16ILi576ELi512ELi8ELi4ELb0ELb1EEvPKcS1_S1_S1_S1_PKiPfP15HIP_vector_typeIfLj2EEffffjfiS5_IjLj3EEiiiiiiiiiiiliiliiiiil
                                        ; -- End function
	.set _ZL18flash_attn_ext_f16ILi576ELi512ELi8ELi4ELb0ELb1EEvPKcS1_S1_S1_S1_PKiPfP15HIP_vector_typeIfLj2EEffffjfiS5_IjLj3EEiiiiiiiiiiiliiliiiiil.num_vgpr, max(1, .L_ZL14no_device_codePKciS0_iS0_.num_vgpr)
	.set _ZL18flash_attn_ext_f16ILi576ELi512ELi8ELi4ELb0ELb1EEvPKcS1_S1_S1_S1_PKiPfP15HIP_vector_typeIfLj2EEffffjfiS5_IjLj3EEiiiiiiiiiiiliiliiiiil.num_agpr, max(0, .L_ZL14no_device_codePKciS0_iS0_.num_agpr)
	.set _ZL18flash_attn_ext_f16ILi576ELi512ELi8ELi4ELb0ELb1EEvPKcS1_S1_S1_S1_PKiPfP15HIP_vector_typeIfLj2EEffffjfiS5_IjLj3EEiiiiiiiiiiiliiliiiiil.numbered_sgpr, max(33, .L_ZL14no_device_codePKciS0_iS0_.numbered_sgpr)
	.set _ZL18flash_attn_ext_f16ILi576ELi512ELi8ELi4ELb0ELb1EEvPKcS1_S1_S1_S1_PKiPfP15HIP_vector_typeIfLj2EEffffjfiS5_IjLj3EEiiiiiiiiiiiliiliiiiil.num_named_barrier, max(0, .L_ZL14no_device_codePKciS0_iS0_.num_named_barrier)
	.set _ZL18flash_attn_ext_f16ILi576ELi512ELi8ELi4ELb0ELb1EEvPKcS1_S1_S1_S1_PKiPfP15HIP_vector_typeIfLj2EEffffjfiS5_IjLj3EEiiiiiiiiiiiliiliiiiil.private_seg_size, 0+max(.L_ZL14no_device_codePKciS0_iS0_.private_seg_size)
	.set _ZL18flash_attn_ext_f16ILi576ELi512ELi8ELi4ELb0ELb1EEvPKcS1_S1_S1_S1_PKiPfP15HIP_vector_typeIfLj2EEffffjfiS5_IjLj3EEiiiiiiiiiiiliiliiiiil.uses_vcc, or(1, .L_ZL14no_device_codePKciS0_iS0_.uses_vcc)
	.set _ZL18flash_attn_ext_f16ILi576ELi512ELi8ELi4ELb0ELb1EEvPKcS1_S1_S1_S1_PKiPfP15HIP_vector_typeIfLj2EEffffjfiS5_IjLj3EEiiiiiiiiiiiliiliiiiil.uses_flat_scratch, or(0, .L_ZL14no_device_codePKciS0_iS0_.uses_flat_scratch)
	.set _ZL18flash_attn_ext_f16ILi576ELi512ELi8ELi4ELb0ELb1EEvPKcS1_S1_S1_S1_PKiPfP15HIP_vector_typeIfLj2EEffffjfiS5_IjLj3EEiiiiiiiiiiiliiliiiiil.has_dyn_sized_stack, or(0, .L_ZL14no_device_codePKciS0_iS0_.has_dyn_sized_stack)
	.set _ZL18flash_attn_ext_f16ILi576ELi512ELi8ELi4ELb0ELb1EEvPKcS1_S1_S1_S1_PKiPfP15HIP_vector_typeIfLj2EEffffjfiS5_IjLj3EEiiiiiiiiiiiliiliiiiil.has_recursion, or(0, .L_ZL14no_device_codePKciS0_iS0_.has_recursion)
	.set _ZL18flash_attn_ext_f16ILi576ELi512ELi8ELi4ELb0ELb1EEvPKcS1_S1_S1_S1_PKiPfP15HIP_vector_typeIfLj2EEffffjfiS5_IjLj3EEiiiiiiiiiiiliiliiiiil.has_indirect_call, or(0, .L_ZL14no_device_codePKciS0_iS0_.has_indirect_call)
	.section	.AMDGPU.csdata,"",@progbits
; Kernel info:
; codeLenInByte = 48
; TotalNumSgprs: 40
; NumVgprs: 52
; NumAgprs: 0
; TotalNumVgprs: 52
; ScratchSize: 16
; MemoryBound: 0
; FloatMode: 240
; IeeeMode: 1
; LDSByteSize: 0 bytes/workgroup (compile time only)
; SGPRBlocks: 4
; VGPRBlocks: 6
; NumSGPRsForWavesPerEU: 40
; NumVGPRsForWavesPerEU: 52
; AccumOffset: 52
; Occupancy: 8
; WaveLimiterHint : 1
; COMPUTE_PGM_RSRC2:SCRATCH_EN: 1
; COMPUTE_PGM_RSRC2:USER_SGPR: 2
; COMPUTE_PGM_RSRC2:TRAP_HANDLER: 0
; COMPUTE_PGM_RSRC2:TGID_X_EN: 1
; COMPUTE_PGM_RSRC2:TGID_Y_EN: 0
; COMPUTE_PGM_RSRC2:TGID_Z_EN: 0
; COMPUTE_PGM_RSRC2:TIDIG_COMP_CNT: 0
; COMPUTE_PGM_RSRC3_GFX90A:ACCUM_OFFSET: 12
; COMPUTE_PGM_RSRC3_GFX90A:TG_SPLIT: 0
	.section	.text._ZL18flash_attn_ext_f16ILi576ELi512ELi8ELi4ELb1ELb1EEvPKcS1_S1_S1_S1_PKiPfP15HIP_vector_typeIfLj2EEffffjfiS5_IjLj3EEiiiiiiiiiiiliiliiiiil,"axG",@progbits,_ZL18flash_attn_ext_f16ILi576ELi512ELi8ELi4ELb1ELb1EEvPKcS1_S1_S1_S1_PKiPfP15HIP_vector_typeIfLj2EEffffjfiS5_IjLj3EEiiiiiiiiiiiliiliiiiil,comdat
	.globl	_ZL18flash_attn_ext_f16ILi576ELi512ELi8ELi4ELb1ELb1EEvPKcS1_S1_S1_S1_PKiPfP15HIP_vector_typeIfLj2EEffffjfiS5_IjLj3EEiiiiiiiiiiiliiliiiiil ; -- Begin function _ZL18flash_attn_ext_f16ILi576ELi512ELi8ELi4ELb1ELb1EEvPKcS1_S1_S1_S1_PKiPfP15HIP_vector_typeIfLj2EEffffjfiS5_IjLj3EEiiiiiiiiiiiliiliiiiil
	.p2align	8
	.type	_ZL18flash_attn_ext_f16ILi576ELi512ELi8ELi4ELb1ELb1EEvPKcS1_S1_S1_S1_PKiPfP15HIP_vector_typeIfLj2EEffffjfiS5_IjLj3EEiiiiiiiiiiiliiliiiiil,@function
_ZL18flash_attn_ext_f16ILi576ELi512ELi8ELi4ELb1ELb1EEvPKcS1_S1_S1_S1_PKiPfP15HIP_vector_typeIfLj2EEffffjfiS5_IjLj3EEiiiiiiiiiiiliiliiiiil: ; @_ZL18flash_attn_ext_f16ILi576ELi512ELi8ELi4ELb1ELb1EEvPKcS1_S1_S1_S1_PKiPfP15HIP_vector_typeIfLj2EEffffjfiS5_IjLj3EEiiiiiiiiiiiliiliiiiil
; %bb.0:
	s_add_u32 s8, s0, 0xd0
	s_addc_u32 s9, s1, 0
	s_getpc_b64 s[0:1]
	s_add_u32 s0, s0, _ZL14no_device_codePKciS0_iS0_@rel32@lo+4
	s_addc_u32 s1, s1, _ZL14no_device_codePKciS0_iS0_@rel32@hi+12
	v_mov_b32_e32 v0, 0x6cc
	s_mov_b32 s32, 0
	s_swappc_b64 s[30:31], s[0:1]
	.section	.rodata,"a",@progbits
	.p2align	6, 0x0
	.amdhsa_kernel _ZL18flash_attn_ext_f16ILi576ELi512ELi8ELi4ELb1ELb1EEvPKcS1_S1_S1_S1_PKiPfP15HIP_vector_typeIfLj2EEffffjfiS5_IjLj3EEiiiiiiiiiiiliiliiiiil
		.amdhsa_group_segment_fixed_size 0
		.amdhsa_private_segment_fixed_size 16
		.amdhsa_kernarg_size 464
		.amdhsa_user_sgpr_count 2
		.amdhsa_user_sgpr_dispatch_ptr 0
		.amdhsa_user_sgpr_queue_ptr 0
		.amdhsa_user_sgpr_kernarg_segment_ptr 1
		.amdhsa_user_sgpr_dispatch_id 0
		.amdhsa_user_sgpr_kernarg_preload_length 0
		.amdhsa_user_sgpr_kernarg_preload_offset 0
		.amdhsa_user_sgpr_private_segment_size 0
		.amdhsa_uses_dynamic_stack 0
		.amdhsa_enable_private_segment 1
		.amdhsa_system_sgpr_workgroup_id_x 1
		.amdhsa_system_sgpr_workgroup_id_y 0
		.amdhsa_system_sgpr_workgroup_id_z 0
		.amdhsa_system_sgpr_workgroup_info 0
		.amdhsa_system_vgpr_workitem_id 0
		.amdhsa_next_free_vgpr 52
		.amdhsa_next_free_sgpr 34
		.amdhsa_accum_offset 52
		.amdhsa_reserve_vcc 1
		.amdhsa_float_round_mode_32 0
		.amdhsa_float_round_mode_16_64 0
		.amdhsa_float_denorm_mode_32 3
		.amdhsa_float_denorm_mode_16_64 3
		.amdhsa_dx10_clamp 1
		.amdhsa_ieee_mode 1
		.amdhsa_fp16_overflow 0
		.amdhsa_tg_split 0
		.amdhsa_exception_fp_ieee_invalid_op 0
		.amdhsa_exception_fp_denorm_src 0
		.amdhsa_exception_fp_ieee_div_zero 0
		.amdhsa_exception_fp_ieee_overflow 0
		.amdhsa_exception_fp_ieee_underflow 0
		.amdhsa_exception_fp_ieee_inexact 0
		.amdhsa_exception_int_div_zero 0
	.end_amdhsa_kernel
	.section	.text._ZL18flash_attn_ext_f16ILi576ELi512ELi8ELi4ELb1ELb1EEvPKcS1_S1_S1_S1_PKiPfP15HIP_vector_typeIfLj2EEffffjfiS5_IjLj3EEiiiiiiiiiiiliiliiiiil,"axG",@progbits,_ZL18flash_attn_ext_f16ILi576ELi512ELi8ELi4ELb1ELb1EEvPKcS1_S1_S1_S1_PKiPfP15HIP_vector_typeIfLj2EEffffjfiS5_IjLj3EEiiiiiiiiiiiliiliiiiil,comdat
.Lfunc_end40:
	.size	_ZL18flash_attn_ext_f16ILi576ELi512ELi8ELi4ELb1ELb1EEvPKcS1_S1_S1_S1_PKiPfP15HIP_vector_typeIfLj2EEffffjfiS5_IjLj3EEiiiiiiiiiiiliiliiiiil, .Lfunc_end40-_ZL18flash_attn_ext_f16ILi576ELi512ELi8ELi4ELb1ELb1EEvPKcS1_S1_S1_S1_PKiPfP15HIP_vector_typeIfLj2EEffffjfiS5_IjLj3EEiiiiiiiiiiiliiliiiiil
                                        ; -- End function
	.set _ZL18flash_attn_ext_f16ILi576ELi512ELi8ELi4ELb1ELb1EEvPKcS1_S1_S1_S1_PKiPfP15HIP_vector_typeIfLj2EEffffjfiS5_IjLj3EEiiiiiiiiiiiliiliiiiil.num_vgpr, max(1, .L_ZL14no_device_codePKciS0_iS0_.num_vgpr)
	.set _ZL18flash_attn_ext_f16ILi576ELi512ELi8ELi4ELb1ELb1EEvPKcS1_S1_S1_S1_PKiPfP15HIP_vector_typeIfLj2EEffffjfiS5_IjLj3EEiiiiiiiiiiiliiliiiiil.num_agpr, max(0, .L_ZL14no_device_codePKciS0_iS0_.num_agpr)
	.set _ZL18flash_attn_ext_f16ILi576ELi512ELi8ELi4ELb1ELb1EEvPKcS1_S1_S1_S1_PKiPfP15HIP_vector_typeIfLj2EEffffjfiS5_IjLj3EEiiiiiiiiiiiliiliiiiil.numbered_sgpr, max(33, .L_ZL14no_device_codePKciS0_iS0_.numbered_sgpr)
	.set _ZL18flash_attn_ext_f16ILi576ELi512ELi8ELi4ELb1ELb1EEvPKcS1_S1_S1_S1_PKiPfP15HIP_vector_typeIfLj2EEffffjfiS5_IjLj3EEiiiiiiiiiiiliiliiiiil.num_named_barrier, max(0, .L_ZL14no_device_codePKciS0_iS0_.num_named_barrier)
	.set _ZL18flash_attn_ext_f16ILi576ELi512ELi8ELi4ELb1ELb1EEvPKcS1_S1_S1_S1_PKiPfP15HIP_vector_typeIfLj2EEffffjfiS5_IjLj3EEiiiiiiiiiiiliiliiiiil.private_seg_size, 0+max(.L_ZL14no_device_codePKciS0_iS0_.private_seg_size)
	.set _ZL18flash_attn_ext_f16ILi576ELi512ELi8ELi4ELb1ELb1EEvPKcS1_S1_S1_S1_PKiPfP15HIP_vector_typeIfLj2EEffffjfiS5_IjLj3EEiiiiiiiiiiiliiliiiiil.uses_vcc, or(1, .L_ZL14no_device_codePKciS0_iS0_.uses_vcc)
	.set _ZL18flash_attn_ext_f16ILi576ELi512ELi8ELi4ELb1ELb1EEvPKcS1_S1_S1_S1_PKiPfP15HIP_vector_typeIfLj2EEffffjfiS5_IjLj3EEiiiiiiiiiiiliiliiiiil.uses_flat_scratch, or(0, .L_ZL14no_device_codePKciS0_iS0_.uses_flat_scratch)
	.set _ZL18flash_attn_ext_f16ILi576ELi512ELi8ELi4ELb1ELb1EEvPKcS1_S1_S1_S1_PKiPfP15HIP_vector_typeIfLj2EEffffjfiS5_IjLj3EEiiiiiiiiiiiliiliiiiil.has_dyn_sized_stack, or(0, .L_ZL14no_device_codePKciS0_iS0_.has_dyn_sized_stack)
	.set _ZL18flash_attn_ext_f16ILi576ELi512ELi8ELi4ELb1ELb1EEvPKcS1_S1_S1_S1_PKiPfP15HIP_vector_typeIfLj2EEffffjfiS5_IjLj3EEiiiiiiiiiiiliiliiiiil.has_recursion, or(0, .L_ZL14no_device_codePKciS0_iS0_.has_recursion)
	.set _ZL18flash_attn_ext_f16ILi576ELi512ELi8ELi4ELb1ELb1EEvPKcS1_S1_S1_S1_PKiPfP15HIP_vector_typeIfLj2EEffffjfiS5_IjLj3EEiiiiiiiiiiiliiliiiiil.has_indirect_call, or(0, .L_ZL14no_device_codePKciS0_iS0_.has_indirect_call)
	.section	.AMDGPU.csdata,"",@progbits
; Kernel info:
; codeLenInByte = 48
; TotalNumSgprs: 40
; NumVgprs: 52
; NumAgprs: 0
; TotalNumVgprs: 52
; ScratchSize: 16
; MemoryBound: 0
; FloatMode: 240
; IeeeMode: 1
; LDSByteSize: 0 bytes/workgroup (compile time only)
; SGPRBlocks: 4
; VGPRBlocks: 6
; NumSGPRsForWavesPerEU: 40
; NumVGPRsForWavesPerEU: 52
; AccumOffset: 52
; Occupancy: 8
; WaveLimiterHint : 1
; COMPUTE_PGM_RSRC2:SCRATCH_EN: 1
; COMPUTE_PGM_RSRC2:USER_SGPR: 2
; COMPUTE_PGM_RSRC2:TRAP_HANDLER: 0
; COMPUTE_PGM_RSRC2:TGID_X_EN: 1
; COMPUTE_PGM_RSRC2:TGID_Y_EN: 0
; COMPUTE_PGM_RSRC2:TGID_Z_EN: 0
; COMPUTE_PGM_RSRC2:TIDIG_COMP_CNT: 0
; COMPUTE_PGM_RSRC3_GFX90A:ACCUM_OFFSET: 12
; COMPUTE_PGM_RSRC3_GFX90A:TG_SPLIT: 0
	.text
	.p2alignl 6, 3212836864
	.fill 256, 4, 3212836864
	.section	.AMDGPU.gpr_maximums,"",@progbits
	.set amdgpu.max_num_vgpr, 52
	.set amdgpu.max_num_agpr, 0
	.set amdgpu.max_num_sgpr, 34
	.text
	.type	.str.3,@object                  ; @.str.3
	.section	.rodata.str1.1,"aMS",@progbits,1
.str.3:
	.asciz	"/root/src/amdgpu-assembly/repos/ggml-org__llama.cpp/ggml/src/ggml-cuda/template-instances/../fattn-mma-f16.cuh"
	.size	.str.3, 111

	.type	__FUNCTION__._ZL18flash_attn_ext_f16ILi64ELi64ELi8ELi4ELb1ELb0EEvPKcS1_S1_S1_S1_PKiPfP15HIP_vector_typeIfLj2EEffffjfiS5_IjLj3EEiiiiiiiiiiiliiliiiiil,@object ; @__FUNCTION__._ZL18flash_attn_ext_f16ILi64ELi64ELi8ELi4ELb1ELb0EEvPKcS1_S1_S1_S1_PKiPfP15HIP_vector_typeIfLj2EEffffjfiS5_IjLj3EEiiiiiiiiiiiliiliiiiil
__FUNCTION__._ZL18flash_attn_ext_f16ILi64ELi64ELi8ELi4ELb1ELb0EEvPKcS1_S1_S1_S1_PKiPfP15HIP_vector_typeIfLj2EEffffjfiS5_IjLj3EEiiiiiiiiiiiliiliiiiil:
	.asciz	"flash_attn_ext_f16"
	.size	__FUNCTION__._ZL18flash_attn_ext_f16ILi64ELi64ELi8ELi4ELb1ELb0EEvPKcS1_S1_S1_S1_PKiPfP15HIP_vector_typeIfLj2EEffffjfiS5_IjLj3EEiiiiiiiiiiiliiliiiiil, 19

	.type	.str.5,@object                  ; @.str.5
.str.5:
	.asciz	"%s:%d: ERROR: HIP kernel %s has no device code compatible with HIP arch %d.\n"
	.size	.str.5, 77

	.type	__hip_cuid_972876bae6bc5b0,@object ; @__hip_cuid_972876bae6bc5b0
	.section	.bss,"aw",@nobits
	.globl	__hip_cuid_972876bae6bc5b0
__hip_cuid_972876bae6bc5b0:
	.byte	0                               ; 0x0
	.size	__hip_cuid_972876bae6bc5b0, 1

	.ident	"AMD clang version 22.0.0git (https://github.com/RadeonOpenCompute/llvm-project roc-7.2.4 26084 f58b06dce1f9c15707c5f808fd002e18c2accf7e)"
	.section	".note.GNU-stack","",@progbits
	.addrsig
	.addrsig_sym __hip_cuid_972876bae6bc5b0
	.amdgpu_metadata
---
amdhsa.kernels:
  - .agpr_count:     0
    .args:
      - .address_space:  global
        .offset:         0
        .size:           8
        .value_kind:     global_buffer
      - .address_space:  global
        .offset:         8
        .size:           8
        .value_kind:     global_buffer
      - .address_space:  global
        .offset:         16
        .size:           8
        .value_kind:     global_buffer
      - .address_space:  global
        .offset:         24
        .size:           8
        .value_kind:     global_buffer
      - .address_space:  global
        .offset:         32
        .size:           8
        .value_kind:     global_buffer
      - .address_space:  global
        .offset:         40
        .size:           8
        .value_kind:     global_buffer
      - .address_space:  global
        .offset:         48
        .size:           8
        .value_kind:     global_buffer
      - .address_space:  global
        .offset:         56
        .size:           8
        .value_kind:     global_buffer
      - .offset:         64
        .size:           4
        .value_kind:     by_value
      - .offset:         68
        .size:           4
        .value_kind:     by_value
      - .offset:         72
        .size:           4
        .value_kind:     by_value
      - .offset:         76
        .size:           4
        .value_kind:     by_value
      - .offset:         80
        .size:           4
        .value_kind:     by_value
      - .offset:         84
        .size:           4
        .value_kind:     by_value
      - .offset:         88
        .size:           4
        .value_kind:     by_value
      - .offset:         92
        .size:           12
        .value_kind:     by_value
      - .offset:         104
        .size:           4
        .value_kind:     by_value
      - .offset:         108
        .size:           4
        .value_kind:     by_value
      - .offset:         112
        .size:           4
        .value_kind:     by_value
      - .offset:         116
        .size:           4
        .value_kind:     by_value
      - .offset:         120
        .size:           4
        .value_kind:     by_value
      - .offset:         124
        .size:           4
        .value_kind:     by_value
      - .offset:         128
        .size:           4
        .value_kind:     by_value
      - .offset:         132
        .size:           4
        .value_kind:     by_value
      - .offset:         136
        .size:           4
        .value_kind:     by_value
      - .offset:         140
        .size:           4
        .value_kind:     by_value
      - .offset:         144
        .size:           4
        .value_kind:     by_value
      - .offset:         152
        .size:           8
        .value_kind:     by_value
      - .offset:         160
        .size:           4
        .value_kind:     by_value
      - .offset:         164
        .size:           4
        .value_kind:     by_value
      - .offset:         168
        .size:           8
        .value_kind:     by_value
      - .offset:         176
        .size:           4
        .value_kind:     by_value
      - .offset:         180
        .size:           4
        .value_kind:     by_value
      - .offset:         184
        .size:           4
        .value_kind:     by_value
      - .offset:         188
        .size:           4
        .value_kind:     by_value
      - .offset:         192
        .size:           4
        .value_kind:     by_value
      - .offset:         200
        .size:           8
        .value_kind:     by_value
      - .offset:         208
        .size:           4
        .value_kind:     hidden_block_count_x
      - .offset:         212
        .size:           4
        .value_kind:     hidden_block_count_y
      - .offset:         216
        .size:           4
        .value_kind:     hidden_block_count_z
      - .offset:         220
        .size:           2
        .value_kind:     hidden_group_size_x
      - .offset:         222
        .size:           2
        .value_kind:     hidden_group_size_y
      - .offset:         224
        .size:           2
        .value_kind:     hidden_group_size_z
      - .offset:         226
        .size:           2
        .value_kind:     hidden_remainder_x
      - .offset:         228
        .size:           2
        .value_kind:     hidden_remainder_y
      - .offset:         230
        .size:           2
        .value_kind:     hidden_remainder_z
      - .offset:         248
        .size:           8
        .value_kind:     hidden_global_offset_x
      - .offset:         256
        .size:           8
        .value_kind:     hidden_global_offset_y
      - .offset:         264
        .size:           8
        .value_kind:     hidden_global_offset_z
      - .offset:         272
        .size:           2
        .value_kind:     hidden_grid_dims
      - .offset:         328
        .size:           4
        .value_kind:     hidden_dynamic_lds_size
    .group_segment_fixed_size: 0
    .kernarg_segment_align: 8
    .kernarg_segment_size: 464
    .language:       OpenCL C
    .language_version:
      - 2
      - 0
    .max_flat_workgroup_size: 256
    .name:           _ZL18flash_attn_ext_f16ILi64ELi64ELi8ELi4ELb0ELb0EEvPKcS1_S1_S1_S1_PKiPfP15HIP_vector_typeIfLj2EEffffjfiS5_IjLj3EEiiiiiiiiiiiliiliiiiil
    .private_segment_fixed_size: 0
    .sgpr_count:     106
    .sgpr_spill_count: 35
    .symbol:         _ZL18flash_attn_ext_f16ILi64ELi64ELi8ELi4ELb0ELb0EEvPKcS1_S1_S1_S1_PKiPfP15HIP_vector_typeIfLj2EEffffjfiS5_IjLj3EEiiiiiiiiiiiliiliiiiil.kd
    .uniform_work_group_size: 1
    .uses_dynamic_stack: false
    .vgpr_count:     159
    .vgpr_spill_count: 0
    .wavefront_size: 64
  - .agpr_count:     0
    .args:
      - .address_space:  global
        .offset:         0
        .size:           8
        .value_kind:     global_buffer
      - .address_space:  global
        .offset:         8
        .size:           8
        .value_kind:     global_buffer
      - .address_space:  global
        .offset:         16
        .size:           8
        .value_kind:     global_buffer
      - .address_space:  global
        .offset:         24
        .size:           8
        .value_kind:     global_buffer
      - .address_space:  global
        .offset:         32
        .size:           8
        .value_kind:     global_buffer
      - .address_space:  global
        .offset:         40
        .size:           8
        .value_kind:     global_buffer
      - .address_space:  global
        .offset:         48
        .size:           8
        .value_kind:     global_buffer
      - .address_space:  global
        .offset:         56
        .size:           8
        .value_kind:     global_buffer
      - .offset:         64
        .size:           4
        .value_kind:     by_value
      - .offset:         68
        .size:           4
        .value_kind:     by_value
      - .offset:         72
        .size:           4
        .value_kind:     by_value
      - .offset:         76
        .size:           4
        .value_kind:     by_value
      - .offset:         80
        .size:           4
        .value_kind:     by_value
      - .offset:         84
        .size:           4
        .value_kind:     by_value
      - .offset:         88
        .size:           4
        .value_kind:     by_value
      - .offset:         92
        .size:           12
        .value_kind:     by_value
      - .offset:         104
        .size:           4
        .value_kind:     by_value
      - .offset:         108
        .size:           4
        .value_kind:     by_value
      - .offset:         112
        .size:           4
        .value_kind:     by_value
      - .offset:         116
        .size:           4
        .value_kind:     by_value
      - .offset:         120
        .size:           4
        .value_kind:     by_value
      - .offset:         124
        .size:           4
        .value_kind:     by_value
      - .offset:         128
        .size:           4
        .value_kind:     by_value
      - .offset:         132
        .size:           4
        .value_kind:     by_value
      - .offset:         136
        .size:           4
        .value_kind:     by_value
      - .offset:         140
        .size:           4
        .value_kind:     by_value
      - .offset:         144
        .size:           4
        .value_kind:     by_value
      - .offset:         152
        .size:           8
        .value_kind:     by_value
      - .offset:         160
        .size:           4
        .value_kind:     by_value
      - .offset:         164
        .size:           4
        .value_kind:     by_value
      - .offset:         168
        .size:           8
        .value_kind:     by_value
      - .offset:         176
        .size:           4
        .value_kind:     by_value
      - .offset:         180
        .size:           4
        .value_kind:     by_value
      - .offset:         184
        .size:           4
        .value_kind:     by_value
      - .offset:         188
        .size:           4
        .value_kind:     by_value
      - .offset:         192
        .size:           4
        .value_kind:     by_value
      - .offset:         200
        .size:           8
        .value_kind:     by_value
      - .offset:         208
        .size:           4
        .value_kind:     hidden_block_count_x
      - .offset:         212
        .size:           4
        .value_kind:     hidden_block_count_y
      - .offset:         216
        .size:           4
        .value_kind:     hidden_block_count_z
      - .offset:         220
        .size:           2
        .value_kind:     hidden_group_size_x
      - .offset:         222
        .size:           2
        .value_kind:     hidden_group_size_y
      - .offset:         224
        .size:           2
        .value_kind:     hidden_group_size_z
      - .offset:         226
        .size:           2
        .value_kind:     hidden_remainder_x
      - .offset:         228
        .size:           2
        .value_kind:     hidden_remainder_y
      - .offset:         230
        .size:           2
        .value_kind:     hidden_remainder_z
      - .offset:         248
        .size:           8
        .value_kind:     hidden_global_offset_x
      - .offset:         256
        .size:           8
        .value_kind:     hidden_global_offset_y
      - .offset:         264
        .size:           8
        .value_kind:     hidden_global_offset_z
      - .offset:         272
        .size:           2
        .value_kind:     hidden_grid_dims
      - .offset:         288
        .size:           8
        .value_kind:     hidden_hostcall_buffer
    .group_segment_fixed_size: 0
    .kernarg_segment_align: 8
    .kernarg_segment_size: 464
    .language:       OpenCL C
    .language_version:
      - 2
      - 0
    .max_flat_workgroup_size: 256
    .name:           _ZL18flash_attn_ext_f16ILi64ELi64ELi8ELi4ELb1ELb0EEvPKcS1_S1_S1_S1_PKiPfP15HIP_vector_typeIfLj2EEffffjfiS5_IjLj3EEiiiiiiiiiiiliiliiiiil
    .private_segment_fixed_size: 16
    .sgpr_count:     40
    .sgpr_spill_count: 0
    .symbol:         _ZL18flash_attn_ext_f16ILi64ELi64ELi8ELi4ELb1ELb0EEvPKcS1_S1_S1_S1_PKiPfP15HIP_vector_typeIfLj2EEffffjfiS5_IjLj3EEiiiiiiiiiiiliiliiiiil.kd
    .uniform_work_group_size: 1
    .uses_dynamic_stack: false
    .vgpr_count:     52
    .vgpr_spill_count: 0
    .wavefront_size: 64
  - .agpr_count:     0
    .args:
      - .actual_access:  read_only
        .address_space:  global
        .offset:         0
        .size:           8
        .value_kind:     global_buffer
      - .actual_access:  write_only
        .address_space:  global
        .offset:         8
        .size:           8
        .value_kind:     global_buffer
      - .offset:         16
        .size:           4
        .value_kind:     by_value
      - .offset:         20
        .size:           4
        .value_kind:     by_value
      - .offset:         24
        .size:           4
        .value_kind:     by_value
      - .offset:         32
        .size:           4
        .value_kind:     hidden_block_count_x
      - .offset:         36
        .size:           4
        .value_kind:     hidden_block_count_y
      - .offset:         40
        .size:           4
        .value_kind:     hidden_block_count_z
      - .offset:         44
        .size:           2
        .value_kind:     hidden_group_size_x
      - .offset:         46
        .size:           2
        .value_kind:     hidden_group_size_y
      - .offset:         48
        .size:           2
        .value_kind:     hidden_group_size_z
      - .offset:         50
        .size:           2
        .value_kind:     hidden_remainder_x
      - .offset:         52
        .size:           2
        .value_kind:     hidden_remainder_y
      - .offset:         54
        .size:           2
        .value_kind:     hidden_remainder_z
      - .offset:         72
        .size:           8
        .value_kind:     hidden_global_offset_x
      - .offset:         80
        .size:           8
        .value_kind:     hidden_global_offset_y
      - .offset:         88
        .size:           8
        .value_kind:     hidden_global_offset_z
      - .offset:         96
        .size:           2
        .value_kind:     hidden_grid_dims
    .group_segment_fixed_size: 128
    .kernarg_segment_align: 8
    .kernarg_segment_size: 288
    .language:       OpenCL C
    .language_version:
      - 2
      - 0
    .max_flat_workgroup_size: 128
    .name:           _ZL25flash_attn_mask_to_KV_maxILi8EEvPK7__half2Piiii
    .private_segment_fixed_size: 0
    .sgpr_count:     52
    .sgpr_spill_count: 0
    .symbol:         _ZL25flash_attn_mask_to_KV_maxILi8EEvPK7__half2Piiii.kd
    .uniform_work_group_size: 1
    .uses_dynamic_stack: false
    .vgpr_count:     12
    .vgpr_spill_count: 0
    .wavefront_size: 64
  - .agpr_count:     0
    .args:
      - .address_space:  global
        .offset:         0
        .size:           8
        .value_kind:     global_buffer
      - .address_space:  global
        .offset:         8
        .size:           8
        .value_kind:     global_buffer
      - .offset:         16
        .size:           4
        .value_kind:     by_value
      - .offset:         20
        .size:           4
        .value_kind:     by_value
      - .offset:         24
        .size:           4
        .value_kind:     by_value
      - .offset:         28
        .size:           4
        .value_kind:     by_value
      - .offset:         32
        .size:           4
        .value_kind:     by_value
      - .offset:         36
        .size:           4
        .value_kind:     by_value
      - .offset:         40
        .size:           12
        .value_kind:     by_value
      - .offset:         52
        .size:           12
        .value_kind:     by_value
      - .offset:         64
        .size:           12
        .value_kind:     by_value
    .group_segment_fixed_size: 0
    .kernarg_segment_align: 8
    .kernarg_segment_size: 76
    .language:       OpenCL C
    .language_version:
      - 2
      - 0
    .max_flat_workgroup_size: 64
    .name:           _ZL33flash_attn_stream_k_fixup_uniformILi64ELi8ELi4EEvPfPK15HIP_vector_typeIfLj2EEiiiiiiS1_IjLj3EES5_S5_
    .private_segment_fixed_size: 0
    .sgpr_count:     30
    .sgpr_spill_count: 0
    .symbol:         _ZL33flash_attn_stream_k_fixup_uniformILi64ELi8ELi4EEvPfPK15HIP_vector_typeIfLj2EEiiiiiiS1_IjLj3EES5_S5_.kd
    .uniform_work_group_size: 1
    .uses_dynamic_stack: false
    .vgpr_count:     17
    .vgpr_spill_count: 0
    .wavefront_size: 64
  - .agpr_count:     0
    .args:
      - .address_space:  global
        .offset:         0
        .size:           8
        .value_kind:     global_buffer
      - .address_space:  global
        .offset:         8
        .size:           8
        .value_kind:     global_buffer
      - .offset:         16
        .size:           4
        .value_kind:     by_value
      - .offset:         20
        .size:           4
        .value_kind:     by_value
      - .offset:         24
        .size:           4
        .value_kind:     by_value
      - .offset:         28
        .size:           4
        .value_kind:     by_value
      - .offset:         32
        .size:           12
        .value_kind:     by_value
      - .offset:         44
        .size:           12
        .value_kind:     by_value
      - .offset:         56
        .size:           12
        .value_kind:     by_value
      - .offset:         68
        .size:           12
        .value_kind:     by_value
      - .offset:         80
        .size:           4
        .value_kind:     hidden_block_count_x
      - .offset:         84
        .size:           4
        .value_kind:     hidden_block_count_y
      - .offset:         88
        .size:           4
        .value_kind:     hidden_block_count_z
      - .offset:         92
        .size:           2
        .value_kind:     hidden_group_size_x
      - .offset:         94
        .size:           2
        .value_kind:     hidden_group_size_y
      - .offset:         96
        .size:           2
        .value_kind:     hidden_group_size_z
      - .offset:         98
        .size:           2
        .value_kind:     hidden_remainder_x
      - .offset:         100
        .size:           2
        .value_kind:     hidden_remainder_y
      - .offset:         102
        .size:           2
        .value_kind:     hidden_remainder_z
      - .offset:         120
        .size:           8
        .value_kind:     hidden_global_offset_x
      - .offset:         128
        .size:           8
        .value_kind:     hidden_global_offset_y
      - .offset:         136
        .size:           8
        .value_kind:     hidden_global_offset_z
      - .offset:         144
        .size:           2
        .value_kind:     hidden_grid_dims
    .group_segment_fixed_size: 0
    .kernarg_segment_align: 8
    .kernarg_segment_size: 336
    .language:       OpenCL C
    .language_version:
      - 2
      - 0
    .max_flat_workgroup_size: 64
    .name:           _ZL33flash_attn_stream_k_fixup_generalILi64ELi8ELi4EEvPfPK15HIP_vector_typeIfLj2EEiiiiS1_IjLj3EES5_S5_S5_
    .private_segment_fixed_size: 0
    .sgpr_count:     42
    .sgpr_spill_count: 0
    .symbol:         _ZL33flash_attn_stream_k_fixup_generalILi64ELi8ELi4EEvPfPK15HIP_vector_typeIfLj2EEiiiiS1_IjLj3EES5_S5_S5_.kd
    .uniform_work_group_size: 1
    .uses_dynamic_stack: false
    .vgpr_count:     18
    .vgpr_spill_count: 0
    .wavefront_size: 64
  - .agpr_count:     0
    .args:
      - .address_space:  global
        .offset:         0
        .size:           8
        .value_kind:     global_buffer
      - .address_space:  global
        .offset:         8
        .size:           8
        .value_kind:     global_buffer
      - .address_space:  global
        .offset:         16
        .size:           8
        .value_kind:     global_buffer
      - .offset:         24
        .size:           4
        .value_kind:     by_value
      - .offset:         32
        .size:           4
        .value_kind:     hidden_block_count_x
      - .offset:         36
        .size:           4
        .value_kind:     hidden_block_count_y
      - .offset:         40
        .size:           4
        .value_kind:     hidden_block_count_z
      - .offset:         44
        .size:           2
        .value_kind:     hidden_group_size_x
      - .offset:         46
        .size:           2
        .value_kind:     hidden_group_size_y
      - .offset:         48
        .size:           2
        .value_kind:     hidden_group_size_z
      - .offset:         50
        .size:           2
        .value_kind:     hidden_remainder_x
      - .offset:         52
        .size:           2
        .value_kind:     hidden_remainder_y
      - .offset:         54
        .size:           2
        .value_kind:     hidden_remainder_z
      - .offset:         72
        .size:           8
        .value_kind:     hidden_global_offset_x
      - .offset:         80
        .size:           8
        .value_kind:     hidden_global_offset_y
      - .offset:         88
        .size:           8
        .value_kind:     hidden_global_offset_z
      - .offset:         96
        .size:           2
        .value_kind:     hidden_grid_dims
      - .offset:         152
        .size:           4
        .value_kind:     hidden_dynamic_lds_size
    .group_segment_fixed_size: 0
    .kernarg_segment_align: 8
    .kernarg_segment_size: 288
    .language:       OpenCL C
    .language_version:
      - 2
      - 0
    .max_flat_workgroup_size: 64
    .name:           _ZL26flash_attn_combine_resultsILi64EEvPKfPK15HIP_vector_typeIfLj2EEPfi
    .private_segment_fixed_size: 0
    .sgpr_count:     32
    .sgpr_spill_count: 0
    .symbol:         _ZL26flash_attn_combine_resultsILi64EEvPKfPK15HIP_vector_typeIfLj2EEPfi.kd
    .uniform_work_group_size: 1
    .uses_dynamic_stack: false
    .vgpr_count:     59
    .vgpr_spill_count: 0
    .wavefront_size: 64
  - .agpr_count:     0
    .args:
      - .address_space:  global
        .offset:         0
        .size:           8
        .value_kind:     global_buffer
      - .address_space:  global
        .offset:         8
        .size:           8
        .value_kind:     global_buffer
      - .address_space:  global
        .offset:         16
        .size:           8
        .value_kind:     global_buffer
      - .address_space:  global
        .offset:         24
        .size:           8
        .value_kind:     global_buffer
      - .address_space:  global
        .offset:         32
        .size:           8
        .value_kind:     global_buffer
      - .address_space:  global
        .offset:         40
        .size:           8
        .value_kind:     global_buffer
      - .address_space:  global
        .offset:         48
        .size:           8
        .value_kind:     global_buffer
      - .address_space:  global
        .offset:         56
        .size:           8
        .value_kind:     global_buffer
      - .offset:         64
        .size:           4
        .value_kind:     by_value
      - .offset:         68
        .size:           4
        .value_kind:     by_value
      - .offset:         72
        .size:           4
        .value_kind:     by_value
      - .offset:         76
        .size:           4
        .value_kind:     by_value
      - .offset:         80
        .size:           4
        .value_kind:     by_value
      - .offset:         84
        .size:           4
        .value_kind:     by_value
      - .offset:         88
        .size:           4
        .value_kind:     by_value
      - .offset:         92
        .size:           12
        .value_kind:     by_value
      - .offset:         104
        .size:           4
        .value_kind:     by_value
      - .offset:         108
        .size:           4
        .value_kind:     by_value
      - .offset:         112
        .size:           4
        .value_kind:     by_value
      - .offset:         116
        .size:           4
        .value_kind:     by_value
      - .offset:         120
        .size:           4
        .value_kind:     by_value
      - .offset:         124
        .size:           4
        .value_kind:     by_value
      - .offset:         128
        .size:           4
        .value_kind:     by_value
      - .offset:         132
        .size:           4
        .value_kind:     by_value
      - .offset:         136
        .size:           4
        .value_kind:     by_value
      - .offset:         140
        .size:           4
        .value_kind:     by_value
      - .offset:         144
        .size:           4
        .value_kind:     by_value
      - .offset:         152
        .size:           8
        .value_kind:     by_value
      - .offset:         160
        .size:           4
        .value_kind:     by_value
      - .offset:         164
        .size:           4
        .value_kind:     by_value
      - .offset:         168
        .size:           8
        .value_kind:     by_value
      - .offset:         176
        .size:           4
        .value_kind:     by_value
      - .offset:         180
        .size:           4
        .value_kind:     by_value
      - .offset:         184
        .size:           4
        .value_kind:     by_value
      - .offset:         188
        .size:           4
        .value_kind:     by_value
      - .offset:         192
        .size:           4
        .value_kind:     by_value
      - .offset:         200
        .size:           8
        .value_kind:     by_value
      - .offset:         208
        .size:           4
        .value_kind:     hidden_block_count_x
      - .offset:         212
        .size:           4
        .value_kind:     hidden_block_count_y
      - .offset:         216
        .size:           4
        .value_kind:     hidden_block_count_z
      - .offset:         220
        .size:           2
        .value_kind:     hidden_group_size_x
      - .offset:         222
        .size:           2
        .value_kind:     hidden_group_size_y
      - .offset:         224
        .size:           2
        .value_kind:     hidden_group_size_z
      - .offset:         226
        .size:           2
        .value_kind:     hidden_remainder_x
      - .offset:         228
        .size:           2
        .value_kind:     hidden_remainder_y
      - .offset:         230
        .size:           2
        .value_kind:     hidden_remainder_z
      - .offset:         248
        .size:           8
        .value_kind:     hidden_global_offset_x
      - .offset:         256
        .size:           8
        .value_kind:     hidden_global_offset_y
      - .offset:         264
        .size:           8
        .value_kind:     hidden_global_offset_z
      - .offset:         272
        .size:           2
        .value_kind:     hidden_grid_dims
      - .offset:         328
        .size:           4
        .value_kind:     hidden_dynamic_lds_size
    .group_segment_fixed_size: 0
    .kernarg_segment_align: 8
    .kernarg_segment_size: 464
    .language:       OpenCL C
    .language_version:
      - 2
      - 0
    .max_flat_workgroup_size: 256
    .name:           _ZL18flash_attn_ext_f16ILi80ELi80ELi8ELi4ELb0ELb0EEvPKcS1_S1_S1_S1_PKiPfP15HIP_vector_typeIfLj2EEffffjfiS5_IjLj3EEiiiiiiiiiiiliiliiiiil
    .private_segment_fixed_size: 0
    .sgpr_count:     106
    .sgpr_spill_count: 33
    .symbol:         _ZL18flash_attn_ext_f16ILi80ELi80ELi8ELi4ELb0ELb0EEvPKcS1_S1_S1_S1_PKiPfP15HIP_vector_typeIfLj2EEffffjfiS5_IjLj3EEiiiiiiiiiiiliiliiiiil.kd
    .uniform_work_group_size: 1
    .uses_dynamic_stack: false
    .vgpr_count:     165
    .vgpr_spill_count: 0
    .wavefront_size: 64
  - .agpr_count:     0
    .args:
      - .address_space:  global
        .offset:         0
        .size:           8
        .value_kind:     global_buffer
      - .address_space:  global
        .offset:         8
        .size:           8
        .value_kind:     global_buffer
      - .address_space:  global
        .offset:         16
        .size:           8
        .value_kind:     global_buffer
      - .address_space:  global
        .offset:         24
        .size:           8
        .value_kind:     global_buffer
      - .address_space:  global
        .offset:         32
        .size:           8
        .value_kind:     global_buffer
      - .address_space:  global
        .offset:         40
        .size:           8
        .value_kind:     global_buffer
      - .address_space:  global
        .offset:         48
        .size:           8
        .value_kind:     global_buffer
      - .address_space:  global
        .offset:         56
        .size:           8
        .value_kind:     global_buffer
      - .offset:         64
        .size:           4
        .value_kind:     by_value
      - .offset:         68
        .size:           4
        .value_kind:     by_value
      - .offset:         72
        .size:           4
        .value_kind:     by_value
      - .offset:         76
        .size:           4
        .value_kind:     by_value
      - .offset:         80
        .size:           4
        .value_kind:     by_value
      - .offset:         84
        .size:           4
        .value_kind:     by_value
      - .offset:         88
        .size:           4
        .value_kind:     by_value
      - .offset:         92
        .size:           12
        .value_kind:     by_value
      - .offset:         104
        .size:           4
        .value_kind:     by_value
      - .offset:         108
        .size:           4
        .value_kind:     by_value
      - .offset:         112
        .size:           4
        .value_kind:     by_value
      - .offset:         116
        .size:           4
        .value_kind:     by_value
      - .offset:         120
        .size:           4
        .value_kind:     by_value
      - .offset:         124
        .size:           4
        .value_kind:     by_value
      - .offset:         128
        .size:           4
        .value_kind:     by_value
      - .offset:         132
        .size:           4
        .value_kind:     by_value
      - .offset:         136
        .size:           4
        .value_kind:     by_value
      - .offset:         140
        .size:           4
        .value_kind:     by_value
      - .offset:         144
        .size:           4
        .value_kind:     by_value
      - .offset:         152
        .size:           8
        .value_kind:     by_value
      - .offset:         160
        .size:           4
        .value_kind:     by_value
      - .offset:         164
        .size:           4
        .value_kind:     by_value
      - .offset:         168
        .size:           8
        .value_kind:     by_value
      - .offset:         176
        .size:           4
        .value_kind:     by_value
      - .offset:         180
        .size:           4
        .value_kind:     by_value
      - .offset:         184
        .size:           4
        .value_kind:     by_value
      - .offset:         188
        .size:           4
        .value_kind:     by_value
      - .offset:         192
        .size:           4
        .value_kind:     by_value
      - .offset:         200
        .size:           8
        .value_kind:     by_value
      - .offset:         208
        .size:           4
        .value_kind:     hidden_block_count_x
      - .offset:         212
        .size:           4
        .value_kind:     hidden_block_count_y
      - .offset:         216
        .size:           4
        .value_kind:     hidden_block_count_z
      - .offset:         220
        .size:           2
        .value_kind:     hidden_group_size_x
      - .offset:         222
        .size:           2
        .value_kind:     hidden_group_size_y
      - .offset:         224
        .size:           2
        .value_kind:     hidden_group_size_z
      - .offset:         226
        .size:           2
        .value_kind:     hidden_remainder_x
      - .offset:         228
        .size:           2
        .value_kind:     hidden_remainder_y
      - .offset:         230
        .size:           2
        .value_kind:     hidden_remainder_z
      - .offset:         248
        .size:           8
        .value_kind:     hidden_global_offset_x
      - .offset:         256
        .size:           8
        .value_kind:     hidden_global_offset_y
      - .offset:         264
        .size:           8
        .value_kind:     hidden_global_offset_z
      - .offset:         272
        .size:           2
        .value_kind:     hidden_grid_dims
      - .offset:         288
        .size:           8
        .value_kind:     hidden_hostcall_buffer
    .group_segment_fixed_size: 0
    .kernarg_segment_align: 8
    .kernarg_segment_size: 464
    .language:       OpenCL C
    .language_version:
      - 2
      - 0
    .max_flat_workgroup_size: 256
    .name:           _ZL18flash_attn_ext_f16ILi80ELi80ELi8ELi4ELb1ELb0EEvPKcS1_S1_S1_S1_PKiPfP15HIP_vector_typeIfLj2EEffffjfiS5_IjLj3EEiiiiiiiiiiiliiliiiiil
    .private_segment_fixed_size: 16
    .sgpr_count:     40
    .sgpr_spill_count: 0
    .symbol:         _ZL18flash_attn_ext_f16ILi80ELi80ELi8ELi4ELb1ELb0EEvPKcS1_S1_S1_S1_PKiPfP15HIP_vector_typeIfLj2EEffffjfiS5_IjLj3EEiiiiiiiiiiiliiliiiiil.kd
    .uniform_work_group_size: 1
    .uses_dynamic_stack: false
    .vgpr_count:     52
    .vgpr_spill_count: 0
    .wavefront_size: 64
  - .agpr_count:     0
    .args:
      - .address_space:  global
        .offset:         0
        .size:           8
        .value_kind:     global_buffer
      - .address_space:  global
        .offset:         8
        .size:           8
        .value_kind:     global_buffer
      - .offset:         16
        .size:           4
        .value_kind:     by_value
      - .offset:         20
        .size:           4
        .value_kind:     by_value
      - .offset:         24
        .size:           4
        .value_kind:     by_value
      - .offset:         28
        .size:           4
        .value_kind:     by_value
      - .offset:         32
        .size:           4
        .value_kind:     by_value
      - .offset:         36
        .size:           4
        .value_kind:     by_value
      - .offset:         40
        .size:           12
        .value_kind:     by_value
      - .offset:         52
        .size:           12
        .value_kind:     by_value
      - .offset:         64
        .size:           12
        .value_kind:     by_value
    .group_segment_fixed_size: 0
    .kernarg_segment_align: 8
    .kernarg_segment_size: 76
    .language:       OpenCL C
    .language_version:
      - 2
      - 0
    .max_flat_workgroup_size: 80
    .name:           _ZL33flash_attn_stream_k_fixup_uniformILi80ELi8ELi4EEvPfPK15HIP_vector_typeIfLj2EEiiiiiiS1_IjLj3EES5_S5_
    .private_segment_fixed_size: 0
    .sgpr_count:     26
    .sgpr_spill_count: 0
    .symbol:         _ZL33flash_attn_stream_k_fixup_uniformILi80ELi8ELi4EEvPfPK15HIP_vector_typeIfLj2EEiiiiiiS1_IjLj3EES5_S5_.kd
    .uniform_work_group_size: 1
    .uses_dynamic_stack: false
    .vgpr_count:     17
    .vgpr_spill_count: 0
    .wavefront_size: 64
  - .agpr_count:     0
    .args:
      - .address_space:  global
        .offset:         0
        .size:           8
        .value_kind:     global_buffer
      - .address_space:  global
        .offset:         8
        .size:           8
        .value_kind:     global_buffer
      - .offset:         16
        .size:           4
        .value_kind:     by_value
      - .offset:         20
        .size:           4
        .value_kind:     by_value
      - .offset:         24
        .size:           4
        .value_kind:     by_value
      - .offset:         28
        .size:           4
        .value_kind:     by_value
      - .offset:         32
        .size:           12
        .value_kind:     by_value
      - .offset:         44
        .size:           12
        .value_kind:     by_value
      - .offset:         56
        .size:           12
        .value_kind:     by_value
      - .offset:         68
        .size:           12
        .value_kind:     by_value
      - .offset:         80
        .size:           4
        .value_kind:     hidden_block_count_x
      - .offset:         84
        .size:           4
        .value_kind:     hidden_block_count_y
      - .offset:         88
        .size:           4
        .value_kind:     hidden_block_count_z
      - .offset:         92
        .size:           2
        .value_kind:     hidden_group_size_x
      - .offset:         94
        .size:           2
        .value_kind:     hidden_group_size_y
      - .offset:         96
        .size:           2
        .value_kind:     hidden_group_size_z
      - .offset:         98
        .size:           2
        .value_kind:     hidden_remainder_x
      - .offset:         100
        .size:           2
        .value_kind:     hidden_remainder_y
      - .offset:         102
        .size:           2
        .value_kind:     hidden_remainder_z
      - .offset:         120
        .size:           8
        .value_kind:     hidden_global_offset_x
      - .offset:         128
        .size:           8
        .value_kind:     hidden_global_offset_y
      - .offset:         136
        .size:           8
        .value_kind:     hidden_global_offset_z
      - .offset:         144
        .size:           2
        .value_kind:     hidden_grid_dims
    .group_segment_fixed_size: 0
    .kernarg_segment_align: 8
    .kernarg_segment_size: 336
    .language:       OpenCL C
    .language_version:
      - 2
      - 0
    .max_flat_workgroup_size: 80
    .name:           _ZL33flash_attn_stream_k_fixup_generalILi80ELi8ELi4EEvPfPK15HIP_vector_typeIfLj2EEiiiiS1_IjLj3EES5_S5_S5_
    .private_segment_fixed_size: 0
    .sgpr_count:     42
    .sgpr_spill_count: 0
    .symbol:         _ZL33flash_attn_stream_k_fixup_generalILi80ELi8ELi4EEvPfPK15HIP_vector_typeIfLj2EEiiiiS1_IjLj3EES5_S5_S5_.kd
    .uniform_work_group_size: 1
    .uses_dynamic_stack: false
    .vgpr_count:     18
    .vgpr_spill_count: 0
    .wavefront_size: 64
  - .agpr_count:     0
    .args:
      - .address_space:  global
        .offset:         0
        .size:           8
        .value_kind:     global_buffer
      - .address_space:  global
        .offset:         8
        .size:           8
        .value_kind:     global_buffer
      - .address_space:  global
        .offset:         16
        .size:           8
        .value_kind:     global_buffer
      - .offset:         24
        .size:           4
        .value_kind:     by_value
      - .offset:         32
        .size:           4
        .value_kind:     hidden_block_count_x
      - .offset:         36
        .size:           4
        .value_kind:     hidden_block_count_y
      - .offset:         40
        .size:           4
        .value_kind:     hidden_block_count_z
      - .offset:         44
        .size:           2
        .value_kind:     hidden_group_size_x
      - .offset:         46
        .size:           2
        .value_kind:     hidden_group_size_y
      - .offset:         48
        .size:           2
        .value_kind:     hidden_group_size_z
      - .offset:         50
        .size:           2
        .value_kind:     hidden_remainder_x
      - .offset:         52
        .size:           2
        .value_kind:     hidden_remainder_y
      - .offset:         54
        .size:           2
        .value_kind:     hidden_remainder_z
      - .offset:         72
        .size:           8
        .value_kind:     hidden_global_offset_x
      - .offset:         80
        .size:           8
        .value_kind:     hidden_global_offset_y
      - .offset:         88
        .size:           8
        .value_kind:     hidden_global_offset_z
      - .offset:         96
        .size:           2
        .value_kind:     hidden_grid_dims
      - .offset:         152
        .size:           4
        .value_kind:     hidden_dynamic_lds_size
    .group_segment_fixed_size: 0
    .kernarg_segment_align: 8
    .kernarg_segment_size: 288
    .language:       OpenCL C
    .language_version:
      - 2
      - 0
    .max_flat_workgroup_size: 80
    .name:           _ZL26flash_attn_combine_resultsILi80EEvPKfPK15HIP_vector_typeIfLj2EEPfi
    .private_segment_fixed_size: 0
    .sgpr_count:     36
    .sgpr_spill_count: 0
    .symbol:         _ZL26flash_attn_combine_resultsILi80EEvPKfPK15HIP_vector_typeIfLj2EEPfi.kd
    .uniform_work_group_size: 1
    .uses_dynamic_stack: false
    .vgpr_count:     57
    .vgpr_spill_count: 0
    .wavefront_size: 64
  - .agpr_count:     0
    .args:
      - .address_space:  global
        .offset:         0
        .size:           8
        .value_kind:     global_buffer
      - .address_space:  global
        .offset:         8
        .size:           8
        .value_kind:     global_buffer
      - .address_space:  global
        .offset:         16
        .size:           8
        .value_kind:     global_buffer
      - .address_space:  global
        .offset:         24
        .size:           8
        .value_kind:     global_buffer
      - .address_space:  global
        .offset:         32
        .size:           8
        .value_kind:     global_buffer
      - .address_space:  global
        .offset:         40
        .size:           8
        .value_kind:     global_buffer
      - .address_space:  global
        .offset:         48
        .size:           8
        .value_kind:     global_buffer
      - .address_space:  global
        .offset:         56
        .size:           8
        .value_kind:     global_buffer
      - .offset:         64
        .size:           4
        .value_kind:     by_value
      - .offset:         68
        .size:           4
        .value_kind:     by_value
      - .offset:         72
        .size:           4
        .value_kind:     by_value
      - .offset:         76
        .size:           4
        .value_kind:     by_value
      - .offset:         80
        .size:           4
        .value_kind:     by_value
      - .offset:         84
        .size:           4
        .value_kind:     by_value
      - .offset:         88
        .size:           4
        .value_kind:     by_value
      - .offset:         92
        .size:           12
        .value_kind:     by_value
      - .offset:         104
        .size:           4
        .value_kind:     by_value
      - .offset:         108
        .size:           4
        .value_kind:     by_value
      - .offset:         112
        .size:           4
        .value_kind:     by_value
      - .offset:         116
        .size:           4
        .value_kind:     by_value
      - .offset:         120
        .size:           4
        .value_kind:     by_value
      - .offset:         124
        .size:           4
        .value_kind:     by_value
      - .offset:         128
        .size:           4
        .value_kind:     by_value
      - .offset:         132
        .size:           4
        .value_kind:     by_value
      - .offset:         136
        .size:           4
        .value_kind:     by_value
      - .offset:         140
        .size:           4
        .value_kind:     by_value
      - .offset:         144
        .size:           4
        .value_kind:     by_value
      - .offset:         152
        .size:           8
        .value_kind:     by_value
      - .offset:         160
        .size:           4
        .value_kind:     by_value
      - .offset:         164
        .size:           4
        .value_kind:     by_value
      - .offset:         168
        .size:           8
        .value_kind:     by_value
      - .offset:         176
        .size:           4
        .value_kind:     by_value
      - .offset:         180
        .size:           4
        .value_kind:     by_value
      - .offset:         184
        .size:           4
        .value_kind:     by_value
      - .offset:         188
        .size:           4
        .value_kind:     by_value
      - .offset:         192
        .size:           4
        .value_kind:     by_value
      - .offset:         200
        .size:           8
        .value_kind:     by_value
      - .offset:         208
        .size:           4
        .value_kind:     hidden_block_count_x
      - .offset:         212
        .size:           4
        .value_kind:     hidden_block_count_y
      - .offset:         216
        .size:           4
        .value_kind:     hidden_block_count_z
      - .offset:         220
        .size:           2
        .value_kind:     hidden_group_size_x
      - .offset:         222
        .size:           2
        .value_kind:     hidden_group_size_y
      - .offset:         224
        .size:           2
        .value_kind:     hidden_group_size_z
      - .offset:         226
        .size:           2
        .value_kind:     hidden_remainder_x
      - .offset:         228
        .size:           2
        .value_kind:     hidden_remainder_y
      - .offset:         230
        .size:           2
        .value_kind:     hidden_remainder_z
      - .offset:         248
        .size:           8
        .value_kind:     hidden_global_offset_x
      - .offset:         256
        .size:           8
        .value_kind:     hidden_global_offset_y
      - .offset:         264
        .size:           8
        .value_kind:     hidden_global_offset_z
      - .offset:         272
        .size:           2
        .value_kind:     hidden_grid_dims
      - .offset:         328
        .size:           4
        .value_kind:     hidden_dynamic_lds_size
    .group_segment_fixed_size: 0
    .kernarg_segment_align: 8
    .kernarg_segment_size: 464
    .language:       OpenCL C
    .language_version:
      - 2
      - 0
    .max_flat_workgroup_size: 256
    .name:           _ZL18flash_attn_ext_f16ILi96ELi96ELi8ELi4ELb0ELb0EEvPKcS1_S1_S1_S1_PKiPfP15HIP_vector_typeIfLj2EEffffjfiS5_IjLj3EEiiiiiiiiiiiliiliiiiil
    .private_segment_fixed_size: 0
    .sgpr_count:     106
    .sgpr_spill_count: 29
    .symbol:         _ZL18flash_attn_ext_f16ILi96ELi96ELi8ELi4ELb0ELb0EEvPKcS1_S1_S1_S1_PKiPfP15HIP_vector_typeIfLj2EEffffjfiS5_IjLj3EEiiiiiiiiiiiliiliiiiil.kd
    .uniform_work_group_size: 1
    .uses_dynamic_stack: false
    .vgpr_count:     179
    .vgpr_spill_count: 0
    .wavefront_size: 64
  - .agpr_count:     0
    .args:
      - .address_space:  global
        .offset:         0
        .size:           8
        .value_kind:     global_buffer
      - .address_space:  global
        .offset:         8
        .size:           8
        .value_kind:     global_buffer
      - .address_space:  global
        .offset:         16
        .size:           8
        .value_kind:     global_buffer
      - .address_space:  global
        .offset:         24
        .size:           8
        .value_kind:     global_buffer
      - .address_space:  global
        .offset:         32
        .size:           8
        .value_kind:     global_buffer
      - .address_space:  global
        .offset:         40
        .size:           8
        .value_kind:     global_buffer
      - .address_space:  global
        .offset:         48
        .size:           8
        .value_kind:     global_buffer
      - .address_space:  global
        .offset:         56
        .size:           8
        .value_kind:     global_buffer
      - .offset:         64
        .size:           4
        .value_kind:     by_value
      - .offset:         68
        .size:           4
        .value_kind:     by_value
      - .offset:         72
        .size:           4
        .value_kind:     by_value
      - .offset:         76
        .size:           4
        .value_kind:     by_value
      - .offset:         80
        .size:           4
        .value_kind:     by_value
      - .offset:         84
        .size:           4
        .value_kind:     by_value
      - .offset:         88
        .size:           4
        .value_kind:     by_value
      - .offset:         92
        .size:           12
        .value_kind:     by_value
      - .offset:         104
        .size:           4
        .value_kind:     by_value
      - .offset:         108
        .size:           4
        .value_kind:     by_value
      - .offset:         112
        .size:           4
        .value_kind:     by_value
      - .offset:         116
        .size:           4
        .value_kind:     by_value
      - .offset:         120
        .size:           4
        .value_kind:     by_value
      - .offset:         124
        .size:           4
        .value_kind:     by_value
      - .offset:         128
        .size:           4
        .value_kind:     by_value
      - .offset:         132
        .size:           4
        .value_kind:     by_value
      - .offset:         136
        .size:           4
        .value_kind:     by_value
      - .offset:         140
        .size:           4
        .value_kind:     by_value
      - .offset:         144
        .size:           4
        .value_kind:     by_value
      - .offset:         152
        .size:           8
        .value_kind:     by_value
      - .offset:         160
        .size:           4
        .value_kind:     by_value
      - .offset:         164
        .size:           4
        .value_kind:     by_value
      - .offset:         168
        .size:           8
        .value_kind:     by_value
      - .offset:         176
        .size:           4
        .value_kind:     by_value
      - .offset:         180
        .size:           4
        .value_kind:     by_value
      - .offset:         184
        .size:           4
        .value_kind:     by_value
      - .offset:         188
        .size:           4
        .value_kind:     by_value
      - .offset:         192
        .size:           4
        .value_kind:     by_value
      - .offset:         200
        .size:           8
        .value_kind:     by_value
      - .offset:         208
        .size:           4
        .value_kind:     hidden_block_count_x
      - .offset:         212
        .size:           4
        .value_kind:     hidden_block_count_y
      - .offset:         216
        .size:           4
        .value_kind:     hidden_block_count_z
      - .offset:         220
        .size:           2
        .value_kind:     hidden_group_size_x
      - .offset:         222
        .size:           2
        .value_kind:     hidden_group_size_y
      - .offset:         224
        .size:           2
        .value_kind:     hidden_group_size_z
      - .offset:         226
        .size:           2
        .value_kind:     hidden_remainder_x
      - .offset:         228
        .size:           2
        .value_kind:     hidden_remainder_y
      - .offset:         230
        .size:           2
        .value_kind:     hidden_remainder_z
      - .offset:         248
        .size:           8
        .value_kind:     hidden_global_offset_x
      - .offset:         256
        .size:           8
        .value_kind:     hidden_global_offset_y
      - .offset:         264
        .size:           8
        .value_kind:     hidden_global_offset_z
      - .offset:         272
        .size:           2
        .value_kind:     hidden_grid_dims
      - .offset:         288
        .size:           8
        .value_kind:     hidden_hostcall_buffer
    .group_segment_fixed_size: 0
    .kernarg_segment_align: 8
    .kernarg_segment_size: 464
    .language:       OpenCL C
    .language_version:
      - 2
      - 0
    .max_flat_workgroup_size: 256
    .name:           _ZL18flash_attn_ext_f16ILi96ELi96ELi8ELi4ELb1ELb0EEvPKcS1_S1_S1_S1_PKiPfP15HIP_vector_typeIfLj2EEffffjfiS5_IjLj3EEiiiiiiiiiiiliiliiiiil
    .private_segment_fixed_size: 16
    .sgpr_count:     40
    .sgpr_spill_count: 0
    .symbol:         _ZL18flash_attn_ext_f16ILi96ELi96ELi8ELi4ELb1ELb0EEvPKcS1_S1_S1_S1_PKiPfP15HIP_vector_typeIfLj2EEffffjfiS5_IjLj3EEiiiiiiiiiiiliiliiiiil.kd
    .uniform_work_group_size: 1
    .uses_dynamic_stack: false
    .vgpr_count:     52
    .vgpr_spill_count: 0
    .wavefront_size: 64
  - .agpr_count:     0
    .args:
      - .address_space:  global
        .offset:         0
        .size:           8
        .value_kind:     global_buffer
      - .address_space:  global
        .offset:         8
        .size:           8
        .value_kind:     global_buffer
      - .offset:         16
        .size:           4
        .value_kind:     by_value
      - .offset:         20
        .size:           4
        .value_kind:     by_value
      - .offset:         24
        .size:           4
        .value_kind:     by_value
      - .offset:         28
        .size:           4
        .value_kind:     by_value
      - .offset:         32
        .size:           4
        .value_kind:     by_value
      - .offset:         36
        .size:           4
        .value_kind:     by_value
      - .offset:         40
        .size:           12
        .value_kind:     by_value
      - .offset:         52
        .size:           12
        .value_kind:     by_value
      - .offset:         64
        .size:           12
        .value_kind:     by_value
    .group_segment_fixed_size: 0
    .kernarg_segment_align: 8
    .kernarg_segment_size: 76
    .language:       OpenCL C
    .language_version:
      - 2
      - 0
    .max_flat_workgroup_size: 96
    .name:           _ZL33flash_attn_stream_k_fixup_uniformILi96ELi8ELi4EEvPfPK15HIP_vector_typeIfLj2EEiiiiiiS1_IjLj3EES5_S5_
    .private_segment_fixed_size: 0
    .sgpr_count:     26
    .sgpr_spill_count: 0
    .symbol:         _ZL33flash_attn_stream_k_fixup_uniformILi96ELi8ELi4EEvPfPK15HIP_vector_typeIfLj2EEiiiiiiS1_IjLj3EES5_S5_.kd
    .uniform_work_group_size: 1
    .uses_dynamic_stack: false
    .vgpr_count:     17
    .vgpr_spill_count: 0
    .wavefront_size: 64
  - .agpr_count:     0
    .args:
      - .address_space:  global
        .offset:         0
        .size:           8
        .value_kind:     global_buffer
      - .address_space:  global
        .offset:         8
        .size:           8
        .value_kind:     global_buffer
      - .offset:         16
        .size:           4
        .value_kind:     by_value
      - .offset:         20
        .size:           4
        .value_kind:     by_value
      - .offset:         24
        .size:           4
        .value_kind:     by_value
      - .offset:         28
        .size:           4
        .value_kind:     by_value
      - .offset:         32
        .size:           12
        .value_kind:     by_value
      - .offset:         44
        .size:           12
        .value_kind:     by_value
      - .offset:         56
        .size:           12
        .value_kind:     by_value
      - .offset:         68
        .size:           12
        .value_kind:     by_value
      - .offset:         80
        .size:           4
        .value_kind:     hidden_block_count_x
      - .offset:         84
        .size:           4
        .value_kind:     hidden_block_count_y
      - .offset:         88
        .size:           4
        .value_kind:     hidden_block_count_z
      - .offset:         92
        .size:           2
        .value_kind:     hidden_group_size_x
      - .offset:         94
        .size:           2
        .value_kind:     hidden_group_size_y
      - .offset:         96
        .size:           2
        .value_kind:     hidden_group_size_z
      - .offset:         98
        .size:           2
        .value_kind:     hidden_remainder_x
      - .offset:         100
        .size:           2
        .value_kind:     hidden_remainder_y
      - .offset:         102
        .size:           2
        .value_kind:     hidden_remainder_z
      - .offset:         120
        .size:           8
        .value_kind:     hidden_global_offset_x
      - .offset:         128
        .size:           8
        .value_kind:     hidden_global_offset_y
      - .offset:         136
        .size:           8
        .value_kind:     hidden_global_offset_z
      - .offset:         144
        .size:           2
        .value_kind:     hidden_grid_dims
    .group_segment_fixed_size: 0
    .kernarg_segment_align: 8
    .kernarg_segment_size: 336
    .language:       OpenCL C
    .language_version:
      - 2
      - 0
    .max_flat_workgroup_size: 96
    .name:           _ZL33flash_attn_stream_k_fixup_generalILi96ELi8ELi4EEvPfPK15HIP_vector_typeIfLj2EEiiiiS1_IjLj3EES5_S5_S5_
    .private_segment_fixed_size: 0
    .sgpr_count:     42
    .sgpr_spill_count: 0
    .symbol:         _ZL33flash_attn_stream_k_fixup_generalILi96ELi8ELi4EEvPfPK15HIP_vector_typeIfLj2EEiiiiS1_IjLj3EES5_S5_S5_.kd
    .uniform_work_group_size: 1
    .uses_dynamic_stack: false
    .vgpr_count:     18
    .vgpr_spill_count: 0
    .wavefront_size: 64
  - .agpr_count:     0
    .args:
      - .address_space:  global
        .offset:         0
        .size:           8
        .value_kind:     global_buffer
      - .address_space:  global
        .offset:         8
        .size:           8
        .value_kind:     global_buffer
      - .address_space:  global
        .offset:         16
        .size:           8
        .value_kind:     global_buffer
      - .offset:         24
        .size:           4
        .value_kind:     by_value
      - .offset:         32
        .size:           4
        .value_kind:     hidden_block_count_x
      - .offset:         36
        .size:           4
        .value_kind:     hidden_block_count_y
      - .offset:         40
        .size:           4
        .value_kind:     hidden_block_count_z
      - .offset:         44
        .size:           2
        .value_kind:     hidden_group_size_x
      - .offset:         46
        .size:           2
        .value_kind:     hidden_group_size_y
      - .offset:         48
        .size:           2
        .value_kind:     hidden_group_size_z
      - .offset:         50
        .size:           2
        .value_kind:     hidden_remainder_x
      - .offset:         52
        .size:           2
        .value_kind:     hidden_remainder_y
      - .offset:         54
        .size:           2
        .value_kind:     hidden_remainder_z
      - .offset:         72
        .size:           8
        .value_kind:     hidden_global_offset_x
      - .offset:         80
        .size:           8
        .value_kind:     hidden_global_offset_y
      - .offset:         88
        .size:           8
        .value_kind:     hidden_global_offset_z
      - .offset:         96
        .size:           2
        .value_kind:     hidden_grid_dims
      - .offset:         152
        .size:           4
        .value_kind:     hidden_dynamic_lds_size
    .group_segment_fixed_size: 0
    .kernarg_segment_align: 8
    .kernarg_segment_size: 288
    .language:       OpenCL C
    .language_version:
      - 2
      - 0
    .max_flat_workgroup_size: 96
    .name:           _ZL26flash_attn_combine_resultsILi96EEvPKfPK15HIP_vector_typeIfLj2EEPfi
    .private_segment_fixed_size: 0
    .sgpr_count:     38
    .sgpr_spill_count: 0
    .symbol:         _ZL26flash_attn_combine_resultsILi96EEvPKfPK15HIP_vector_typeIfLj2EEPfi.kd
    .uniform_work_group_size: 1
    .uses_dynamic_stack: false
    .vgpr_count:     57
    .vgpr_spill_count: 0
    .wavefront_size: 64
  - .agpr_count:     0
    .args:
      - .address_space:  global
        .offset:         0
        .size:           8
        .value_kind:     global_buffer
      - .address_space:  global
        .offset:         8
        .size:           8
        .value_kind:     global_buffer
      - .address_space:  global
        .offset:         16
        .size:           8
        .value_kind:     global_buffer
      - .address_space:  global
        .offset:         24
        .size:           8
        .value_kind:     global_buffer
      - .address_space:  global
        .offset:         32
        .size:           8
        .value_kind:     global_buffer
      - .address_space:  global
        .offset:         40
        .size:           8
        .value_kind:     global_buffer
      - .address_space:  global
        .offset:         48
        .size:           8
        .value_kind:     global_buffer
      - .address_space:  global
        .offset:         56
        .size:           8
        .value_kind:     global_buffer
      - .offset:         64
        .size:           4
        .value_kind:     by_value
      - .offset:         68
        .size:           4
        .value_kind:     by_value
      - .offset:         72
        .size:           4
        .value_kind:     by_value
      - .offset:         76
        .size:           4
        .value_kind:     by_value
      - .offset:         80
        .size:           4
        .value_kind:     by_value
      - .offset:         84
        .size:           4
        .value_kind:     by_value
      - .offset:         88
        .size:           4
        .value_kind:     by_value
      - .offset:         92
        .size:           12
        .value_kind:     by_value
      - .offset:         104
        .size:           4
        .value_kind:     by_value
      - .offset:         108
        .size:           4
        .value_kind:     by_value
      - .offset:         112
        .size:           4
        .value_kind:     by_value
      - .offset:         116
        .size:           4
        .value_kind:     by_value
      - .offset:         120
        .size:           4
        .value_kind:     by_value
      - .offset:         124
        .size:           4
        .value_kind:     by_value
      - .offset:         128
        .size:           4
        .value_kind:     by_value
      - .offset:         132
        .size:           4
        .value_kind:     by_value
      - .offset:         136
        .size:           4
        .value_kind:     by_value
      - .offset:         140
        .size:           4
        .value_kind:     by_value
      - .offset:         144
        .size:           4
        .value_kind:     by_value
      - .offset:         152
        .size:           8
        .value_kind:     by_value
      - .offset:         160
        .size:           4
        .value_kind:     by_value
      - .offset:         164
        .size:           4
        .value_kind:     by_value
      - .offset:         168
        .size:           8
        .value_kind:     by_value
      - .offset:         176
        .size:           4
        .value_kind:     by_value
      - .offset:         180
        .size:           4
        .value_kind:     by_value
      - .offset:         184
        .size:           4
        .value_kind:     by_value
      - .offset:         188
        .size:           4
        .value_kind:     by_value
      - .offset:         192
        .size:           4
        .value_kind:     by_value
      - .offset:         200
        .size:           8
        .value_kind:     by_value
      - .offset:         208
        .size:           4
        .value_kind:     hidden_block_count_x
      - .offset:         212
        .size:           4
        .value_kind:     hidden_block_count_y
      - .offset:         216
        .size:           4
        .value_kind:     hidden_block_count_z
      - .offset:         220
        .size:           2
        .value_kind:     hidden_group_size_x
      - .offset:         222
        .size:           2
        .value_kind:     hidden_group_size_y
      - .offset:         224
        .size:           2
        .value_kind:     hidden_group_size_z
      - .offset:         226
        .size:           2
        .value_kind:     hidden_remainder_x
      - .offset:         228
        .size:           2
        .value_kind:     hidden_remainder_y
      - .offset:         230
        .size:           2
        .value_kind:     hidden_remainder_z
      - .offset:         248
        .size:           8
        .value_kind:     hidden_global_offset_x
      - .offset:         256
        .size:           8
        .value_kind:     hidden_global_offset_y
      - .offset:         264
        .size:           8
        .value_kind:     hidden_global_offset_z
      - .offset:         272
        .size:           2
        .value_kind:     hidden_grid_dims
      - .offset:         328
        .size:           4
        .value_kind:     hidden_dynamic_lds_size
    .group_segment_fixed_size: 0
    .kernarg_segment_align: 8
    .kernarg_segment_size: 464
    .language:       OpenCL C
    .language_version:
      - 2
      - 0
    .max_flat_workgroup_size: 256
    .name:           _ZL18flash_attn_ext_f16ILi112ELi112ELi8ELi4ELb0ELb0EEvPKcS1_S1_S1_S1_PKiPfP15HIP_vector_typeIfLj2EEffffjfiS5_IjLj3EEiiiiiiiiiiiliiliiiiil
    .private_segment_fixed_size: 0
    .sgpr_count:     106
    .sgpr_spill_count: 35
    .symbol:         _ZL18flash_attn_ext_f16ILi112ELi112ELi8ELi4ELb0ELb0EEvPKcS1_S1_S1_S1_PKiPfP15HIP_vector_typeIfLj2EEffffjfiS5_IjLj3EEiiiiiiiiiiiliiliiiiil.kd
    .uniform_work_group_size: 1
    .uses_dynamic_stack: false
    .vgpr_count:     202
    .vgpr_spill_count: 0
    .wavefront_size: 64
  - .agpr_count:     0
    .args:
      - .address_space:  global
        .offset:         0
        .size:           8
        .value_kind:     global_buffer
      - .address_space:  global
        .offset:         8
        .size:           8
        .value_kind:     global_buffer
      - .address_space:  global
        .offset:         16
        .size:           8
        .value_kind:     global_buffer
      - .address_space:  global
        .offset:         24
        .size:           8
        .value_kind:     global_buffer
      - .address_space:  global
        .offset:         32
        .size:           8
        .value_kind:     global_buffer
      - .address_space:  global
        .offset:         40
        .size:           8
        .value_kind:     global_buffer
      - .address_space:  global
        .offset:         48
        .size:           8
        .value_kind:     global_buffer
      - .address_space:  global
        .offset:         56
        .size:           8
        .value_kind:     global_buffer
      - .offset:         64
        .size:           4
        .value_kind:     by_value
      - .offset:         68
        .size:           4
        .value_kind:     by_value
      - .offset:         72
        .size:           4
        .value_kind:     by_value
      - .offset:         76
        .size:           4
        .value_kind:     by_value
      - .offset:         80
        .size:           4
        .value_kind:     by_value
      - .offset:         84
        .size:           4
        .value_kind:     by_value
      - .offset:         88
        .size:           4
        .value_kind:     by_value
      - .offset:         92
        .size:           12
        .value_kind:     by_value
      - .offset:         104
        .size:           4
        .value_kind:     by_value
      - .offset:         108
        .size:           4
        .value_kind:     by_value
      - .offset:         112
        .size:           4
        .value_kind:     by_value
      - .offset:         116
        .size:           4
        .value_kind:     by_value
      - .offset:         120
        .size:           4
        .value_kind:     by_value
      - .offset:         124
        .size:           4
        .value_kind:     by_value
      - .offset:         128
        .size:           4
        .value_kind:     by_value
      - .offset:         132
        .size:           4
        .value_kind:     by_value
      - .offset:         136
        .size:           4
        .value_kind:     by_value
      - .offset:         140
        .size:           4
        .value_kind:     by_value
      - .offset:         144
        .size:           4
        .value_kind:     by_value
      - .offset:         152
        .size:           8
        .value_kind:     by_value
      - .offset:         160
        .size:           4
        .value_kind:     by_value
      - .offset:         164
        .size:           4
        .value_kind:     by_value
      - .offset:         168
        .size:           8
        .value_kind:     by_value
      - .offset:         176
        .size:           4
        .value_kind:     by_value
      - .offset:         180
        .size:           4
        .value_kind:     by_value
      - .offset:         184
        .size:           4
        .value_kind:     by_value
      - .offset:         188
        .size:           4
        .value_kind:     by_value
      - .offset:         192
        .size:           4
        .value_kind:     by_value
      - .offset:         200
        .size:           8
        .value_kind:     by_value
      - .offset:         208
        .size:           4
        .value_kind:     hidden_block_count_x
      - .offset:         212
        .size:           4
        .value_kind:     hidden_block_count_y
      - .offset:         216
        .size:           4
        .value_kind:     hidden_block_count_z
      - .offset:         220
        .size:           2
        .value_kind:     hidden_group_size_x
      - .offset:         222
        .size:           2
        .value_kind:     hidden_group_size_y
      - .offset:         224
        .size:           2
        .value_kind:     hidden_group_size_z
      - .offset:         226
        .size:           2
        .value_kind:     hidden_remainder_x
      - .offset:         228
        .size:           2
        .value_kind:     hidden_remainder_y
      - .offset:         230
        .size:           2
        .value_kind:     hidden_remainder_z
      - .offset:         248
        .size:           8
        .value_kind:     hidden_global_offset_x
      - .offset:         256
        .size:           8
        .value_kind:     hidden_global_offset_y
      - .offset:         264
        .size:           8
        .value_kind:     hidden_global_offset_z
      - .offset:         272
        .size:           2
        .value_kind:     hidden_grid_dims
      - .offset:         288
        .size:           8
        .value_kind:     hidden_hostcall_buffer
    .group_segment_fixed_size: 0
    .kernarg_segment_align: 8
    .kernarg_segment_size: 464
    .language:       OpenCL C
    .language_version:
      - 2
      - 0
    .max_flat_workgroup_size: 256
    .name:           _ZL18flash_attn_ext_f16ILi112ELi112ELi8ELi4ELb1ELb0EEvPKcS1_S1_S1_S1_PKiPfP15HIP_vector_typeIfLj2EEffffjfiS5_IjLj3EEiiiiiiiiiiiliiliiiiil
    .private_segment_fixed_size: 16
    .sgpr_count:     40
    .sgpr_spill_count: 0
    .symbol:         _ZL18flash_attn_ext_f16ILi112ELi112ELi8ELi4ELb1ELb0EEvPKcS1_S1_S1_S1_PKiPfP15HIP_vector_typeIfLj2EEffffjfiS5_IjLj3EEiiiiiiiiiiiliiliiiiil.kd
    .uniform_work_group_size: 1
    .uses_dynamic_stack: false
    .vgpr_count:     52
    .vgpr_spill_count: 0
    .wavefront_size: 64
  - .agpr_count:     0
    .args:
      - .address_space:  global
        .offset:         0
        .size:           8
        .value_kind:     global_buffer
      - .address_space:  global
        .offset:         8
        .size:           8
        .value_kind:     global_buffer
      - .offset:         16
        .size:           4
        .value_kind:     by_value
      - .offset:         20
        .size:           4
        .value_kind:     by_value
      - .offset:         24
        .size:           4
        .value_kind:     by_value
      - .offset:         28
        .size:           4
        .value_kind:     by_value
      - .offset:         32
        .size:           4
        .value_kind:     by_value
      - .offset:         36
        .size:           4
        .value_kind:     by_value
      - .offset:         40
        .size:           12
        .value_kind:     by_value
      - .offset:         52
        .size:           12
        .value_kind:     by_value
      - .offset:         64
        .size:           12
        .value_kind:     by_value
    .group_segment_fixed_size: 0
    .kernarg_segment_align: 8
    .kernarg_segment_size: 76
    .language:       OpenCL C
    .language_version:
      - 2
      - 0
    .max_flat_workgroup_size: 112
    .name:           _ZL33flash_attn_stream_k_fixup_uniformILi112ELi8ELi4EEvPfPK15HIP_vector_typeIfLj2EEiiiiiiS1_IjLj3EES5_S5_
    .private_segment_fixed_size: 0
    .sgpr_count:     26
    .sgpr_spill_count: 0
    .symbol:         _ZL33flash_attn_stream_k_fixup_uniformILi112ELi8ELi4EEvPfPK15HIP_vector_typeIfLj2EEiiiiiiS1_IjLj3EES5_S5_.kd
    .uniform_work_group_size: 1
    .uses_dynamic_stack: false
    .vgpr_count:     17
    .vgpr_spill_count: 0
    .wavefront_size: 64
  - .agpr_count:     0
    .args:
      - .address_space:  global
        .offset:         0
        .size:           8
        .value_kind:     global_buffer
      - .address_space:  global
        .offset:         8
        .size:           8
        .value_kind:     global_buffer
      - .offset:         16
        .size:           4
        .value_kind:     by_value
      - .offset:         20
        .size:           4
        .value_kind:     by_value
      - .offset:         24
        .size:           4
        .value_kind:     by_value
      - .offset:         28
        .size:           4
        .value_kind:     by_value
      - .offset:         32
        .size:           12
        .value_kind:     by_value
      - .offset:         44
        .size:           12
        .value_kind:     by_value
      - .offset:         56
        .size:           12
        .value_kind:     by_value
      - .offset:         68
        .size:           12
        .value_kind:     by_value
      - .offset:         80
        .size:           4
        .value_kind:     hidden_block_count_x
      - .offset:         84
        .size:           4
        .value_kind:     hidden_block_count_y
      - .offset:         88
        .size:           4
        .value_kind:     hidden_block_count_z
      - .offset:         92
        .size:           2
        .value_kind:     hidden_group_size_x
      - .offset:         94
        .size:           2
        .value_kind:     hidden_group_size_y
      - .offset:         96
        .size:           2
        .value_kind:     hidden_group_size_z
      - .offset:         98
        .size:           2
        .value_kind:     hidden_remainder_x
      - .offset:         100
        .size:           2
        .value_kind:     hidden_remainder_y
      - .offset:         102
        .size:           2
        .value_kind:     hidden_remainder_z
      - .offset:         120
        .size:           8
        .value_kind:     hidden_global_offset_x
      - .offset:         128
        .size:           8
        .value_kind:     hidden_global_offset_y
      - .offset:         136
        .size:           8
        .value_kind:     hidden_global_offset_z
      - .offset:         144
        .size:           2
        .value_kind:     hidden_grid_dims
    .group_segment_fixed_size: 0
    .kernarg_segment_align: 8
    .kernarg_segment_size: 336
    .language:       OpenCL C
    .language_version:
      - 2
      - 0
    .max_flat_workgroup_size: 112
    .name:           _ZL33flash_attn_stream_k_fixup_generalILi112ELi8ELi4EEvPfPK15HIP_vector_typeIfLj2EEiiiiS1_IjLj3EES5_S5_S5_
    .private_segment_fixed_size: 0
    .sgpr_count:     42
    .sgpr_spill_count: 0
    .symbol:         _ZL33flash_attn_stream_k_fixup_generalILi112ELi8ELi4EEvPfPK15HIP_vector_typeIfLj2EEiiiiS1_IjLj3EES5_S5_S5_.kd
    .uniform_work_group_size: 1
    .uses_dynamic_stack: false
    .vgpr_count:     18
    .vgpr_spill_count: 0
    .wavefront_size: 64
  - .agpr_count:     0
    .args:
      - .address_space:  global
        .offset:         0
        .size:           8
        .value_kind:     global_buffer
      - .address_space:  global
        .offset:         8
        .size:           8
        .value_kind:     global_buffer
      - .address_space:  global
        .offset:         16
        .size:           8
        .value_kind:     global_buffer
      - .offset:         24
        .size:           4
        .value_kind:     by_value
      - .offset:         32
        .size:           4
        .value_kind:     hidden_block_count_x
      - .offset:         36
        .size:           4
        .value_kind:     hidden_block_count_y
      - .offset:         40
        .size:           4
        .value_kind:     hidden_block_count_z
      - .offset:         44
        .size:           2
        .value_kind:     hidden_group_size_x
      - .offset:         46
        .size:           2
        .value_kind:     hidden_group_size_y
      - .offset:         48
        .size:           2
        .value_kind:     hidden_group_size_z
      - .offset:         50
        .size:           2
        .value_kind:     hidden_remainder_x
      - .offset:         52
        .size:           2
        .value_kind:     hidden_remainder_y
      - .offset:         54
        .size:           2
        .value_kind:     hidden_remainder_z
      - .offset:         72
        .size:           8
        .value_kind:     hidden_global_offset_x
      - .offset:         80
        .size:           8
        .value_kind:     hidden_global_offset_y
      - .offset:         88
        .size:           8
        .value_kind:     hidden_global_offset_z
      - .offset:         96
        .size:           2
        .value_kind:     hidden_grid_dims
      - .offset:         152
        .size:           4
        .value_kind:     hidden_dynamic_lds_size
    .group_segment_fixed_size: 0
    .kernarg_segment_align: 8
    .kernarg_segment_size: 288
    .language:       OpenCL C
    .language_version:
      - 2
      - 0
    .max_flat_workgroup_size: 112
    .name:           _ZL26flash_attn_combine_resultsILi112EEvPKfPK15HIP_vector_typeIfLj2EEPfi
    .private_segment_fixed_size: 0
    .sgpr_count:     36
    .sgpr_spill_count: 0
    .symbol:         _ZL26flash_attn_combine_resultsILi112EEvPKfPK15HIP_vector_typeIfLj2EEPfi.kd
    .uniform_work_group_size: 1
    .uses_dynamic_stack: false
    .vgpr_count:     57
    .vgpr_spill_count: 0
    .wavefront_size: 64
  - .agpr_count:     0
    .args:
      - .address_space:  global
        .offset:         0
        .size:           8
        .value_kind:     global_buffer
      - .address_space:  global
        .offset:         8
        .size:           8
        .value_kind:     global_buffer
      - .address_space:  global
        .offset:         16
        .size:           8
        .value_kind:     global_buffer
      - .address_space:  global
        .offset:         24
        .size:           8
        .value_kind:     global_buffer
      - .address_space:  global
        .offset:         32
        .size:           8
        .value_kind:     global_buffer
      - .address_space:  global
        .offset:         40
        .size:           8
        .value_kind:     global_buffer
      - .address_space:  global
        .offset:         48
        .size:           8
        .value_kind:     global_buffer
      - .address_space:  global
        .offset:         56
        .size:           8
        .value_kind:     global_buffer
      - .offset:         64
        .size:           4
        .value_kind:     by_value
      - .offset:         68
        .size:           4
        .value_kind:     by_value
      - .offset:         72
        .size:           4
        .value_kind:     by_value
      - .offset:         76
        .size:           4
        .value_kind:     by_value
      - .offset:         80
        .size:           4
        .value_kind:     by_value
      - .offset:         84
        .size:           4
        .value_kind:     by_value
      - .offset:         88
        .size:           4
        .value_kind:     by_value
      - .offset:         92
        .size:           12
        .value_kind:     by_value
      - .offset:         104
        .size:           4
        .value_kind:     by_value
      - .offset:         108
        .size:           4
        .value_kind:     by_value
      - .offset:         112
        .size:           4
        .value_kind:     by_value
      - .offset:         116
        .size:           4
        .value_kind:     by_value
      - .offset:         120
        .size:           4
        .value_kind:     by_value
      - .offset:         124
        .size:           4
        .value_kind:     by_value
      - .offset:         128
        .size:           4
        .value_kind:     by_value
      - .offset:         132
        .size:           4
        .value_kind:     by_value
      - .offset:         136
        .size:           4
        .value_kind:     by_value
      - .offset:         140
        .size:           4
        .value_kind:     by_value
      - .offset:         144
        .size:           4
        .value_kind:     by_value
      - .offset:         152
        .size:           8
        .value_kind:     by_value
      - .offset:         160
        .size:           4
        .value_kind:     by_value
      - .offset:         164
        .size:           4
        .value_kind:     by_value
      - .offset:         168
        .size:           8
        .value_kind:     by_value
      - .offset:         176
        .size:           4
        .value_kind:     by_value
      - .offset:         180
        .size:           4
        .value_kind:     by_value
      - .offset:         184
        .size:           4
        .value_kind:     by_value
      - .offset:         188
        .size:           4
        .value_kind:     by_value
      - .offset:         192
        .size:           4
        .value_kind:     by_value
      - .offset:         200
        .size:           8
        .value_kind:     by_value
      - .offset:         208
        .size:           4
        .value_kind:     hidden_block_count_x
      - .offset:         212
        .size:           4
        .value_kind:     hidden_block_count_y
      - .offset:         216
        .size:           4
        .value_kind:     hidden_block_count_z
      - .offset:         220
        .size:           2
        .value_kind:     hidden_group_size_x
      - .offset:         222
        .size:           2
        .value_kind:     hidden_group_size_y
      - .offset:         224
        .size:           2
        .value_kind:     hidden_group_size_z
      - .offset:         226
        .size:           2
        .value_kind:     hidden_remainder_x
      - .offset:         228
        .size:           2
        .value_kind:     hidden_remainder_y
      - .offset:         230
        .size:           2
        .value_kind:     hidden_remainder_z
      - .offset:         248
        .size:           8
        .value_kind:     hidden_global_offset_x
      - .offset:         256
        .size:           8
        .value_kind:     hidden_global_offset_y
      - .offset:         264
        .size:           8
        .value_kind:     hidden_global_offset_z
      - .offset:         272
        .size:           2
        .value_kind:     hidden_grid_dims
      - .offset:         328
        .size:           4
        .value_kind:     hidden_dynamic_lds_size
    .group_segment_fixed_size: 0
    .kernarg_segment_align: 8
    .kernarg_segment_size: 464
    .language:       OpenCL C
    .language_version:
      - 2
      - 0
    .max_flat_workgroup_size: 256
    .name:           _ZL18flash_attn_ext_f16ILi128ELi128ELi8ELi4ELb0ELb0EEvPKcS1_S1_S1_S1_PKiPfP15HIP_vector_typeIfLj2EEffffjfiS5_IjLj3EEiiiiiiiiiiiliiliiiiil
    .private_segment_fixed_size: 0
    .sgpr_count:     106
    .sgpr_spill_count: 22
    .symbol:         _ZL18flash_attn_ext_f16ILi128ELi128ELi8ELi4ELb0ELb0EEvPKcS1_S1_S1_S1_PKiPfP15HIP_vector_typeIfLj2EEffffjfiS5_IjLj3EEiiiiiiiiiiiliiliiiiil.kd
    .uniform_work_group_size: 1
    .uses_dynamic_stack: false
    .vgpr_count:     216
    .vgpr_spill_count: 0
    .wavefront_size: 64
  - .agpr_count:     0
    .args:
      - .address_space:  global
        .offset:         0
        .size:           8
        .value_kind:     global_buffer
      - .address_space:  global
        .offset:         8
        .size:           8
        .value_kind:     global_buffer
      - .address_space:  global
        .offset:         16
        .size:           8
        .value_kind:     global_buffer
      - .address_space:  global
        .offset:         24
        .size:           8
        .value_kind:     global_buffer
      - .address_space:  global
        .offset:         32
        .size:           8
        .value_kind:     global_buffer
      - .address_space:  global
        .offset:         40
        .size:           8
        .value_kind:     global_buffer
      - .address_space:  global
        .offset:         48
        .size:           8
        .value_kind:     global_buffer
      - .address_space:  global
        .offset:         56
        .size:           8
        .value_kind:     global_buffer
      - .offset:         64
        .size:           4
        .value_kind:     by_value
      - .offset:         68
        .size:           4
        .value_kind:     by_value
      - .offset:         72
        .size:           4
        .value_kind:     by_value
      - .offset:         76
        .size:           4
        .value_kind:     by_value
      - .offset:         80
        .size:           4
        .value_kind:     by_value
      - .offset:         84
        .size:           4
        .value_kind:     by_value
      - .offset:         88
        .size:           4
        .value_kind:     by_value
      - .offset:         92
        .size:           12
        .value_kind:     by_value
      - .offset:         104
        .size:           4
        .value_kind:     by_value
      - .offset:         108
        .size:           4
        .value_kind:     by_value
      - .offset:         112
        .size:           4
        .value_kind:     by_value
      - .offset:         116
        .size:           4
        .value_kind:     by_value
      - .offset:         120
        .size:           4
        .value_kind:     by_value
      - .offset:         124
        .size:           4
        .value_kind:     by_value
      - .offset:         128
        .size:           4
        .value_kind:     by_value
      - .offset:         132
        .size:           4
        .value_kind:     by_value
      - .offset:         136
        .size:           4
        .value_kind:     by_value
      - .offset:         140
        .size:           4
        .value_kind:     by_value
      - .offset:         144
        .size:           4
        .value_kind:     by_value
      - .offset:         152
        .size:           8
        .value_kind:     by_value
      - .offset:         160
        .size:           4
        .value_kind:     by_value
      - .offset:         164
        .size:           4
        .value_kind:     by_value
      - .offset:         168
        .size:           8
        .value_kind:     by_value
      - .offset:         176
        .size:           4
        .value_kind:     by_value
      - .offset:         180
        .size:           4
        .value_kind:     by_value
      - .offset:         184
        .size:           4
        .value_kind:     by_value
      - .offset:         188
        .size:           4
        .value_kind:     by_value
      - .offset:         192
        .size:           4
        .value_kind:     by_value
      - .offset:         200
        .size:           8
        .value_kind:     by_value
      - .offset:         208
        .size:           4
        .value_kind:     hidden_block_count_x
      - .offset:         212
        .size:           4
        .value_kind:     hidden_block_count_y
      - .offset:         216
        .size:           4
        .value_kind:     hidden_block_count_z
      - .offset:         220
        .size:           2
        .value_kind:     hidden_group_size_x
      - .offset:         222
        .size:           2
        .value_kind:     hidden_group_size_y
      - .offset:         224
        .size:           2
        .value_kind:     hidden_group_size_z
      - .offset:         226
        .size:           2
        .value_kind:     hidden_remainder_x
      - .offset:         228
        .size:           2
        .value_kind:     hidden_remainder_y
      - .offset:         230
        .size:           2
        .value_kind:     hidden_remainder_z
      - .offset:         248
        .size:           8
        .value_kind:     hidden_global_offset_x
      - .offset:         256
        .size:           8
        .value_kind:     hidden_global_offset_y
      - .offset:         264
        .size:           8
        .value_kind:     hidden_global_offset_z
      - .offset:         272
        .size:           2
        .value_kind:     hidden_grid_dims
      - .offset:         328
        .size:           4
        .value_kind:     hidden_dynamic_lds_size
    .group_segment_fixed_size: 0
    .kernarg_segment_align: 8
    .kernarg_segment_size: 464
    .language:       OpenCL C
    .language_version:
      - 2
      - 0
    .max_flat_workgroup_size: 256
    .name:           _ZL18flash_attn_ext_f16ILi128ELi128ELi8ELi4ELb1ELb0EEvPKcS1_S1_S1_S1_PKiPfP15HIP_vector_typeIfLj2EEffffjfiS5_IjLj3EEiiiiiiiiiiiliiliiiiil
    .private_segment_fixed_size: 0
    .sgpr_count:     106
    .sgpr_spill_count: 26
    .symbol:         _ZL18flash_attn_ext_f16ILi128ELi128ELi8ELi4ELb1ELb0EEvPKcS1_S1_S1_S1_PKiPfP15HIP_vector_typeIfLj2EEffffjfiS5_IjLj3EEiiiiiiiiiiiliiliiiiil.kd
    .uniform_work_group_size: 1
    .uses_dynamic_stack: false
    .vgpr_count:     213
    .vgpr_spill_count: 0
    .wavefront_size: 64
  - .agpr_count:     0
    .args:
      - .address_space:  global
        .offset:         0
        .size:           8
        .value_kind:     global_buffer
      - .address_space:  global
        .offset:         8
        .size:           8
        .value_kind:     global_buffer
      - .offset:         16
        .size:           4
        .value_kind:     by_value
      - .offset:         20
        .size:           4
        .value_kind:     by_value
      - .offset:         24
        .size:           4
        .value_kind:     by_value
      - .offset:         28
        .size:           4
        .value_kind:     by_value
      - .offset:         32
        .size:           4
        .value_kind:     by_value
      - .offset:         36
        .size:           4
        .value_kind:     by_value
      - .offset:         40
        .size:           12
        .value_kind:     by_value
      - .offset:         52
        .size:           12
        .value_kind:     by_value
      - .offset:         64
        .size:           12
        .value_kind:     by_value
    .group_segment_fixed_size: 0
    .kernarg_segment_align: 8
    .kernarg_segment_size: 76
    .language:       OpenCL C
    .language_version:
      - 2
      - 0
    .max_flat_workgroup_size: 128
    .name:           _ZL33flash_attn_stream_k_fixup_uniformILi128ELi8ELi4EEvPfPK15HIP_vector_typeIfLj2EEiiiiiiS1_IjLj3EES5_S5_
    .private_segment_fixed_size: 0
    .sgpr_count:     30
    .sgpr_spill_count: 0
    .symbol:         _ZL33flash_attn_stream_k_fixup_uniformILi128ELi8ELi4EEvPfPK15HIP_vector_typeIfLj2EEiiiiiiS1_IjLj3EES5_S5_.kd
    .uniform_work_group_size: 1
    .uses_dynamic_stack: false
    .vgpr_count:     17
    .vgpr_spill_count: 0
    .wavefront_size: 64
  - .agpr_count:     0
    .args:
      - .address_space:  global
        .offset:         0
        .size:           8
        .value_kind:     global_buffer
      - .address_space:  global
        .offset:         8
        .size:           8
        .value_kind:     global_buffer
      - .offset:         16
        .size:           4
        .value_kind:     by_value
      - .offset:         20
        .size:           4
        .value_kind:     by_value
      - .offset:         24
        .size:           4
        .value_kind:     by_value
      - .offset:         28
        .size:           4
        .value_kind:     by_value
      - .offset:         32
        .size:           12
        .value_kind:     by_value
      - .offset:         44
        .size:           12
        .value_kind:     by_value
      - .offset:         56
        .size:           12
        .value_kind:     by_value
      - .offset:         68
        .size:           12
        .value_kind:     by_value
      - .offset:         80
        .size:           4
        .value_kind:     hidden_block_count_x
      - .offset:         84
        .size:           4
        .value_kind:     hidden_block_count_y
      - .offset:         88
        .size:           4
        .value_kind:     hidden_block_count_z
      - .offset:         92
        .size:           2
        .value_kind:     hidden_group_size_x
      - .offset:         94
        .size:           2
        .value_kind:     hidden_group_size_y
      - .offset:         96
        .size:           2
        .value_kind:     hidden_group_size_z
      - .offset:         98
        .size:           2
        .value_kind:     hidden_remainder_x
      - .offset:         100
        .size:           2
        .value_kind:     hidden_remainder_y
      - .offset:         102
        .size:           2
        .value_kind:     hidden_remainder_z
      - .offset:         120
        .size:           8
        .value_kind:     hidden_global_offset_x
      - .offset:         128
        .size:           8
        .value_kind:     hidden_global_offset_y
      - .offset:         136
        .size:           8
        .value_kind:     hidden_global_offset_z
      - .offset:         144
        .size:           2
        .value_kind:     hidden_grid_dims
    .group_segment_fixed_size: 0
    .kernarg_segment_align: 8
    .kernarg_segment_size: 336
    .language:       OpenCL C
    .language_version:
      - 2
      - 0
    .max_flat_workgroup_size: 128
    .name:           _ZL33flash_attn_stream_k_fixup_generalILi128ELi8ELi4EEvPfPK15HIP_vector_typeIfLj2EEiiiiS1_IjLj3EES5_S5_S5_
    .private_segment_fixed_size: 0
    .sgpr_count:     42
    .sgpr_spill_count: 0
    .symbol:         _ZL33flash_attn_stream_k_fixup_generalILi128ELi8ELi4EEvPfPK15HIP_vector_typeIfLj2EEiiiiS1_IjLj3EES5_S5_S5_.kd
    .uniform_work_group_size: 1
    .uses_dynamic_stack: false
    .vgpr_count:     18
    .vgpr_spill_count: 0
    .wavefront_size: 64
  - .agpr_count:     0
    .args:
      - .address_space:  global
        .offset:         0
        .size:           8
        .value_kind:     global_buffer
      - .address_space:  global
        .offset:         8
        .size:           8
        .value_kind:     global_buffer
      - .address_space:  global
        .offset:         16
        .size:           8
        .value_kind:     global_buffer
      - .offset:         24
        .size:           4
        .value_kind:     by_value
      - .offset:         32
        .size:           4
        .value_kind:     hidden_block_count_x
      - .offset:         36
        .size:           4
        .value_kind:     hidden_block_count_y
      - .offset:         40
        .size:           4
        .value_kind:     hidden_block_count_z
      - .offset:         44
        .size:           2
        .value_kind:     hidden_group_size_x
      - .offset:         46
        .size:           2
        .value_kind:     hidden_group_size_y
      - .offset:         48
        .size:           2
        .value_kind:     hidden_group_size_z
      - .offset:         50
        .size:           2
        .value_kind:     hidden_remainder_x
      - .offset:         52
        .size:           2
        .value_kind:     hidden_remainder_y
      - .offset:         54
        .size:           2
        .value_kind:     hidden_remainder_z
      - .offset:         72
        .size:           8
        .value_kind:     hidden_global_offset_x
      - .offset:         80
        .size:           8
        .value_kind:     hidden_global_offset_y
      - .offset:         88
        .size:           8
        .value_kind:     hidden_global_offset_z
      - .offset:         96
        .size:           2
        .value_kind:     hidden_grid_dims
      - .offset:         152
        .size:           4
        .value_kind:     hidden_dynamic_lds_size
    .group_segment_fixed_size: 0
    .kernarg_segment_align: 8
    .kernarg_segment_size: 288
    .language:       OpenCL C
    .language_version:
      - 2
      - 0
    .max_flat_workgroup_size: 128
    .name:           _ZL26flash_attn_combine_resultsILi128EEvPKfPK15HIP_vector_typeIfLj2EEPfi
    .private_segment_fixed_size: 0
    .sgpr_count:     32
    .sgpr_spill_count: 0
    .symbol:         _ZL26flash_attn_combine_resultsILi128EEvPKfPK15HIP_vector_typeIfLj2EEPfi.kd
    .uniform_work_group_size: 1
    .uses_dynamic_stack: false
    .vgpr_count:     59
    .vgpr_spill_count: 0
    .wavefront_size: 64
  - .agpr_count:     106
    .args:
      - .address_space:  global
        .offset:         0
        .size:           8
        .value_kind:     global_buffer
      - .address_space:  global
        .offset:         8
        .size:           8
        .value_kind:     global_buffer
      - .address_space:  global
        .offset:         16
        .size:           8
        .value_kind:     global_buffer
      - .address_space:  global
        .offset:         24
        .size:           8
        .value_kind:     global_buffer
      - .address_space:  global
        .offset:         32
        .size:           8
        .value_kind:     global_buffer
      - .address_space:  global
        .offset:         40
        .size:           8
        .value_kind:     global_buffer
      - .address_space:  global
        .offset:         48
        .size:           8
        .value_kind:     global_buffer
      - .address_space:  global
        .offset:         56
        .size:           8
        .value_kind:     global_buffer
      - .offset:         64
        .size:           4
        .value_kind:     by_value
      - .offset:         68
        .size:           4
        .value_kind:     by_value
      - .offset:         72
        .size:           4
        .value_kind:     by_value
      - .offset:         76
        .size:           4
        .value_kind:     by_value
      - .offset:         80
        .size:           4
        .value_kind:     by_value
      - .offset:         84
        .size:           4
        .value_kind:     by_value
      - .offset:         88
        .size:           4
        .value_kind:     by_value
      - .offset:         92
        .size:           12
        .value_kind:     by_value
      - .offset:         104
        .size:           4
        .value_kind:     by_value
      - .offset:         108
        .size:           4
        .value_kind:     by_value
      - .offset:         112
        .size:           4
        .value_kind:     by_value
      - .offset:         116
        .size:           4
        .value_kind:     by_value
      - .offset:         120
        .size:           4
        .value_kind:     by_value
      - .offset:         124
        .size:           4
        .value_kind:     by_value
      - .offset:         128
        .size:           4
        .value_kind:     by_value
      - .offset:         132
        .size:           4
        .value_kind:     by_value
      - .offset:         136
        .size:           4
        .value_kind:     by_value
      - .offset:         140
        .size:           4
        .value_kind:     by_value
      - .offset:         144
        .size:           4
        .value_kind:     by_value
      - .offset:         152
        .size:           8
        .value_kind:     by_value
      - .offset:         160
        .size:           4
        .value_kind:     by_value
      - .offset:         164
        .size:           4
        .value_kind:     by_value
      - .offset:         168
        .size:           8
        .value_kind:     by_value
      - .offset:         176
        .size:           4
        .value_kind:     by_value
      - .offset:         180
        .size:           4
        .value_kind:     by_value
      - .offset:         184
        .size:           4
        .value_kind:     by_value
      - .offset:         188
        .size:           4
        .value_kind:     by_value
      - .offset:         192
        .size:           4
        .value_kind:     by_value
      - .offset:         200
        .size:           8
        .value_kind:     by_value
      - .offset:         208
        .size:           4
        .value_kind:     hidden_block_count_x
      - .offset:         212
        .size:           4
        .value_kind:     hidden_block_count_y
      - .offset:         216
        .size:           4
        .value_kind:     hidden_block_count_z
      - .offset:         220
        .size:           2
        .value_kind:     hidden_group_size_x
      - .offset:         222
        .size:           2
        .value_kind:     hidden_group_size_y
      - .offset:         224
        .size:           2
        .value_kind:     hidden_group_size_z
      - .offset:         226
        .size:           2
        .value_kind:     hidden_remainder_x
      - .offset:         228
        .size:           2
        .value_kind:     hidden_remainder_y
      - .offset:         230
        .size:           2
        .value_kind:     hidden_remainder_z
      - .offset:         248
        .size:           8
        .value_kind:     hidden_global_offset_x
      - .offset:         256
        .size:           8
        .value_kind:     hidden_global_offset_y
      - .offset:         264
        .size:           8
        .value_kind:     hidden_global_offset_z
      - .offset:         272
        .size:           2
        .value_kind:     hidden_grid_dims
      - .offset:         328
        .size:           4
        .value_kind:     hidden_dynamic_lds_size
    .group_segment_fixed_size: 0
    .kernarg_segment_align: 8
    .kernarg_segment_size: 464
    .language:       OpenCL C
    .language_version:
      - 2
      - 0
    .max_flat_workgroup_size: 256
    .name:           _ZL18flash_attn_ext_f16ILi256ELi256ELi8ELi4ELb0ELb0EEvPKcS1_S1_S1_S1_PKiPfP15HIP_vector_typeIfLj2EEffffjfiS5_IjLj3EEiiiiiiiiiiiliiliiiiil
    .private_segment_fixed_size: 0
    .sgpr_count:     99
    .sgpr_spill_count: 0
    .symbol:         _ZL18flash_attn_ext_f16ILi256ELi256ELi8ELi4ELb0ELb0EEvPKcS1_S1_S1_S1_PKiPfP15HIP_vector_typeIfLj2EEffffjfiS5_IjLj3EEiiiiiiiiiiiliiliiiiil.kd
    .uniform_work_group_size: 1
    .uses_dynamic_stack: false
    .vgpr_count:     362
    .vgpr_spill_count: 0
    .wavefront_size: 64
  - .agpr_count:     104
    .args:
      - .address_space:  global
        .offset:         0
        .size:           8
        .value_kind:     global_buffer
      - .address_space:  global
        .offset:         8
        .size:           8
        .value_kind:     global_buffer
      - .address_space:  global
        .offset:         16
        .size:           8
        .value_kind:     global_buffer
      - .address_space:  global
        .offset:         24
        .size:           8
        .value_kind:     global_buffer
      - .address_space:  global
        .offset:         32
        .size:           8
        .value_kind:     global_buffer
      - .address_space:  global
        .offset:         40
        .size:           8
        .value_kind:     global_buffer
      - .address_space:  global
        .offset:         48
        .size:           8
        .value_kind:     global_buffer
      - .address_space:  global
        .offset:         56
        .size:           8
        .value_kind:     global_buffer
      - .offset:         64
        .size:           4
        .value_kind:     by_value
      - .offset:         68
        .size:           4
        .value_kind:     by_value
      - .offset:         72
        .size:           4
        .value_kind:     by_value
      - .offset:         76
        .size:           4
        .value_kind:     by_value
      - .offset:         80
        .size:           4
        .value_kind:     by_value
      - .offset:         84
        .size:           4
        .value_kind:     by_value
      - .offset:         88
        .size:           4
        .value_kind:     by_value
      - .offset:         92
        .size:           12
        .value_kind:     by_value
      - .offset:         104
        .size:           4
        .value_kind:     by_value
      - .offset:         108
        .size:           4
        .value_kind:     by_value
      - .offset:         112
        .size:           4
        .value_kind:     by_value
      - .offset:         116
        .size:           4
        .value_kind:     by_value
      - .offset:         120
        .size:           4
        .value_kind:     by_value
      - .offset:         124
        .size:           4
        .value_kind:     by_value
      - .offset:         128
        .size:           4
        .value_kind:     by_value
      - .offset:         132
        .size:           4
        .value_kind:     by_value
      - .offset:         136
        .size:           4
        .value_kind:     by_value
      - .offset:         140
        .size:           4
        .value_kind:     by_value
      - .offset:         144
        .size:           4
        .value_kind:     by_value
      - .offset:         152
        .size:           8
        .value_kind:     by_value
      - .offset:         160
        .size:           4
        .value_kind:     by_value
      - .offset:         164
        .size:           4
        .value_kind:     by_value
      - .offset:         168
        .size:           8
        .value_kind:     by_value
      - .offset:         176
        .size:           4
        .value_kind:     by_value
      - .offset:         180
        .size:           4
        .value_kind:     by_value
      - .offset:         184
        .size:           4
        .value_kind:     by_value
      - .offset:         188
        .size:           4
        .value_kind:     by_value
      - .offset:         192
        .size:           4
        .value_kind:     by_value
      - .offset:         200
        .size:           8
        .value_kind:     by_value
      - .offset:         208
        .size:           4
        .value_kind:     hidden_block_count_x
      - .offset:         212
        .size:           4
        .value_kind:     hidden_block_count_y
      - .offset:         216
        .size:           4
        .value_kind:     hidden_block_count_z
      - .offset:         220
        .size:           2
        .value_kind:     hidden_group_size_x
      - .offset:         222
        .size:           2
        .value_kind:     hidden_group_size_y
      - .offset:         224
        .size:           2
        .value_kind:     hidden_group_size_z
      - .offset:         226
        .size:           2
        .value_kind:     hidden_remainder_x
      - .offset:         228
        .size:           2
        .value_kind:     hidden_remainder_y
      - .offset:         230
        .size:           2
        .value_kind:     hidden_remainder_z
      - .offset:         248
        .size:           8
        .value_kind:     hidden_global_offset_x
      - .offset:         256
        .size:           8
        .value_kind:     hidden_global_offset_y
      - .offset:         264
        .size:           8
        .value_kind:     hidden_global_offset_z
      - .offset:         272
        .size:           2
        .value_kind:     hidden_grid_dims
      - .offset:         328
        .size:           4
        .value_kind:     hidden_dynamic_lds_size
    .group_segment_fixed_size: 0
    .kernarg_segment_align: 8
    .kernarg_segment_size: 464
    .language:       OpenCL C
    .language_version:
      - 2
      - 0
    .max_flat_workgroup_size: 256
    .name:           _ZL18flash_attn_ext_f16ILi256ELi256ELi8ELi4ELb1ELb0EEvPKcS1_S1_S1_S1_PKiPfP15HIP_vector_typeIfLj2EEffffjfiS5_IjLj3EEiiiiiiiiiiiliiliiiiil
    .private_segment_fixed_size: 0
    .sgpr_count:     102
    .sgpr_spill_count: 0
    .symbol:         _ZL18flash_attn_ext_f16ILi256ELi256ELi8ELi4ELb1ELb0EEvPKcS1_S1_S1_S1_PKiPfP15HIP_vector_typeIfLj2EEffffjfiS5_IjLj3EEiiiiiiiiiiiliiliiiiil.kd
    .uniform_work_group_size: 1
    .uses_dynamic_stack: false
    .vgpr_count:     360
    .vgpr_spill_count: 0
    .wavefront_size: 64
  - .agpr_count:     0
    .args:
      - .address_space:  global
        .offset:         0
        .size:           8
        .value_kind:     global_buffer
      - .address_space:  global
        .offset:         8
        .size:           8
        .value_kind:     global_buffer
      - .offset:         16
        .size:           4
        .value_kind:     by_value
      - .offset:         20
        .size:           4
        .value_kind:     by_value
      - .offset:         24
        .size:           4
        .value_kind:     by_value
      - .offset:         28
        .size:           4
        .value_kind:     by_value
      - .offset:         32
        .size:           4
        .value_kind:     by_value
      - .offset:         36
        .size:           4
        .value_kind:     by_value
      - .offset:         40
        .size:           12
        .value_kind:     by_value
      - .offset:         52
        .size:           12
        .value_kind:     by_value
      - .offset:         64
        .size:           12
        .value_kind:     by_value
    .group_segment_fixed_size: 0
    .kernarg_segment_align: 8
    .kernarg_segment_size: 76
    .language:       OpenCL C
    .language_version:
      - 2
      - 0
    .max_flat_workgroup_size: 256
    .name:           _ZL33flash_attn_stream_k_fixup_uniformILi256ELi8ELi4EEvPfPK15HIP_vector_typeIfLj2EEiiiiiiS1_IjLj3EES5_S5_
    .private_segment_fixed_size: 0
    .sgpr_count:     30
    .sgpr_spill_count: 0
    .symbol:         _ZL33flash_attn_stream_k_fixup_uniformILi256ELi8ELi4EEvPfPK15HIP_vector_typeIfLj2EEiiiiiiS1_IjLj3EES5_S5_.kd
    .uniform_work_group_size: 1
    .uses_dynamic_stack: false
    .vgpr_count:     17
    .vgpr_spill_count: 0
    .wavefront_size: 64
  - .agpr_count:     0
    .args:
      - .address_space:  global
        .offset:         0
        .size:           8
        .value_kind:     global_buffer
      - .address_space:  global
        .offset:         8
        .size:           8
        .value_kind:     global_buffer
      - .offset:         16
        .size:           4
        .value_kind:     by_value
      - .offset:         20
        .size:           4
        .value_kind:     by_value
      - .offset:         24
        .size:           4
        .value_kind:     by_value
      - .offset:         28
        .size:           4
        .value_kind:     by_value
      - .offset:         32
        .size:           12
        .value_kind:     by_value
      - .offset:         44
        .size:           12
        .value_kind:     by_value
      - .offset:         56
        .size:           12
        .value_kind:     by_value
      - .offset:         68
        .size:           12
        .value_kind:     by_value
      - .offset:         80
        .size:           4
        .value_kind:     hidden_block_count_x
      - .offset:         84
        .size:           4
        .value_kind:     hidden_block_count_y
      - .offset:         88
        .size:           4
        .value_kind:     hidden_block_count_z
      - .offset:         92
        .size:           2
        .value_kind:     hidden_group_size_x
      - .offset:         94
        .size:           2
        .value_kind:     hidden_group_size_y
      - .offset:         96
        .size:           2
        .value_kind:     hidden_group_size_z
      - .offset:         98
        .size:           2
        .value_kind:     hidden_remainder_x
      - .offset:         100
        .size:           2
        .value_kind:     hidden_remainder_y
      - .offset:         102
        .size:           2
        .value_kind:     hidden_remainder_z
      - .offset:         120
        .size:           8
        .value_kind:     hidden_global_offset_x
      - .offset:         128
        .size:           8
        .value_kind:     hidden_global_offset_y
      - .offset:         136
        .size:           8
        .value_kind:     hidden_global_offset_z
      - .offset:         144
        .size:           2
        .value_kind:     hidden_grid_dims
    .group_segment_fixed_size: 0
    .kernarg_segment_align: 8
    .kernarg_segment_size: 336
    .language:       OpenCL C
    .language_version:
      - 2
      - 0
    .max_flat_workgroup_size: 256
    .name:           _ZL33flash_attn_stream_k_fixup_generalILi256ELi8ELi4EEvPfPK15HIP_vector_typeIfLj2EEiiiiS1_IjLj3EES5_S5_S5_
    .private_segment_fixed_size: 0
    .sgpr_count:     42
    .sgpr_spill_count: 0
    .symbol:         _ZL33flash_attn_stream_k_fixup_generalILi256ELi8ELi4EEvPfPK15HIP_vector_typeIfLj2EEiiiiS1_IjLj3EES5_S5_S5_.kd
    .uniform_work_group_size: 1
    .uses_dynamic_stack: false
    .vgpr_count:     18
    .vgpr_spill_count: 0
    .wavefront_size: 64
  - .agpr_count:     0
    .args:
      - .address_space:  global
        .offset:         0
        .size:           8
        .value_kind:     global_buffer
      - .address_space:  global
        .offset:         8
        .size:           8
        .value_kind:     global_buffer
      - .address_space:  global
        .offset:         16
        .size:           8
        .value_kind:     global_buffer
      - .offset:         24
        .size:           4
        .value_kind:     by_value
      - .offset:         32
        .size:           4
        .value_kind:     hidden_block_count_x
      - .offset:         36
        .size:           4
        .value_kind:     hidden_block_count_y
      - .offset:         40
        .size:           4
        .value_kind:     hidden_block_count_z
      - .offset:         44
        .size:           2
        .value_kind:     hidden_group_size_x
      - .offset:         46
        .size:           2
        .value_kind:     hidden_group_size_y
      - .offset:         48
        .size:           2
        .value_kind:     hidden_group_size_z
      - .offset:         50
        .size:           2
        .value_kind:     hidden_remainder_x
      - .offset:         52
        .size:           2
        .value_kind:     hidden_remainder_y
      - .offset:         54
        .size:           2
        .value_kind:     hidden_remainder_z
      - .offset:         72
        .size:           8
        .value_kind:     hidden_global_offset_x
      - .offset:         80
        .size:           8
        .value_kind:     hidden_global_offset_y
      - .offset:         88
        .size:           8
        .value_kind:     hidden_global_offset_z
      - .offset:         96
        .size:           2
        .value_kind:     hidden_grid_dims
      - .offset:         152
        .size:           4
        .value_kind:     hidden_dynamic_lds_size
    .group_segment_fixed_size: 0
    .kernarg_segment_align: 8
    .kernarg_segment_size: 288
    .language:       OpenCL C
    .language_version:
      - 2
      - 0
    .max_flat_workgroup_size: 256
    .name:           _ZL26flash_attn_combine_resultsILi256EEvPKfPK15HIP_vector_typeIfLj2EEPfi
    .private_segment_fixed_size: 0
    .sgpr_count:     32
    .sgpr_spill_count: 0
    .symbol:         _ZL26flash_attn_combine_resultsILi256EEvPKfPK15HIP_vector_typeIfLj2EEPfi.kd
    .uniform_work_group_size: 1
    .uses_dynamic_stack: false
    .vgpr_count:     59
    .vgpr_spill_count: 0
    .wavefront_size: 64
  - .agpr_count:     0
    .args:
      - .address_space:  global
        .offset:         0
        .size:           8
        .value_kind:     global_buffer
      - .address_space:  global
        .offset:         8
        .size:           8
        .value_kind:     global_buffer
      - .address_space:  global
        .offset:         16
        .size:           8
        .value_kind:     global_buffer
      - .address_space:  global
        .offset:         24
        .size:           8
        .value_kind:     global_buffer
      - .address_space:  global
        .offset:         32
        .size:           8
        .value_kind:     global_buffer
      - .address_space:  global
        .offset:         40
        .size:           8
        .value_kind:     global_buffer
      - .address_space:  global
        .offset:         48
        .size:           8
        .value_kind:     global_buffer
      - .address_space:  global
        .offset:         56
        .size:           8
        .value_kind:     global_buffer
      - .offset:         64
        .size:           4
        .value_kind:     by_value
      - .offset:         68
        .size:           4
        .value_kind:     by_value
      - .offset:         72
        .size:           4
        .value_kind:     by_value
      - .offset:         76
        .size:           4
        .value_kind:     by_value
      - .offset:         80
        .size:           4
        .value_kind:     by_value
      - .offset:         84
        .size:           4
        .value_kind:     by_value
      - .offset:         88
        .size:           4
        .value_kind:     by_value
      - .offset:         92
        .size:           12
        .value_kind:     by_value
      - .offset:         104
        .size:           4
        .value_kind:     by_value
      - .offset:         108
        .size:           4
        .value_kind:     by_value
      - .offset:         112
        .size:           4
        .value_kind:     by_value
      - .offset:         116
        .size:           4
        .value_kind:     by_value
      - .offset:         120
        .size:           4
        .value_kind:     by_value
      - .offset:         124
        .size:           4
        .value_kind:     by_value
      - .offset:         128
        .size:           4
        .value_kind:     by_value
      - .offset:         132
        .size:           4
        .value_kind:     by_value
      - .offset:         136
        .size:           4
        .value_kind:     by_value
      - .offset:         140
        .size:           4
        .value_kind:     by_value
      - .offset:         144
        .size:           4
        .value_kind:     by_value
      - .offset:         152
        .size:           8
        .value_kind:     by_value
      - .offset:         160
        .size:           4
        .value_kind:     by_value
      - .offset:         164
        .size:           4
        .value_kind:     by_value
      - .offset:         168
        .size:           8
        .value_kind:     by_value
      - .offset:         176
        .size:           4
        .value_kind:     by_value
      - .offset:         180
        .size:           4
        .value_kind:     by_value
      - .offset:         184
        .size:           4
        .value_kind:     by_value
      - .offset:         188
        .size:           4
        .value_kind:     by_value
      - .offset:         192
        .size:           4
        .value_kind:     by_value
      - .offset:         200
        .size:           8
        .value_kind:     by_value
      - .offset:         208
        .size:           4
        .value_kind:     hidden_block_count_x
      - .offset:         212
        .size:           4
        .value_kind:     hidden_block_count_y
      - .offset:         216
        .size:           4
        .value_kind:     hidden_block_count_z
      - .offset:         220
        .size:           2
        .value_kind:     hidden_group_size_x
      - .offset:         222
        .size:           2
        .value_kind:     hidden_group_size_y
      - .offset:         224
        .size:           2
        .value_kind:     hidden_group_size_z
      - .offset:         226
        .size:           2
        .value_kind:     hidden_remainder_x
      - .offset:         228
        .size:           2
        .value_kind:     hidden_remainder_y
      - .offset:         230
        .size:           2
        .value_kind:     hidden_remainder_z
      - .offset:         248
        .size:           8
        .value_kind:     hidden_global_offset_x
      - .offset:         256
        .size:           8
        .value_kind:     hidden_global_offset_y
      - .offset:         264
        .size:           8
        .value_kind:     hidden_global_offset_z
      - .offset:         272
        .size:           2
        .value_kind:     hidden_grid_dims
      - .offset:         288
        .size:           8
        .value_kind:     hidden_hostcall_buffer
    .group_segment_fixed_size: 0
    .kernarg_segment_align: 8
    .kernarg_segment_size: 464
    .language:       OpenCL C
    .language_version:
      - 2
      - 0
    .max_flat_workgroup_size: 256
    .name:           _ZL18flash_attn_ext_f16ILi512ELi512ELi8ELi4ELb0ELb0EEvPKcS1_S1_S1_S1_PKiPfP15HIP_vector_typeIfLj2EEffffjfiS5_IjLj3EEiiiiiiiiiiiliiliiiiil
    .private_segment_fixed_size: 16
    .sgpr_count:     40
    .sgpr_spill_count: 0
    .symbol:         _ZL18flash_attn_ext_f16ILi512ELi512ELi8ELi4ELb0ELb0EEvPKcS1_S1_S1_S1_PKiPfP15HIP_vector_typeIfLj2EEffffjfiS5_IjLj3EEiiiiiiiiiiiliiliiiiil.kd
    .uniform_work_group_size: 1
    .uses_dynamic_stack: false
    .vgpr_count:     52
    .vgpr_spill_count: 0
    .wavefront_size: 64
  - .agpr_count:     0
    .args:
      - .address_space:  global
        .offset:         0
        .size:           8
        .value_kind:     global_buffer
      - .address_space:  global
        .offset:         8
        .size:           8
        .value_kind:     global_buffer
      - .address_space:  global
        .offset:         16
        .size:           8
        .value_kind:     global_buffer
      - .address_space:  global
        .offset:         24
        .size:           8
        .value_kind:     global_buffer
      - .address_space:  global
        .offset:         32
        .size:           8
        .value_kind:     global_buffer
      - .address_space:  global
        .offset:         40
        .size:           8
        .value_kind:     global_buffer
      - .address_space:  global
        .offset:         48
        .size:           8
        .value_kind:     global_buffer
      - .address_space:  global
        .offset:         56
        .size:           8
        .value_kind:     global_buffer
      - .offset:         64
        .size:           4
        .value_kind:     by_value
      - .offset:         68
        .size:           4
        .value_kind:     by_value
      - .offset:         72
        .size:           4
        .value_kind:     by_value
      - .offset:         76
        .size:           4
        .value_kind:     by_value
      - .offset:         80
        .size:           4
        .value_kind:     by_value
      - .offset:         84
        .size:           4
        .value_kind:     by_value
      - .offset:         88
        .size:           4
        .value_kind:     by_value
      - .offset:         92
        .size:           12
        .value_kind:     by_value
      - .offset:         104
        .size:           4
        .value_kind:     by_value
      - .offset:         108
        .size:           4
        .value_kind:     by_value
      - .offset:         112
        .size:           4
        .value_kind:     by_value
      - .offset:         116
        .size:           4
        .value_kind:     by_value
      - .offset:         120
        .size:           4
        .value_kind:     by_value
      - .offset:         124
        .size:           4
        .value_kind:     by_value
      - .offset:         128
        .size:           4
        .value_kind:     by_value
      - .offset:         132
        .size:           4
        .value_kind:     by_value
      - .offset:         136
        .size:           4
        .value_kind:     by_value
      - .offset:         140
        .size:           4
        .value_kind:     by_value
      - .offset:         144
        .size:           4
        .value_kind:     by_value
      - .offset:         152
        .size:           8
        .value_kind:     by_value
      - .offset:         160
        .size:           4
        .value_kind:     by_value
      - .offset:         164
        .size:           4
        .value_kind:     by_value
      - .offset:         168
        .size:           8
        .value_kind:     by_value
      - .offset:         176
        .size:           4
        .value_kind:     by_value
      - .offset:         180
        .size:           4
        .value_kind:     by_value
      - .offset:         184
        .size:           4
        .value_kind:     by_value
      - .offset:         188
        .size:           4
        .value_kind:     by_value
      - .offset:         192
        .size:           4
        .value_kind:     by_value
      - .offset:         200
        .size:           8
        .value_kind:     by_value
      - .offset:         208
        .size:           4
        .value_kind:     hidden_block_count_x
      - .offset:         212
        .size:           4
        .value_kind:     hidden_block_count_y
      - .offset:         216
        .size:           4
        .value_kind:     hidden_block_count_z
      - .offset:         220
        .size:           2
        .value_kind:     hidden_group_size_x
      - .offset:         222
        .size:           2
        .value_kind:     hidden_group_size_y
      - .offset:         224
        .size:           2
        .value_kind:     hidden_group_size_z
      - .offset:         226
        .size:           2
        .value_kind:     hidden_remainder_x
      - .offset:         228
        .size:           2
        .value_kind:     hidden_remainder_y
      - .offset:         230
        .size:           2
        .value_kind:     hidden_remainder_z
      - .offset:         248
        .size:           8
        .value_kind:     hidden_global_offset_x
      - .offset:         256
        .size:           8
        .value_kind:     hidden_global_offset_y
      - .offset:         264
        .size:           8
        .value_kind:     hidden_global_offset_z
      - .offset:         272
        .size:           2
        .value_kind:     hidden_grid_dims
      - .offset:         288
        .size:           8
        .value_kind:     hidden_hostcall_buffer
    .group_segment_fixed_size: 0
    .kernarg_segment_align: 8
    .kernarg_segment_size: 464
    .language:       OpenCL C
    .language_version:
      - 2
      - 0
    .max_flat_workgroup_size: 256
    .name:           _ZL18flash_attn_ext_f16ILi512ELi512ELi8ELi4ELb1ELb0EEvPKcS1_S1_S1_S1_PKiPfP15HIP_vector_typeIfLj2EEffffjfiS5_IjLj3EEiiiiiiiiiiiliiliiiiil
    .private_segment_fixed_size: 16
    .sgpr_count:     40
    .sgpr_spill_count: 0
    .symbol:         _ZL18flash_attn_ext_f16ILi512ELi512ELi8ELi4ELb1ELb0EEvPKcS1_S1_S1_S1_PKiPfP15HIP_vector_typeIfLj2EEffffjfiS5_IjLj3EEiiiiiiiiiiiliiliiiiil.kd
    .uniform_work_group_size: 1
    .uses_dynamic_stack: false
    .vgpr_count:     52
    .vgpr_spill_count: 0
    .wavefront_size: 64
  - .agpr_count:     0
    .args:
      - .address_space:  global
        .offset:         0
        .size:           8
        .value_kind:     global_buffer
      - .address_space:  global
        .offset:         8
        .size:           8
        .value_kind:     global_buffer
      - .offset:         16
        .size:           4
        .value_kind:     by_value
      - .offset:         20
        .size:           4
        .value_kind:     by_value
      - .offset:         24
        .size:           4
        .value_kind:     by_value
      - .offset:         28
        .size:           4
        .value_kind:     by_value
      - .offset:         32
        .size:           4
        .value_kind:     by_value
      - .offset:         36
        .size:           4
        .value_kind:     by_value
      - .offset:         40
        .size:           12
        .value_kind:     by_value
      - .offset:         52
        .size:           12
        .value_kind:     by_value
      - .offset:         64
        .size:           12
        .value_kind:     by_value
    .group_segment_fixed_size: 0
    .kernarg_segment_align: 8
    .kernarg_segment_size: 76
    .language:       OpenCL C
    .language_version:
      - 2
      - 0
    .max_flat_workgroup_size: 512
    .name:           _ZL33flash_attn_stream_k_fixup_uniformILi512ELi8ELi4EEvPfPK15HIP_vector_typeIfLj2EEiiiiiiS1_IjLj3EES5_S5_
    .private_segment_fixed_size: 0
    .sgpr_count:     30
    .sgpr_spill_count: 0
    .symbol:         _ZL33flash_attn_stream_k_fixup_uniformILi512ELi8ELi4EEvPfPK15HIP_vector_typeIfLj2EEiiiiiiS1_IjLj3EES5_S5_.kd
    .uniform_work_group_size: 1
    .uses_dynamic_stack: false
    .vgpr_count:     17
    .vgpr_spill_count: 0
    .wavefront_size: 64
  - .agpr_count:     0
    .args:
      - .address_space:  global
        .offset:         0
        .size:           8
        .value_kind:     global_buffer
      - .address_space:  global
        .offset:         8
        .size:           8
        .value_kind:     global_buffer
      - .offset:         16
        .size:           4
        .value_kind:     by_value
      - .offset:         20
        .size:           4
        .value_kind:     by_value
      - .offset:         24
        .size:           4
        .value_kind:     by_value
      - .offset:         28
        .size:           4
        .value_kind:     by_value
      - .offset:         32
        .size:           12
        .value_kind:     by_value
      - .offset:         44
        .size:           12
        .value_kind:     by_value
      - .offset:         56
        .size:           12
        .value_kind:     by_value
      - .offset:         68
        .size:           12
        .value_kind:     by_value
      - .offset:         80
        .size:           4
        .value_kind:     hidden_block_count_x
      - .offset:         84
        .size:           4
        .value_kind:     hidden_block_count_y
      - .offset:         88
        .size:           4
        .value_kind:     hidden_block_count_z
      - .offset:         92
        .size:           2
        .value_kind:     hidden_group_size_x
      - .offset:         94
        .size:           2
        .value_kind:     hidden_group_size_y
      - .offset:         96
        .size:           2
        .value_kind:     hidden_group_size_z
      - .offset:         98
        .size:           2
        .value_kind:     hidden_remainder_x
      - .offset:         100
        .size:           2
        .value_kind:     hidden_remainder_y
      - .offset:         102
        .size:           2
        .value_kind:     hidden_remainder_z
      - .offset:         120
        .size:           8
        .value_kind:     hidden_global_offset_x
      - .offset:         128
        .size:           8
        .value_kind:     hidden_global_offset_y
      - .offset:         136
        .size:           8
        .value_kind:     hidden_global_offset_z
      - .offset:         144
        .size:           2
        .value_kind:     hidden_grid_dims
    .group_segment_fixed_size: 0
    .kernarg_segment_align: 8
    .kernarg_segment_size: 336
    .language:       OpenCL C
    .language_version:
      - 2
      - 0
    .max_flat_workgroup_size: 512
    .name:           _ZL33flash_attn_stream_k_fixup_generalILi512ELi8ELi4EEvPfPK15HIP_vector_typeIfLj2EEiiiiS1_IjLj3EES5_S5_S5_
    .private_segment_fixed_size: 0
    .sgpr_count:     42
    .sgpr_spill_count: 0
    .symbol:         _ZL33flash_attn_stream_k_fixup_generalILi512ELi8ELi4EEvPfPK15HIP_vector_typeIfLj2EEiiiiS1_IjLj3EES5_S5_S5_.kd
    .uniform_work_group_size: 1
    .uses_dynamic_stack: false
    .vgpr_count:     18
    .vgpr_spill_count: 0
    .wavefront_size: 64
  - .agpr_count:     0
    .args:
      - .address_space:  global
        .offset:         0
        .size:           8
        .value_kind:     global_buffer
      - .address_space:  global
        .offset:         8
        .size:           8
        .value_kind:     global_buffer
      - .address_space:  global
        .offset:         16
        .size:           8
        .value_kind:     global_buffer
      - .offset:         24
        .size:           4
        .value_kind:     by_value
      - .offset:         32
        .size:           4
        .value_kind:     hidden_block_count_x
      - .offset:         36
        .size:           4
        .value_kind:     hidden_block_count_y
      - .offset:         40
        .size:           4
        .value_kind:     hidden_block_count_z
      - .offset:         44
        .size:           2
        .value_kind:     hidden_group_size_x
      - .offset:         46
        .size:           2
        .value_kind:     hidden_group_size_y
      - .offset:         48
        .size:           2
        .value_kind:     hidden_group_size_z
      - .offset:         50
        .size:           2
        .value_kind:     hidden_remainder_x
      - .offset:         52
        .size:           2
        .value_kind:     hidden_remainder_y
      - .offset:         54
        .size:           2
        .value_kind:     hidden_remainder_z
      - .offset:         72
        .size:           8
        .value_kind:     hidden_global_offset_x
      - .offset:         80
        .size:           8
        .value_kind:     hidden_global_offset_y
      - .offset:         88
        .size:           8
        .value_kind:     hidden_global_offset_z
      - .offset:         96
        .size:           2
        .value_kind:     hidden_grid_dims
      - .offset:         152
        .size:           4
        .value_kind:     hidden_dynamic_lds_size
    .group_segment_fixed_size: 0
    .kernarg_segment_align: 8
    .kernarg_segment_size: 288
    .language:       OpenCL C
    .language_version:
      - 2
      - 0
    .max_flat_workgroup_size: 512
    .name:           _ZL26flash_attn_combine_resultsILi512EEvPKfPK15HIP_vector_typeIfLj2EEPfi
    .private_segment_fixed_size: 0
    .sgpr_count:     32
    .sgpr_spill_count: 0
    .symbol:         _ZL26flash_attn_combine_resultsILi512EEvPKfPK15HIP_vector_typeIfLj2EEPfi.kd
    .uniform_work_group_size: 1
    .uses_dynamic_stack: false
    .vgpr_count:     59
    .vgpr_spill_count: 0
    .wavefront_size: 64
  - .agpr_count:     0
    .args:
      - .address_space:  global
        .offset:         0
        .size:           8
        .value_kind:     global_buffer
      - .address_space:  global
        .offset:         8
        .size:           8
        .value_kind:     global_buffer
      - .address_space:  global
        .offset:         16
        .size:           8
        .value_kind:     global_buffer
      - .address_space:  global
        .offset:         24
        .size:           8
        .value_kind:     global_buffer
      - .address_space:  global
        .offset:         32
        .size:           8
        .value_kind:     global_buffer
      - .address_space:  global
        .offset:         40
        .size:           8
        .value_kind:     global_buffer
      - .address_space:  global
        .offset:         48
        .size:           8
        .value_kind:     global_buffer
      - .address_space:  global
        .offset:         56
        .size:           8
        .value_kind:     global_buffer
      - .offset:         64
        .size:           4
        .value_kind:     by_value
      - .offset:         68
        .size:           4
        .value_kind:     by_value
      - .offset:         72
        .size:           4
        .value_kind:     by_value
      - .offset:         76
        .size:           4
        .value_kind:     by_value
      - .offset:         80
        .size:           4
        .value_kind:     by_value
      - .offset:         84
        .size:           4
        .value_kind:     by_value
      - .offset:         88
        .size:           4
        .value_kind:     by_value
      - .offset:         92
        .size:           12
        .value_kind:     by_value
      - .offset:         104
        .size:           4
        .value_kind:     by_value
      - .offset:         108
        .size:           4
        .value_kind:     by_value
      - .offset:         112
        .size:           4
        .value_kind:     by_value
      - .offset:         116
        .size:           4
        .value_kind:     by_value
      - .offset:         120
        .size:           4
        .value_kind:     by_value
      - .offset:         124
        .size:           4
        .value_kind:     by_value
      - .offset:         128
        .size:           4
        .value_kind:     by_value
      - .offset:         132
        .size:           4
        .value_kind:     by_value
      - .offset:         136
        .size:           4
        .value_kind:     by_value
      - .offset:         140
        .size:           4
        .value_kind:     by_value
      - .offset:         144
        .size:           4
        .value_kind:     by_value
      - .offset:         152
        .size:           8
        .value_kind:     by_value
      - .offset:         160
        .size:           4
        .value_kind:     by_value
      - .offset:         164
        .size:           4
        .value_kind:     by_value
      - .offset:         168
        .size:           8
        .value_kind:     by_value
      - .offset:         176
        .size:           4
        .value_kind:     by_value
      - .offset:         180
        .size:           4
        .value_kind:     by_value
      - .offset:         184
        .size:           4
        .value_kind:     by_value
      - .offset:         188
        .size:           4
        .value_kind:     by_value
      - .offset:         192
        .size:           4
        .value_kind:     by_value
      - .offset:         200
        .size:           8
        .value_kind:     by_value
      - .offset:         208
        .size:           4
        .value_kind:     hidden_block_count_x
      - .offset:         212
        .size:           4
        .value_kind:     hidden_block_count_y
      - .offset:         216
        .size:           4
        .value_kind:     hidden_block_count_z
      - .offset:         220
        .size:           2
        .value_kind:     hidden_group_size_x
      - .offset:         222
        .size:           2
        .value_kind:     hidden_group_size_y
      - .offset:         224
        .size:           2
        .value_kind:     hidden_group_size_z
      - .offset:         226
        .size:           2
        .value_kind:     hidden_remainder_x
      - .offset:         228
        .size:           2
        .value_kind:     hidden_remainder_y
      - .offset:         230
        .size:           2
        .value_kind:     hidden_remainder_z
      - .offset:         248
        .size:           8
        .value_kind:     hidden_global_offset_x
      - .offset:         256
        .size:           8
        .value_kind:     hidden_global_offset_y
      - .offset:         264
        .size:           8
        .value_kind:     hidden_global_offset_z
      - .offset:         272
        .size:           2
        .value_kind:     hidden_grid_dims
      - .offset:         288
        .size:           8
        .value_kind:     hidden_hostcall_buffer
    .group_segment_fixed_size: 0
    .kernarg_segment_align: 8
    .kernarg_segment_size: 464
    .language:       OpenCL C
    .language_version:
      - 2
      - 0
    .max_flat_workgroup_size: 256
    .name:           _ZL18flash_attn_ext_f16ILi576ELi512ELi8ELi4ELb0ELb1EEvPKcS1_S1_S1_S1_PKiPfP15HIP_vector_typeIfLj2EEffffjfiS5_IjLj3EEiiiiiiiiiiiliiliiiiil
    .private_segment_fixed_size: 16
    .sgpr_count:     40
    .sgpr_spill_count: 0
    .symbol:         _ZL18flash_attn_ext_f16ILi576ELi512ELi8ELi4ELb0ELb1EEvPKcS1_S1_S1_S1_PKiPfP15HIP_vector_typeIfLj2EEffffjfiS5_IjLj3EEiiiiiiiiiiiliiliiiiil.kd
    .uniform_work_group_size: 1
    .uses_dynamic_stack: false
    .vgpr_count:     52
    .vgpr_spill_count: 0
    .wavefront_size: 64
  - .agpr_count:     0
    .args:
      - .address_space:  global
        .offset:         0
        .size:           8
        .value_kind:     global_buffer
      - .address_space:  global
        .offset:         8
        .size:           8
        .value_kind:     global_buffer
      - .address_space:  global
        .offset:         16
        .size:           8
        .value_kind:     global_buffer
      - .address_space:  global
        .offset:         24
        .size:           8
        .value_kind:     global_buffer
      - .address_space:  global
        .offset:         32
        .size:           8
        .value_kind:     global_buffer
      - .address_space:  global
        .offset:         40
        .size:           8
        .value_kind:     global_buffer
      - .address_space:  global
        .offset:         48
        .size:           8
        .value_kind:     global_buffer
      - .address_space:  global
        .offset:         56
        .size:           8
        .value_kind:     global_buffer
      - .offset:         64
        .size:           4
        .value_kind:     by_value
      - .offset:         68
        .size:           4
        .value_kind:     by_value
      - .offset:         72
        .size:           4
        .value_kind:     by_value
      - .offset:         76
        .size:           4
        .value_kind:     by_value
      - .offset:         80
        .size:           4
        .value_kind:     by_value
      - .offset:         84
        .size:           4
        .value_kind:     by_value
      - .offset:         88
        .size:           4
        .value_kind:     by_value
      - .offset:         92
        .size:           12
        .value_kind:     by_value
      - .offset:         104
        .size:           4
        .value_kind:     by_value
      - .offset:         108
        .size:           4
        .value_kind:     by_value
      - .offset:         112
        .size:           4
        .value_kind:     by_value
      - .offset:         116
        .size:           4
        .value_kind:     by_value
      - .offset:         120
        .size:           4
        .value_kind:     by_value
      - .offset:         124
        .size:           4
        .value_kind:     by_value
      - .offset:         128
        .size:           4
        .value_kind:     by_value
      - .offset:         132
        .size:           4
        .value_kind:     by_value
      - .offset:         136
        .size:           4
        .value_kind:     by_value
      - .offset:         140
        .size:           4
        .value_kind:     by_value
      - .offset:         144
        .size:           4
        .value_kind:     by_value
      - .offset:         152
        .size:           8
        .value_kind:     by_value
      - .offset:         160
        .size:           4
        .value_kind:     by_value
      - .offset:         164
        .size:           4
        .value_kind:     by_value
      - .offset:         168
        .size:           8
        .value_kind:     by_value
      - .offset:         176
        .size:           4
        .value_kind:     by_value
      - .offset:         180
        .size:           4
        .value_kind:     by_value
      - .offset:         184
        .size:           4
        .value_kind:     by_value
      - .offset:         188
        .size:           4
        .value_kind:     by_value
      - .offset:         192
        .size:           4
        .value_kind:     by_value
      - .offset:         200
        .size:           8
        .value_kind:     by_value
      - .offset:         208
        .size:           4
        .value_kind:     hidden_block_count_x
      - .offset:         212
        .size:           4
        .value_kind:     hidden_block_count_y
      - .offset:         216
        .size:           4
        .value_kind:     hidden_block_count_z
      - .offset:         220
        .size:           2
        .value_kind:     hidden_group_size_x
      - .offset:         222
        .size:           2
        .value_kind:     hidden_group_size_y
      - .offset:         224
        .size:           2
        .value_kind:     hidden_group_size_z
      - .offset:         226
        .size:           2
        .value_kind:     hidden_remainder_x
      - .offset:         228
        .size:           2
        .value_kind:     hidden_remainder_y
      - .offset:         230
        .size:           2
        .value_kind:     hidden_remainder_z
      - .offset:         248
        .size:           8
        .value_kind:     hidden_global_offset_x
      - .offset:         256
        .size:           8
        .value_kind:     hidden_global_offset_y
      - .offset:         264
        .size:           8
        .value_kind:     hidden_global_offset_z
      - .offset:         272
        .size:           2
        .value_kind:     hidden_grid_dims
      - .offset:         288
        .size:           8
        .value_kind:     hidden_hostcall_buffer
    .group_segment_fixed_size: 0
    .kernarg_segment_align: 8
    .kernarg_segment_size: 464
    .language:       OpenCL C
    .language_version:
      - 2
      - 0
    .max_flat_workgroup_size: 256
    .name:           _ZL18flash_attn_ext_f16ILi576ELi512ELi8ELi4ELb1ELb1EEvPKcS1_S1_S1_S1_PKiPfP15HIP_vector_typeIfLj2EEffffjfiS5_IjLj3EEiiiiiiiiiiiliiliiiiil
    .private_segment_fixed_size: 16
    .sgpr_count:     40
    .sgpr_spill_count: 0
    .symbol:         _ZL18flash_attn_ext_f16ILi576ELi512ELi8ELi4ELb1ELb1EEvPKcS1_S1_S1_S1_PKiPfP15HIP_vector_typeIfLj2EEffffjfiS5_IjLj3EEiiiiiiiiiiiliiliiiiil.kd
    .uniform_work_group_size: 1
    .uses_dynamic_stack: false
    .vgpr_count:     52
    .vgpr_spill_count: 0
    .wavefront_size: 64
amdhsa.target:   amdgcn-amd-amdhsa--gfx950
amdhsa.version:
  - 1
  - 2
...

	.end_amdgpu_metadata
